;; amdgpu-corpus repo=ROCm/rocSOLVER kind=compiled arch=gfx906 opt=O3
	.amdgcn_target "amdgcn-amd-amdhsa--gfx906"
	.amdhsa_code_object_version 6
	.section	.text._ZN9rocsolver6v33100L18trti2_kernel_smallILi1EfPfEEv13rocblas_fill_17rocblas_diagonal_T1_iil,"axG",@progbits,_ZN9rocsolver6v33100L18trti2_kernel_smallILi1EfPfEEv13rocblas_fill_17rocblas_diagonal_T1_iil,comdat
	.globl	_ZN9rocsolver6v33100L18trti2_kernel_smallILi1EfPfEEv13rocblas_fill_17rocblas_diagonal_T1_iil ; -- Begin function _ZN9rocsolver6v33100L18trti2_kernel_smallILi1EfPfEEv13rocblas_fill_17rocblas_diagonal_T1_iil
	.p2align	8
	.type	_ZN9rocsolver6v33100L18trti2_kernel_smallILi1EfPfEEv13rocblas_fill_17rocblas_diagonal_T1_iil,@function
_ZN9rocsolver6v33100L18trti2_kernel_smallILi1EfPfEEv13rocblas_fill_17rocblas_diagonal_T1_iil: ; @_ZN9rocsolver6v33100L18trti2_kernel_smallILi1EfPfEEv13rocblas_fill_17rocblas_diagonal_T1_iil
; %bb.0:
	v_cmp_eq_u32_e32 vcc, 0, v0
	s_and_saveexec_b64 s[0:1], vcc
	s_cbranch_execz .LBB0_2
; %bb.1:
	s_load_dword s0, s[4:5], 0x10
	s_load_dwordx2 s[2:3], s[4:5], 0x18
	s_load_dwordx2 s[8:9], s[4:5], 0x8
	s_ashr_i32 s7, s6, 31
	s_waitcnt lgkmcnt(0)
	s_ashr_i32 s1, s0, 31
	s_mul_hi_u32 s10, s2, s6
	s_mul_i32 s7, s2, s7
	s_add_i32 s7, s10, s7
	s_mul_i32 s3, s3, s6
	s_add_i32 s3, s7, s3
	s_mul_i32 s2, s2, s6
	s_lshl_b64 s[2:3], s[2:3], 2
	s_add_u32 s2, s8, s2
	s_addc_u32 s3, s9, s3
	s_lshl_b64 s[0:1], s[0:1], 2
	s_add_u32 s0, s2, s0
	s_addc_u32 s1, s3, s1
	s_load_dword s6, s[0:1], 0x0
	s_waitcnt lgkmcnt(0)
	v_div_scale_f32 v0, s[2:3], s6, s6, 1.0
	v_div_scale_f32 v1, vcc, 1.0, s6, 1.0
	s_load_dword s2, s[4:5], 0x4
	s_waitcnt lgkmcnt(0)
	s_cmpk_eq_i32 s2, 0x84
	v_rcp_f32_e32 v2, v0
	v_fma_f32 v3, -v0, v2, 1.0
	v_fmac_f32_e32 v2, v3, v2
	v_mul_f32_e32 v3, v1, v2
	v_fma_f32 v4, -v0, v3, v1
	v_fmac_f32_e32 v3, v4, v2
	v_fma_f32 v0, -v0, v3, v1
	v_div_fmas_f32 v0, v0, v2, v3
	v_mov_b32_e32 v2, s6
	s_cselect_b64 vcc, -1, 0
	v_mov_b32_e32 v1, 0
	v_div_fixup_f32 v0, v0, s6, 1.0
	v_cndmask_b32_e32 v0, v0, v2, vcc
	global_store_dword v1, v0, s[0:1]
.LBB0_2:
	s_endpgm
	.section	.rodata,"a",@progbits
	.p2align	6, 0x0
	.amdhsa_kernel _ZN9rocsolver6v33100L18trti2_kernel_smallILi1EfPfEEv13rocblas_fill_17rocblas_diagonal_T1_iil
		.amdhsa_group_segment_fixed_size 0
		.amdhsa_private_segment_fixed_size 0
		.amdhsa_kernarg_size 32
		.amdhsa_user_sgpr_count 6
		.amdhsa_user_sgpr_private_segment_buffer 1
		.amdhsa_user_sgpr_dispatch_ptr 0
		.amdhsa_user_sgpr_queue_ptr 0
		.amdhsa_user_sgpr_kernarg_segment_ptr 1
		.amdhsa_user_sgpr_dispatch_id 0
		.amdhsa_user_sgpr_flat_scratch_init 0
		.amdhsa_user_sgpr_private_segment_size 0
		.amdhsa_uses_dynamic_stack 0
		.amdhsa_system_sgpr_private_segment_wavefront_offset 0
		.amdhsa_system_sgpr_workgroup_id_x 1
		.amdhsa_system_sgpr_workgroup_id_y 0
		.amdhsa_system_sgpr_workgroup_id_z 0
		.amdhsa_system_sgpr_workgroup_info 0
		.amdhsa_system_vgpr_workitem_id 0
		.amdhsa_next_free_vgpr 5
		.amdhsa_next_free_sgpr 11
		.amdhsa_reserve_vcc 1
		.amdhsa_reserve_flat_scratch 0
		.amdhsa_float_round_mode_32 0
		.amdhsa_float_round_mode_16_64 0
		.amdhsa_float_denorm_mode_32 3
		.amdhsa_float_denorm_mode_16_64 3
		.amdhsa_dx10_clamp 1
		.amdhsa_ieee_mode 1
		.amdhsa_fp16_overflow 0
		.amdhsa_exception_fp_ieee_invalid_op 0
		.amdhsa_exception_fp_denorm_src 0
		.amdhsa_exception_fp_ieee_div_zero 0
		.amdhsa_exception_fp_ieee_overflow 0
		.amdhsa_exception_fp_ieee_underflow 0
		.amdhsa_exception_fp_ieee_inexact 0
		.amdhsa_exception_int_div_zero 0
	.end_amdhsa_kernel
	.section	.text._ZN9rocsolver6v33100L18trti2_kernel_smallILi1EfPfEEv13rocblas_fill_17rocblas_diagonal_T1_iil,"axG",@progbits,_ZN9rocsolver6v33100L18trti2_kernel_smallILi1EfPfEEv13rocblas_fill_17rocblas_diagonal_T1_iil,comdat
.Lfunc_end0:
	.size	_ZN9rocsolver6v33100L18trti2_kernel_smallILi1EfPfEEv13rocblas_fill_17rocblas_diagonal_T1_iil, .Lfunc_end0-_ZN9rocsolver6v33100L18trti2_kernel_smallILi1EfPfEEv13rocblas_fill_17rocblas_diagonal_T1_iil
                                        ; -- End function
	.set _ZN9rocsolver6v33100L18trti2_kernel_smallILi1EfPfEEv13rocblas_fill_17rocblas_diagonal_T1_iil.num_vgpr, 5
	.set _ZN9rocsolver6v33100L18trti2_kernel_smallILi1EfPfEEv13rocblas_fill_17rocblas_diagonal_T1_iil.num_agpr, 0
	.set _ZN9rocsolver6v33100L18trti2_kernel_smallILi1EfPfEEv13rocblas_fill_17rocblas_diagonal_T1_iil.numbered_sgpr, 11
	.set _ZN9rocsolver6v33100L18trti2_kernel_smallILi1EfPfEEv13rocblas_fill_17rocblas_diagonal_T1_iil.num_named_barrier, 0
	.set _ZN9rocsolver6v33100L18trti2_kernel_smallILi1EfPfEEv13rocblas_fill_17rocblas_diagonal_T1_iil.private_seg_size, 0
	.set _ZN9rocsolver6v33100L18trti2_kernel_smallILi1EfPfEEv13rocblas_fill_17rocblas_diagonal_T1_iil.uses_vcc, 1
	.set _ZN9rocsolver6v33100L18trti2_kernel_smallILi1EfPfEEv13rocblas_fill_17rocblas_diagonal_T1_iil.uses_flat_scratch, 0
	.set _ZN9rocsolver6v33100L18trti2_kernel_smallILi1EfPfEEv13rocblas_fill_17rocblas_diagonal_T1_iil.has_dyn_sized_stack, 0
	.set _ZN9rocsolver6v33100L18trti2_kernel_smallILi1EfPfEEv13rocblas_fill_17rocblas_diagonal_T1_iil.has_recursion, 0
	.set _ZN9rocsolver6v33100L18trti2_kernel_smallILi1EfPfEEv13rocblas_fill_17rocblas_diagonal_T1_iil.has_indirect_call, 0
	.section	.AMDGPU.csdata,"",@progbits
; Kernel info:
; codeLenInByte = 224
; TotalNumSgprs: 15
; NumVgprs: 5
; ScratchSize: 0
; MemoryBound: 0
; FloatMode: 240
; IeeeMode: 1
; LDSByteSize: 0 bytes/workgroup (compile time only)
; SGPRBlocks: 1
; VGPRBlocks: 1
; NumSGPRsForWavesPerEU: 15
; NumVGPRsForWavesPerEU: 5
; Occupancy: 10
; WaveLimiterHint : 0
; COMPUTE_PGM_RSRC2:SCRATCH_EN: 0
; COMPUTE_PGM_RSRC2:USER_SGPR: 6
; COMPUTE_PGM_RSRC2:TRAP_HANDLER: 0
; COMPUTE_PGM_RSRC2:TGID_X_EN: 1
; COMPUTE_PGM_RSRC2:TGID_Y_EN: 0
; COMPUTE_PGM_RSRC2:TGID_Z_EN: 0
; COMPUTE_PGM_RSRC2:TIDIG_COMP_CNT: 0
	.section	.text._ZN9rocsolver6v33100L18trti2_kernel_smallILi2EfPfEEv13rocblas_fill_17rocblas_diagonal_T1_iil,"axG",@progbits,_ZN9rocsolver6v33100L18trti2_kernel_smallILi2EfPfEEv13rocblas_fill_17rocblas_diagonal_T1_iil,comdat
	.globl	_ZN9rocsolver6v33100L18trti2_kernel_smallILi2EfPfEEv13rocblas_fill_17rocblas_diagonal_T1_iil ; -- Begin function _ZN9rocsolver6v33100L18trti2_kernel_smallILi2EfPfEEv13rocblas_fill_17rocblas_diagonal_T1_iil
	.p2align	8
	.type	_ZN9rocsolver6v33100L18trti2_kernel_smallILi2EfPfEEv13rocblas_fill_17rocblas_diagonal_T1_iil,@function
_ZN9rocsolver6v33100L18trti2_kernel_smallILi2EfPfEEv13rocblas_fill_17rocblas_diagonal_T1_iil: ; @_ZN9rocsolver6v33100L18trti2_kernel_smallILi2EfPfEEv13rocblas_fill_17rocblas_diagonal_T1_iil
; %bb.0:
	v_cmp_gt_u32_e32 vcc, 2, v0
	s_and_saveexec_b64 s[0:1], vcc
	s_cbranch_execz .LBB1_20
; %bb.1:
	s_load_dwordx8 s[8:15], s[4:5], 0x0
	s_ashr_i32 s2, s6, 31
	v_lshlrev_b32_e32 v7, 2, v0
	v_mov_b32_e32 v8, -1.0
	s_waitcnt lgkmcnt(0)
	s_mul_hi_u32 s3, s14, s6
	s_mul_i32 s2, s14, s2
	s_add_i32 s2, s3, s2
	s_mul_i32 s3, s15, s6
	s_add_i32 s3, s2, s3
	s_mul_i32 s2, s14, s6
	s_ashr_i32 s1, s12, 31
	s_lshl_b64 s[2:3], s[2:3], 2
	s_mov_b32 s0, s12
	s_add_u32 s2, s10, s2
	s_addc_u32 s3, s11, s3
	s_lshl_b64 s[0:1], s[0:1], 2
	s_add_u32 s0, s2, s0
	s_addc_u32 s1, s3, s1
	v_mov_b32_e32 v2, s1
	v_add_co_u32_e32 v1, vcc, s0, v7
	s_ashr_i32 s3, s13, 31
	s_mov_b32 s2, s13
	v_addc_co_u32_e32 v2, vcc, 0, v2, vcc
	s_lshl_b64 s[2:3], s[2:3], 2
	v_mov_b32_e32 v4, s3
	v_add_co_u32_e32 v3, vcc, s2, v1
	v_addc_co_u32_e32 v4, vcc, v2, v4, vcc
	global_load_dword v5, v7, s[0:1]
	global_load_dword v6, v[3:4], off
	s_cmpk_lg_i32 s9, 0x84
	s_cselect_b64 s[4:5], -1, 0
	s_cmpk_eq_i32 s9, 0x84
	v_cmp_eq_u32_e64 s[0:1], 0, v0
	s_cbranch_scc1 .LBB1_3
; %bb.2:
	v_cmp_eq_u32_e64 s[2:3], 1, v0
	s_waitcnt vmcnt(0)
	v_cndmask_b32_e64 v8, v5, v6, s[2:3]
	v_div_scale_f32 v9, s[6:7], v8, v8, 1.0
	v_div_scale_f32 v10, vcc, 1.0, v8, 1.0
	v_rcp_f32_e32 v11, v9
	v_fma_f32 v12, -v9, v11, 1.0
	v_fmac_f32_e32 v11, v12, v11
	v_mul_f32_e32 v12, v10, v11
	v_fma_f32 v13, -v9, v12, v10
	v_fmac_f32_e32 v12, v13, v11
	v_fma_f32 v9, -v9, v12, v10
	v_div_fmas_f32 v9, v9, v11, v12
	v_div_fixup_f32 v8, v9, v8, 1.0
	v_cndmask_b32_e64 v6, v6, v8, s[2:3]
	v_cndmask_b32_e64 v5, v5, v8, s[0:1]
	v_xor_b32_e32 v8, 0x80000000, v8
.LBB1_3:
	s_cmpk_eq_i32 s8, 0x79
	v_add_u32_e32 v9, 8, v7
	ds_write_b32 v7, v8
	s_cbranch_scc1 .LBB1_7
; %bb.4:
	s_waitcnt vmcnt(0)
	v_mov_b32_e32 v8, v6
	v_cmp_eq_u32_e32 vcc, 1, v0
	v_mov_b32_e32 v7, v5
	ds_write_b32 v9, v5
	s_waitcnt lgkmcnt(0)
	; wave barrier
	s_and_saveexec_b64 s[0:1], vcc
	s_cbranch_execz .LBB1_11
; %bb.5:
	s_and_b64 vcc, exec, s[4:5]
	s_cbranch_vccz .LBB1_8
; %bb.6:
	ds_read_b32 v7, v9
	v_cmp_eq_u32_e32 vcc, 1, v0
	v_cndmask_b32_e32 v8, v5, v6, vcc
	s_waitcnt lgkmcnt(0)
	v_mul_f32_e32 v7, v8, v7
	s_cbranch_execz .LBB1_9
	s_branch .LBB1_10
.LBB1_7:
                                        ; implicit-def: $vgpr7_vgpr8
	s_branch .LBB1_12
.LBB1_8:
                                        ; implicit-def: $vgpr7
.LBB1_9:
	ds_read_b32 v7, v9
.LBB1_10:
	v_mov_b32_e32 v8, 0
	ds_read_b32 v8, v8
	s_waitcnt lgkmcnt(0)
	v_mul_f32_e32 v7, v7, v8
	v_mov_b32_e32 v8, v6
.LBB1_11:
	s_or_b64 exec, exec, s[0:1]
	s_cbranch_execnz .LBB1_19
.LBB1_12:
	v_cmp_eq_u32_e32 vcc, 0, v0
	s_waitcnt vmcnt(0)
	ds_write_b32 v9, v6
	s_waitcnt lgkmcnt(0)
	; wave barrier
	s_and_saveexec_b64 s[0:1], vcc
	s_cbranch_execz .LBB1_18
; %bb.13:
	s_and_b64 vcc, exec, s[4:5]
	s_cbranch_vccz .LBB1_15
; %bb.14:
	ds_read_b32 v7, v9
	v_cmp_eq_u32_e32 vcc, 1, v0
	v_cndmask_b32_e32 v0, v5, v6, vcc
	s_waitcnt lgkmcnt(0)
	v_mul_f32_e32 v0, v0, v7
	s_cbranch_execz .LBB1_16
	s_branch .LBB1_17
.LBB1_15:
                                        ; implicit-def: $vgpr0
.LBB1_16:
	ds_read_b32 v0, v9
.LBB1_17:
	v_mov_b32_e32 v6, 0
	ds_read_b32 v6, v6 offset:4
	s_waitcnt lgkmcnt(0)
	v_mul_f32_e32 v6, v0, v6
.LBB1_18:
	s_or_b64 exec, exec, s[0:1]
	v_mov_b32_e32 v8, v6
	v_mov_b32_e32 v7, v5
.LBB1_19:
	global_store_dword v[1:2], v7, off
	global_store_dword v[3:4], v8, off
.LBB1_20:
	s_endpgm
	.section	.rodata,"a",@progbits
	.p2align	6, 0x0
	.amdhsa_kernel _ZN9rocsolver6v33100L18trti2_kernel_smallILi2EfPfEEv13rocblas_fill_17rocblas_diagonal_T1_iil
		.amdhsa_group_segment_fixed_size 16
		.amdhsa_private_segment_fixed_size 0
		.amdhsa_kernarg_size 32
		.amdhsa_user_sgpr_count 6
		.amdhsa_user_sgpr_private_segment_buffer 1
		.amdhsa_user_sgpr_dispatch_ptr 0
		.amdhsa_user_sgpr_queue_ptr 0
		.amdhsa_user_sgpr_kernarg_segment_ptr 1
		.amdhsa_user_sgpr_dispatch_id 0
		.amdhsa_user_sgpr_flat_scratch_init 0
		.amdhsa_user_sgpr_private_segment_size 0
		.amdhsa_uses_dynamic_stack 0
		.amdhsa_system_sgpr_private_segment_wavefront_offset 0
		.amdhsa_system_sgpr_workgroup_id_x 1
		.amdhsa_system_sgpr_workgroup_id_y 0
		.amdhsa_system_sgpr_workgroup_id_z 0
		.amdhsa_system_sgpr_workgroup_info 0
		.amdhsa_system_vgpr_workitem_id 0
		.amdhsa_next_free_vgpr 14
		.amdhsa_next_free_sgpr 16
		.amdhsa_reserve_vcc 1
		.amdhsa_reserve_flat_scratch 0
		.amdhsa_float_round_mode_32 0
		.amdhsa_float_round_mode_16_64 0
		.amdhsa_float_denorm_mode_32 3
		.amdhsa_float_denorm_mode_16_64 3
		.amdhsa_dx10_clamp 1
		.amdhsa_ieee_mode 1
		.amdhsa_fp16_overflow 0
		.amdhsa_exception_fp_ieee_invalid_op 0
		.amdhsa_exception_fp_denorm_src 0
		.amdhsa_exception_fp_ieee_div_zero 0
		.amdhsa_exception_fp_ieee_overflow 0
		.amdhsa_exception_fp_ieee_underflow 0
		.amdhsa_exception_fp_ieee_inexact 0
		.amdhsa_exception_int_div_zero 0
	.end_amdhsa_kernel
	.section	.text._ZN9rocsolver6v33100L18trti2_kernel_smallILi2EfPfEEv13rocblas_fill_17rocblas_diagonal_T1_iil,"axG",@progbits,_ZN9rocsolver6v33100L18trti2_kernel_smallILi2EfPfEEv13rocblas_fill_17rocblas_diagonal_T1_iil,comdat
.Lfunc_end1:
	.size	_ZN9rocsolver6v33100L18trti2_kernel_smallILi2EfPfEEv13rocblas_fill_17rocblas_diagonal_T1_iil, .Lfunc_end1-_ZN9rocsolver6v33100L18trti2_kernel_smallILi2EfPfEEv13rocblas_fill_17rocblas_diagonal_T1_iil
                                        ; -- End function
	.set _ZN9rocsolver6v33100L18trti2_kernel_smallILi2EfPfEEv13rocblas_fill_17rocblas_diagonal_T1_iil.num_vgpr, 14
	.set _ZN9rocsolver6v33100L18trti2_kernel_smallILi2EfPfEEv13rocblas_fill_17rocblas_diagonal_T1_iil.num_agpr, 0
	.set _ZN9rocsolver6v33100L18trti2_kernel_smallILi2EfPfEEv13rocblas_fill_17rocblas_diagonal_T1_iil.numbered_sgpr, 16
	.set _ZN9rocsolver6v33100L18trti2_kernel_smallILi2EfPfEEv13rocblas_fill_17rocblas_diagonal_T1_iil.num_named_barrier, 0
	.set _ZN9rocsolver6v33100L18trti2_kernel_smallILi2EfPfEEv13rocblas_fill_17rocblas_diagonal_T1_iil.private_seg_size, 0
	.set _ZN9rocsolver6v33100L18trti2_kernel_smallILi2EfPfEEv13rocblas_fill_17rocblas_diagonal_T1_iil.uses_vcc, 1
	.set _ZN9rocsolver6v33100L18trti2_kernel_smallILi2EfPfEEv13rocblas_fill_17rocblas_diagonal_T1_iil.uses_flat_scratch, 0
	.set _ZN9rocsolver6v33100L18trti2_kernel_smallILi2EfPfEEv13rocblas_fill_17rocblas_diagonal_T1_iil.has_dyn_sized_stack, 0
	.set _ZN9rocsolver6v33100L18trti2_kernel_smallILi2EfPfEEv13rocblas_fill_17rocblas_diagonal_T1_iil.has_recursion, 0
	.set _ZN9rocsolver6v33100L18trti2_kernel_smallILi2EfPfEEv13rocblas_fill_17rocblas_diagonal_T1_iil.has_indirect_call, 0
	.section	.AMDGPU.csdata,"",@progbits
; Kernel info:
; codeLenInByte = 552
; TotalNumSgprs: 20
; NumVgprs: 14
; ScratchSize: 0
; MemoryBound: 0
; FloatMode: 240
; IeeeMode: 1
; LDSByteSize: 16 bytes/workgroup (compile time only)
; SGPRBlocks: 2
; VGPRBlocks: 3
; NumSGPRsForWavesPerEU: 20
; NumVGPRsForWavesPerEU: 14
; Occupancy: 10
; WaveLimiterHint : 0
; COMPUTE_PGM_RSRC2:SCRATCH_EN: 0
; COMPUTE_PGM_RSRC2:USER_SGPR: 6
; COMPUTE_PGM_RSRC2:TRAP_HANDLER: 0
; COMPUTE_PGM_RSRC2:TGID_X_EN: 1
; COMPUTE_PGM_RSRC2:TGID_Y_EN: 0
; COMPUTE_PGM_RSRC2:TGID_Z_EN: 0
; COMPUTE_PGM_RSRC2:TIDIG_COMP_CNT: 0
	.section	.text._ZN9rocsolver6v33100L18trti2_kernel_smallILi3EfPfEEv13rocblas_fill_17rocblas_diagonal_T1_iil,"axG",@progbits,_ZN9rocsolver6v33100L18trti2_kernel_smallILi3EfPfEEv13rocblas_fill_17rocblas_diagonal_T1_iil,comdat
	.globl	_ZN9rocsolver6v33100L18trti2_kernel_smallILi3EfPfEEv13rocblas_fill_17rocblas_diagonal_T1_iil ; -- Begin function _ZN9rocsolver6v33100L18trti2_kernel_smallILi3EfPfEEv13rocblas_fill_17rocblas_diagonal_T1_iil
	.p2align	8
	.type	_ZN9rocsolver6v33100L18trti2_kernel_smallILi3EfPfEEv13rocblas_fill_17rocblas_diagonal_T1_iil,@function
_ZN9rocsolver6v33100L18trti2_kernel_smallILi3EfPfEEv13rocblas_fill_17rocblas_diagonal_T1_iil: ; @_ZN9rocsolver6v33100L18trti2_kernel_smallILi3EfPfEEv13rocblas_fill_17rocblas_diagonal_T1_iil
; %bb.0:
	v_cmp_gt_u32_e32 vcc, 3, v0
	s_and_saveexec_b64 s[0:1], vcc
	s_cbranch_execz .LBB2_32
; %bb.1:
	s_load_dwordx8 s[8:15], s[4:5], 0x0
	s_ashr_i32 s2, s6, 31
	v_lshlrev_b32_e32 v4, 2, v0
	v_mov_b32_e32 v5, -1.0
	s_waitcnt lgkmcnt(0)
	s_mul_hi_u32 s3, s14, s6
	s_mul_i32 s2, s14, s2
	s_add_i32 s2, s3, s2
	s_mul_i32 s3, s15, s6
	s_add_i32 s3, s2, s3
	s_mul_i32 s2, s14, s6
	s_ashr_i32 s1, s12, 31
	s_lshl_b64 s[2:3], s[2:3], 2
	s_mov_b32 s0, s12
	s_add_u32 s2, s10, s2
	s_addc_u32 s3, s11, s3
	s_lshl_b64 s[0:1], s[0:1], 2
	s_add_u32 s0, s2, s0
	s_addc_u32 s1, s3, s1
	v_mov_b32_e32 v1, s1
	v_add_co_u32_e32 v7, vcc, s0, v4
	s_ashr_i32 s3, s13, 31
	s_mov_b32 s2, s13
	v_addc_co_u32_e32 v8, vcc, 0, v1, vcc
	s_lshl_b64 s[2:3], s[2:3], 2
	v_mov_b32_e32 v1, s3
	v_add_co_u32_e32 v9, vcc, s2, v7
	s_add_i32 s2, s13, s13
	v_addc_co_u32_e32 v10, vcc, v8, v1, vcc
	v_add_u32_e32 v1, s2, v0
	v_ashrrev_i32_e32 v2, 31, v1
	v_lshlrev_b64 v[1:2], 2, v[1:2]
	v_mov_b32_e32 v3, s1
	v_add_co_u32_e32 v11, vcc, s0, v1
	v_addc_co_u32_e32 v12, vcc, v3, v2, vcc
	global_load_dword v1, v4, s[0:1]
	global_load_dword v2, v[9:10], off
	global_load_dword v3, v[11:12], off
	s_cmpk_lg_i32 s9, 0x84
	s_cselect_b64 s[6:7], -1, 0
	s_cmpk_eq_i32 s9, 0x84
	v_cmp_eq_u32_e64 s[0:1], 0, v0
	s_cbranch_scc1 .LBB2_3
; %bb.2:
	v_cmp_eq_u32_e64 s[2:3], 1, v0
	s_waitcnt vmcnt(1)
	v_cndmask_b32_e64 v5, v1, v2, s[2:3]
	v_cmp_eq_u32_e64 s[4:5], 2, v0
	s_waitcnt vmcnt(0)
	v_cndmask_b32_e64 v5, v5, v3, s[4:5]
	v_div_scale_f32 v6, s[10:11], v5, v5, 1.0
	v_div_scale_f32 v13, vcc, 1.0, v5, 1.0
	v_rcp_f32_e32 v14, v6
	v_fma_f32 v15, -v6, v14, 1.0
	v_fmac_f32_e32 v14, v15, v14
	v_mul_f32_e32 v15, v13, v14
	v_fma_f32 v16, -v6, v15, v13
	v_fmac_f32_e32 v15, v16, v14
	v_fma_f32 v6, -v6, v15, v13
	v_div_fmas_f32 v6, v6, v14, v15
	v_div_fixup_f32 v5, v6, v5, 1.0
	v_cndmask_b32_e64 v3, v3, v5, s[4:5]
	v_cndmask_b32_e64 v2, v2, v5, s[2:3]
	;; [unrolled: 1-line block ×3, first 2 shown]
	v_xor_b32_e32 v5, 0x80000000, v5
.LBB2_3:
	s_cmpk_eq_i32 s8, 0x79
	v_add_u32_e32 v13, 16, v4
	s_waitcnt vmcnt(1)
	ds_write2_b32 v4, v5, v2 offset1:4
	s_waitcnt lgkmcnt(0)
	s_cbranch_scc1 .LBB2_7
; %bb.4:
	s_waitcnt vmcnt(0)
	v_mov_b32_e32 v6, v3
	v_cmp_eq_u32_e64 s[0:1], 2, v0
	v_mov_b32_e32 v5, v2
	v_mov_b32_e32 v4, v1
	; wave barrier
	s_and_saveexec_b64 s[2:3], s[0:1]
	s_cbranch_execz .LBB2_11
; %bb.5:
	s_and_b64 vcc, exec, s[6:7]
	s_cbranch_vccz .LBB2_8
; %bb.6:
	ds_read_b32 v4, v13
	v_cmp_eq_u32_e32 vcc, 1, v0
	v_cndmask_b32_e32 v5, v1, v2, vcc
	v_cmp_eq_u32_e32 vcc, 2, v0
	v_cndmask_b32_e32 v5, v5, v3, vcc
	s_waitcnt lgkmcnt(0)
	v_mul_f32_e32 v4, v5, v4
	s_cbranch_execz .LBB2_9
	s_branch .LBB2_10
.LBB2_7:
                                        ; implicit-def: $vgpr4_vgpr5_vgpr6
	s_cbranch_execnz .LBB2_18
	s_branch .LBB2_31
.LBB2_8:
                                        ; implicit-def: $vgpr4
.LBB2_9:
	ds_read_b32 v4, v13
.LBB2_10:
	v_mov_b32_e32 v5, 0
	ds_read_b32 v5, v5 offset:4
	s_waitcnt lgkmcnt(0)
	v_mul_f32_e32 v14, v4, v5
	v_mov_b32_e32 v6, v3
	v_mov_b32_e32 v5, v2
	;; [unrolled: 1-line block ×4, first 2 shown]
.LBB2_11:
	s_or_b64 exec, exec, s[2:3]
	v_cmp_ne_u32_e32 vcc, 0, v0
	ds_write_b32 v13, v4
	s_waitcnt lgkmcnt(0)
	; wave barrier
	s_and_saveexec_b64 s[2:3], vcc
	s_cbranch_execz .LBB2_17
; %bb.12:
	s_andn2_b64 vcc, exec, s[6:7]
	s_cbranch_vccnz .LBB2_14
; %bb.13:
	ds_read_b32 v14, v13
	v_cmp_eq_u32_e32 vcc, 1, v0
	v_cndmask_b32_e32 v4, v4, v5, vcc
	v_cmp_eq_u32_e32 vcc, 2, v0
	v_cndmask_b32_e32 v4, v4, v6, vcc
	s_waitcnt lgkmcnt(0)
	v_mul_f32_e32 v4, v4, v14
	s_cbranch_execz .LBB2_15
	s_branch .LBB2_16
.LBB2_14:
                                        ; implicit-def: $vgpr4
.LBB2_15:
	ds_read_b32 v4, v13
.LBB2_16:
	v_mov_b32_e32 v14, 0
	ds_read2_b32 v[14:15], v14 offset1:5
	s_waitcnt lgkmcnt(0)
	v_fma_f32 v15, v5, v15, v4
	v_cndmask_b32_e64 v4, v4, v15, s[0:1]
	v_mul_f32_e32 v4, v4, v14
.LBB2_17:
	s_or_b64 exec, exec, s[2:3]
	s_branch .LBB2_31
.LBB2_18:
	v_cmp_eq_u32_e64 s[0:1], 0, v0
	; wave barrier
	s_and_saveexec_b64 s[2:3], s[0:1]
	s_cbranch_execz .LBB2_24
; %bb.19:
	s_and_b64 vcc, exec, s[6:7]
	s_cbranch_vccz .LBB2_21
; %bb.20:
	ds_read_b32 v4, v13
	v_cmp_eq_u32_e32 vcc, 1, v0
	v_cndmask_b32_e32 v2, v1, v2, vcc
	v_cmp_eq_u32_e32 vcc, 2, v0
	s_waitcnt vmcnt(0)
	v_cndmask_b32_e32 v2, v2, v3, vcc
	s_waitcnt lgkmcnt(0)
	v_mul_f32_e32 v2, v2, v4
	s_cbranch_execz .LBB2_22
	s_branch .LBB2_23
.LBB2_21:
                                        ; implicit-def: $vgpr2
.LBB2_22:
	ds_read_b32 v2, v13
.LBB2_23:
	v_mov_b32_e32 v4, 0
	ds_read_b32 v4, v4 offset:4
	s_waitcnt lgkmcnt(0)
	v_mul_f32_e32 v2, v2, v4
.LBB2_24:
	s_or_b64 exec, exec, s[2:3]
	v_cmp_ne_u32_e32 vcc, 2, v0
	s_waitcnt vmcnt(0)
	ds_write_b32 v13, v3
	s_waitcnt lgkmcnt(0)
	; wave barrier
	s_and_saveexec_b64 s[2:3], vcc
	s_cbranch_execz .LBB2_30
; %bb.25:
	s_andn2_b64 vcc, exec, s[6:7]
	s_cbranch_vccnz .LBB2_27
; %bb.26:
	ds_read_b32 v4, v13
	v_cmp_eq_u32_e32 vcc, 1, v0
	v_cndmask_b32_e32 v5, v1, v2, vcc
	v_cmp_eq_u32_e32 vcc, 2, v0
	v_cndmask_b32_e32 v0, v5, v3, vcc
	s_waitcnt lgkmcnt(0)
	v_mul_f32_e32 v0, v0, v4
	s_cbranch_execz .LBB2_28
	s_branch .LBB2_29
.LBB2_27:
                                        ; implicit-def: $vgpr0
.LBB2_28:
	ds_read_b32 v0, v13
.LBB2_29:
	v_mov_b32_e32 v3, 0
	ds_read2_b32 v[3:4], v3 offset0:2 offset1:5
	s_waitcnt lgkmcnt(0)
	v_fma_f32 v4, v2, v4, v0
	v_cndmask_b32_e64 v0, v0, v4, s[0:1]
	v_mul_f32_e32 v3, v0, v3
.LBB2_30:
	s_or_b64 exec, exec, s[2:3]
	v_mov_b32_e32 v6, v3
	v_mov_b32_e32 v5, v2
	;; [unrolled: 1-line block ×3, first 2 shown]
.LBB2_31:
	global_store_dword v[7:8], v4, off
	global_store_dword v[9:10], v5, off
	;; [unrolled: 1-line block ×3, first 2 shown]
.LBB2_32:
	s_endpgm
	.section	.rodata,"a",@progbits
	.p2align	6, 0x0
	.amdhsa_kernel _ZN9rocsolver6v33100L18trti2_kernel_smallILi3EfPfEEv13rocblas_fill_17rocblas_diagonal_T1_iil
		.amdhsa_group_segment_fixed_size 28
		.amdhsa_private_segment_fixed_size 0
		.amdhsa_kernarg_size 32
		.amdhsa_user_sgpr_count 6
		.amdhsa_user_sgpr_private_segment_buffer 1
		.amdhsa_user_sgpr_dispatch_ptr 0
		.amdhsa_user_sgpr_queue_ptr 0
		.amdhsa_user_sgpr_kernarg_segment_ptr 1
		.amdhsa_user_sgpr_dispatch_id 0
		.amdhsa_user_sgpr_flat_scratch_init 0
		.amdhsa_user_sgpr_private_segment_size 0
		.amdhsa_uses_dynamic_stack 0
		.amdhsa_system_sgpr_private_segment_wavefront_offset 0
		.amdhsa_system_sgpr_workgroup_id_x 1
		.amdhsa_system_sgpr_workgroup_id_y 0
		.amdhsa_system_sgpr_workgroup_id_z 0
		.amdhsa_system_sgpr_workgroup_info 0
		.amdhsa_system_vgpr_workitem_id 0
		.amdhsa_next_free_vgpr 17
		.amdhsa_next_free_sgpr 16
		.amdhsa_reserve_vcc 1
		.amdhsa_reserve_flat_scratch 0
		.amdhsa_float_round_mode_32 0
		.amdhsa_float_round_mode_16_64 0
		.amdhsa_float_denorm_mode_32 3
		.amdhsa_float_denorm_mode_16_64 3
		.amdhsa_dx10_clamp 1
		.amdhsa_ieee_mode 1
		.amdhsa_fp16_overflow 0
		.amdhsa_exception_fp_ieee_invalid_op 0
		.amdhsa_exception_fp_denorm_src 0
		.amdhsa_exception_fp_ieee_div_zero 0
		.amdhsa_exception_fp_ieee_overflow 0
		.amdhsa_exception_fp_ieee_underflow 0
		.amdhsa_exception_fp_ieee_inexact 0
		.amdhsa_exception_int_div_zero 0
	.end_amdhsa_kernel
	.section	.text._ZN9rocsolver6v33100L18trti2_kernel_smallILi3EfPfEEv13rocblas_fill_17rocblas_diagonal_T1_iil,"axG",@progbits,_ZN9rocsolver6v33100L18trti2_kernel_smallILi3EfPfEEv13rocblas_fill_17rocblas_diagonal_T1_iil,comdat
.Lfunc_end2:
	.size	_ZN9rocsolver6v33100L18trti2_kernel_smallILi3EfPfEEv13rocblas_fill_17rocblas_diagonal_T1_iil, .Lfunc_end2-_ZN9rocsolver6v33100L18trti2_kernel_smallILi3EfPfEEv13rocblas_fill_17rocblas_diagonal_T1_iil
                                        ; -- End function
	.set _ZN9rocsolver6v33100L18trti2_kernel_smallILi3EfPfEEv13rocblas_fill_17rocblas_diagonal_T1_iil.num_vgpr, 17
	.set _ZN9rocsolver6v33100L18trti2_kernel_smallILi3EfPfEEv13rocblas_fill_17rocblas_diagonal_T1_iil.num_agpr, 0
	.set _ZN9rocsolver6v33100L18trti2_kernel_smallILi3EfPfEEv13rocblas_fill_17rocblas_diagonal_T1_iil.numbered_sgpr, 16
	.set _ZN9rocsolver6v33100L18trti2_kernel_smallILi3EfPfEEv13rocblas_fill_17rocblas_diagonal_T1_iil.num_named_barrier, 0
	.set _ZN9rocsolver6v33100L18trti2_kernel_smallILi3EfPfEEv13rocblas_fill_17rocblas_diagonal_T1_iil.private_seg_size, 0
	.set _ZN9rocsolver6v33100L18trti2_kernel_smallILi3EfPfEEv13rocblas_fill_17rocblas_diagonal_T1_iil.uses_vcc, 1
	.set _ZN9rocsolver6v33100L18trti2_kernel_smallILi3EfPfEEv13rocblas_fill_17rocblas_diagonal_T1_iil.uses_flat_scratch, 0
	.set _ZN9rocsolver6v33100L18trti2_kernel_smallILi3EfPfEEv13rocblas_fill_17rocblas_diagonal_T1_iil.has_dyn_sized_stack, 0
	.set _ZN9rocsolver6v33100L18trti2_kernel_smallILi3EfPfEEv13rocblas_fill_17rocblas_diagonal_T1_iil.has_recursion, 0
	.set _ZN9rocsolver6v33100L18trti2_kernel_smallILi3EfPfEEv13rocblas_fill_17rocblas_diagonal_T1_iil.has_indirect_call, 0
	.section	.AMDGPU.csdata,"",@progbits
; Kernel info:
; codeLenInByte = 904
; TotalNumSgprs: 20
; NumVgprs: 17
; ScratchSize: 0
; MemoryBound: 0
; FloatMode: 240
; IeeeMode: 1
; LDSByteSize: 28 bytes/workgroup (compile time only)
; SGPRBlocks: 2
; VGPRBlocks: 4
; NumSGPRsForWavesPerEU: 20
; NumVGPRsForWavesPerEU: 17
; Occupancy: 10
; WaveLimiterHint : 0
; COMPUTE_PGM_RSRC2:SCRATCH_EN: 0
; COMPUTE_PGM_RSRC2:USER_SGPR: 6
; COMPUTE_PGM_RSRC2:TRAP_HANDLER: 0
; COMPUTE_PGM_RSRC2:TGID_X_EN: 1
; COMPUTE_PGM_RSRC2:TGID_Y_EN: 0
; COMPUTE_PGM_RSRC2:TGID_Z_EN: 0
; COMPUTE_PGM_RSRC2:TIDIG_COMP_CNT: 0
	.section	.text._ZN9rocsolver6v33100L18trti2_kernel_smallILi4EfPfEEv13rocblas_fill_17rocblas_diagonal_T1_iil,"axG",@progbits,_ZN9rocsolver6v33100L18trti2_kernel_smallILi4EfPfEEv13rocblas_fill_17rocblas_diagonal_T1_iil,comdat
	.globl	_ZN9rocsolver6v33100L18trti2_kernel_smallILi4EfPfEEv13rocblas_fill_17rocblas_diagonal_T1_iil ; -- Begin function _ZN9rocsolver6v33100L18trti2_kernel_smallILi4EfPfEEv13rocblas_fill_17rocblas_diagonal_T1_iil
	.p2align	8
	.type	_ZN9rocsolver6v33100L18trti2_kernel_smallILi4EfPfEEv13rocblas_fill_17rocblas_diagonal_T1_iil,@function
_ZN9rocsolver6v33100L18trti2_kernel_smallILi4EfPfEEv13rocblas_fill_17rocblas_diagonal_T1_iil: ; @_ZN9rocsolver6v33100L18trti2_kernel_smallILi4EfPfEEv13rocblas_fill_17rocblas_diagonal_T1_iil
; %bb.0:
	v_cmp_gt_u32_e32 vcc, 4, v0
	s_and_saveexec_b64 s[0:1], vcc
	s_cbranch_execz .LBB3_56
; %bb.1:
	s_load_dwordx8 s[8:15], s[4:5], 0x0
	s_ashr_i32 s2, s6, 31
	v_lshlrev_b32_e32 v5, 2, v0
	v_mov_b32_e32 v6, -1.0
	s_waitcnt lgkmcnt(0)
	s_mul_hi_u32 s3, s14, s6
	s_mul_i32 s2, s14, s2
	s_add_i32 s2, s3, s2
	s_mul_i32 s3, s15, s6
	s_add_i32 s3, s2, s3
	s_mul_i32 s2, s14, s6
	s_ashr_i32 s1, s12, 31
	s_lshl_b64 s[2:3], s[2:3], 2
	s_mov_b32 s0, s12
	s_add_u32 s2, s10, s2
	s_addc_u32 s3, s11, s3
	s_lshl_b64 s[0:1], s[0:1], 2
	s_add_u32 s0, s2, s0
	s_addc_u32 s1, s3, s1
	v_mov_b32_e32 v1, s1
	v_add_co_u32_e32 v9, vcc, s0, v5
	s_ashr_i32 s3, s13, 31
	s_mov_b32 s2, s13
	v_addc_co_u32_e32 v10, vcc, 0, v1, vcc
	s_lshl_b64 s[2:3], s[2:3], 2
	v_mov_b32_e32 v1, s3
	v_add_co_u32_e32 v11, vcc, s2, v9
	s_add_i32 s2, s13, s13
	v_addc_co_u32_e32 v12, vcc, v10, v1, vcc
	v_add_u32_e32 v1, s2, v0
	v_ashrrev_i32_e32 v2, 31, v1
	v_lshlrev_b64 v[2:3], 2, v[1:2]
	v_add_u32_e32 v1, s13, v1
	v_add_co_u32_e32 v13, vcc, s0, v2
	v_ashrrev_i32_e32 v2, 31, v1
	v_mov_b32_e32 v4, s1
	v_lshlrev_b64 v[1:2], 2, v[1:2]
	v_addc_co_u32_e32 v14, vcc, v4, v3, vcc
	v_mov_b32_e32 v3, s1
	v_add_co_u32_e32 v15, vcc, s0, v1
	v_addc_co_u32_e32 v16, vcc, v3, v2, vcc
	global_load_dword v1, v5, s[0:1]
	global_load_dword v2, v[11:12], off
	global_load_dword v3, v[13:14], off
	;; [unrolled: 1-line block ×3, first 2 shown]
	s_cmpk_lg_i32 s9, 0x84
	s_cselect_b64 s[10:11], -1, 0
	s_cmpk_eq_i32 s9, 0x84
	v_cmp_eq_u32_e64 s[0:1], 0, v0
	s_cbranch_scc1 .LBB3_3
; %bb.2:
	v_cmp_eq_u32_e64 s[2:3], 1, v0
	s_waitcnt vmcnt(2)
	v_cndmask_b32_e64 v6, v1, v2, s[2:3]
	v_cmp_eq_u32_e64 s[4:5], 2, v0
	s_waitcnt vmcnt(1)
	v_cndmask_b32_e64 v6, v6, v3, s[4:5]
	;; [unrolled: 3-line block ×3, first 2 shown]
	v_div_scale_f32 v7, s[12:13], v6, v6, 1.0
	v_div_scale_f32 v8, vcc, 1.0, v6, 1.0
	v_rcp_f32_e32 v17, v7
	v_fma_f32 v18, -v7, v17, 1.0
	v_fmac_f32_e32 v17, v18, v17
	v_mul_f32_e32 v18, v8, v17
	v_fma_f32 v19, -v7, v18, v8
	v_fmac_f32_e32 v18, v19, v17
	v_fma_f32 v7, -v7, v18, v8
	v_div_fmas_f32 v7, v7, v17, v18
	v_div_fixup_f32 v6, v7, v6, 1.0
	v_cndmask_b32_e64 v4, v4, v6, s[6:7]
	v_cndmask_b32_e64 v3, v3, v6, s[4:5]
	;; [unrolled: 1-line block ×4, first 2 shown]
	v_xor_b32_e32 v6, 0x80000000, v6
.LBB3_3:
	s_cmpk_eq_i32 s8, 0x79
	v_add_u32_e32 v17, 16, v5
	ds_write_b32 v5, v6
	s_cbranch_scc1 .LBB3_7
; %bb.4:
	s_waitcnt vmcnt(0)
	v_mov_b32_e32 v8, v4
	v_cmp_eq_u32_e64 s[2:3], 3, v0
	v_mov_b32_e32 v7, v3
	v_mov_b32_e32 v6, v2
	;; [unrolled: 1-line block ×3, first 2 shown]
	ds_write_b32 v17, v3
	s_waitcnt lgkmcnt(0)
	; wave barrier
	s_and_saveexec_b64 s[0:1], s[2:3]
	s_cbranch_execz .LBB3_11
; %bb.5:
	s_and_b64 vcc, exec, s[10:11]
	s_cbranch_vccz .LBB3_8
; %bb.6:
	ds_read_b32 v6, v17
	v_cmp_eq_u32_e32 vcc, 1, v0
	v_cndmask_b32_e32 v5, v1, v2, vcc
	v_cmp_eq_u32_e32 vcc, 2, v0
	v_cndmask_b32_e32 v5, v5, v3, vcc
	;; [unrolled: 2-line block ×3, first 2 shown]
	s_waitcnt lgkmcnt(0)
	v_mul_f32_e32 v5, v5, v6
	s_cbranch_execz .LBB3_9
	s_branch .LBB3_10
.LBB3_7:
                                        ; implicit-def: $vgpr5_vgpr6_vgpr7_vgpr8
	s_cbranch_execnz .LBB3_34
	s_branch .LBB3_55
.LBB3_8:
                                        ; implicit-def: $vgpr5
.LBB3_9:
	ds_read_b32 v5, v17
.LBB3_10:
	v_mov_b32_e32 v6, 0
	ds_read_b32 v6, v6 offset:8
	s_waitcnt lgkmcnt(0)
	v_mul_f32_e32 v18, v5, v6
	v_mov_b32_e32 v8, v4
	v_mov_b32_e32 v7, v3
	;; [unrolled: 1-line block ×5, first 2 shown]
.LBB3_11:
	s_or_b64 exec, exec, s[0:1]
	v_cmp_lt_u32_e64 s[0:1], 1, v0
	ds_write_b32 v17, v6
	s_waitcnt lgkmcnt(0)
	; wave barrier
	s_and_saveexec_b64 s[4:5], s[0:1]
	s_cbranch_execz .LBB3_17
; %bb.12:
	s_andn2_b64 vcc, exec, s[10:11]
	s_cbranch_vccnz .LBB3_14
; %bb.13:
	ds_read_b32 v18, v17
	v_cmp_eq_u32_e32 vcc, 1, v0
	v_cndmask_b32_e32 v6, v5, v6, vcc
	v_cmp_eq_u32_e32 vcc, 2, v0
	v_cndmask_b32_e32 v6, v6, v7, vcc
	;; [unrolled: 2-line block ×3, first 2 shown]
	s_waitcnt lgkmcnt(0)
	v_mul_f32_e32 v6, v6, v18
	s_cbranch_execz .LBB3_15
	s_branch .LBB3_16
.LBB3_14:
                                        ; implicit-def: $vgpr6
.LBB3_15:
	ds_read_b32 v6, v17
.LBB3_16:
	v_mov_b32_e32 v18, 0
	ds_read2_b32 v[18:19], v18 offset0:1 offset1:6
	s_waitcnt lgkmcnt(0)
	v_fma_f32 v19, v7, v19, v6
	v_cndmask_b32_e64 v6, v6, v19, s[2:3]
	v_mul_f32_e32 v6, v6, v18
.LBB3_17:
	s_or_b64 exec, exec, s[4:5]
	v_cmp_ne_u32_e32 vcc, 0, v0
	ds_write_b32 v17, v5
	s_waitcnt lgkmcnt(0)
	; wave barrier
	s_and_saveexec_b64 s[2:3], vcc
	s_cbranch_execz .LBB3_33
; %bb.18:
	s_andn2_b64 vcc, exec, s[10:11]
	s_cbranch_vccnz .LBB3_20
; %bb.19:
	ds_read_b32 v19, v17
	v_cmp_eq_u32_e32 vcc, 1, v0
	v_cndmask_b32_e32 v18, v5, v6, vcc
	v_cmp_eq_u32_e32 vcc, 2, v0
	v_cndmask_b32_e32 v18, v18, v7, vcc
	;; [unrolled: 2-line block ×3, first 2 shown]
	s_waitcnt lgkmcnt(0)
	v_mul_f32_e32 v18, v18, v19
	s_cbranch_execz .LBB3_21
	s_branch .LBB3_22
.LBB3_20:
                                        ; implicit-def: $vgpr18
.LBB3_21:
	ds_read_b32 v18, v17
.LBB3_22:
	s_and_saveexec_b64 s[4:5], s[0:1]
	s_cbranch_execz .LBB3_32
; %bb.23:
	v_add_u32_e32 v20, -2, v0
	v_add_u32_e32 v19, -1, v0
	v_cmp_lt_u32_e32 vcc, 6, v20
	v_mov_b32_e32 v21, 1
	s_and_saveexec_b64 s[0:1], vcc
	s_cbranch_execz .LBB3_27
; %bb.24:
	v_and_b32_e32 v20, -8, v19
	v_sub_u32_e32 v20, 0, v20
	s_mov_b64 s[6:7], 8
	s_mov_b32 s12, 20
	s_mov_b64 s[8:9], 0
.LBB3_25:                               ; =>This Inner Loop Header: Depth=1
	s_add_i32 s13, s6, -7
	s_cmp_eq_u32 s13, 1
	s_cselect_b64 vcc, -1, 0
	s_cmp_eq_u32 s13, 2
	v_cndmask_b32_e32 v21, v5, v6, vcc
	s_cselect_b64 vcc, -1, 0
	s_cmp_eq_u32 s13, 3
	v_cndmask_b32_e32 v21, v21, v7, vcc
	s_cselect_b64 vcc, -1, 0
	v_mov_b32_e32 v24, s12
	v_cndmask_b32_e32 v23, v21, v8, vcc
	ds_read2_b32 v[21:22], v24 offset1:1
	s_add_i32 s13, s6, -6
	s_cmp_eq_u32 s13, 1
	s_cselect_b64 vcc, -1, 0
	s_cmp_eq_u32 s13, 2
	s_waitcnt lgkmcnt(0)
	v_fmac_f32_e32 v18, v23, v21
	v_cndmask_b32_e32 v21, v5, v6, vcc
	s_cselect_b64 vcc, -1, 0
	s_cmp_eq_u32 s13, 3
	v_cndmask_b32_e32 v21, v21, v7, vcc
	s_cselect_b64 vcc, -1, 0
	s_add_i32 s13, s6, -5
	s_cmp_eq_u32 s13, 1
	v_cndmask_b32_e32 v21, v21, v8, vcc
	s_cselect_b64 vcc, -1, 0
	s_cmp_eq_u32 s13, 2
	v_fmac_f32_e32 v18, v21, v22
	v_cndmask_b32_e32 v21, v5, v6, vcc
	s_cselect_b64 vcc, -1, 0
	s_cmp_eq_u32 s13, 3
	v_cndmask_b32_e32 v21, v21, v7, vcc
	s_cselect_b64 vcc, -1, 0
	v_cndmask_b32_e32 v23, v21, v8, vcc
	ds_read2_b32 v[21:22], v24 offset0:2 offset1:3
	s_add_i32 s13, s6, -4
	s_cmp_eq_u32 s13, 1
	s_cselect_b64 vcc, -1, 0
	s_cmp_eq_u32 s13, 2
	s_waitcnt lgkmcnt(0)
	v_fmac_f32_e32 v18, v23, v21
	v_cndmask_b32_e32 v21, v5, v6, vcc
	s_cselect_b64 vcc, -1, 0
	s_cmp_eq_u32 s13, 3
	v_cndmask_b32_e32 v21, v21, v7, vcc
	s_cselect_b64 vcc, -1, 0
	s_add_i32 s13, s6, -3
	s_cmp_eq_u32 s13, 1
	v_cndmask_b32_e32 v21, v21, v8, vcc
	s_cselect_b64 vcc, -1, 0
	s_cmp_eq_u32 s13, 2
	v_fmac_f32_e32 v18, v21, v22
	v_cndmask_b32_e32 v21, v5, v6, vcc
	s_cselect_b64 vcc, -1, 0
	s_cmp_eq_u32 s13, 3
	v_cndmask_b32_e32 v21, v21, v7, vcc
	s_cselect_b64 vcc, -1, 0
	v_cndmask_b32_e32 v23, v21, v8, vcc
	ds_read2_b32 v[21:22], v24 offset0:4 offset1:5
	;; [unrolled: 24-line block ×3, first 2 shown]
	s_cmp_eq_u32 s6, 1
	s_cselect_b64 vcc, -1, 0
	s_cmp_eq_u32 s6, 2
	s_waitcnt lgkmcnt(0)
	v_fmac_f32_e32 v18, v23, v21
	v_cndmask_b32_e32 v21, v5, v6, vcc
	s_cselect_b64 vcc, -1, 0
	s_cmp_eq_u32 s6, 3
	v_cndmask_b32_e32 v21, v21, v7, vcc
	s_cselect_b64 vcc, -1, 0
	v_cndmask_b32_e32 v21, v21, v8, vcc
	s_add_u32 s6, s6, 8
	v_fmac_f32_e32 v18, v21, v22
	v_add_u32_e32 v21, s6, v20
	s_addc_u32 s7, s7, 0
	s_add_i32 s12, s12, 32
	v_cmp_eq_u32_e32 vcc, 8, v21
	s_add_i32 s13, s6, -7
	s_or_b64 s[8:9], vcc, s[8:9]
	v_mov_b32_e32 v21, s13
	s_andn2_b64 exec, exec, s[8:9]
	s_cbranch_execnz .LBB3_25
; %bb.26:
	s_or_b64 exec, exec, s[8:9]
.LBB3_27:
	s_or_b64 exec, exec, s[0:1]
	v_and_b32_e32 v19, 7, v19
	v_cmp_ne_u32_e32 vcc, 0, v19
	s_and_saveexec_b64 s[6:7], vcc
	s_cbranch_execz .LBB3_31
; %bb.28:
	v_lshl_add_u32 v20, v21, 2, 16
	v_mov_b32_e32 v22, 0
	s_mov_b64 s[8:9], 0
.LBB3_29:                               ; =>This Inner Loop Header: Depth=1
	v_cmp_eq_u32_e32 vcc, 1, v21
	ds_read_b32 v24, v20
	v_cndmask_b32_e32 v23, v5, v6, vcc
	v_cmp_eq_u32_e32 vcc, 2, v21
	v_cndmask_b32_e32 v23, v23, v7, vcc
	v_cmp_eq_u32_e32 vcc, 3, v21
	v_add_co_u32_e64 v21, s[0:1], 1, v21
	v_add_u32_e32 v19, -1, v19
	v_addc_co_u32_e64 v22, s[0:1], 0, v22, s[0:1]
	v_cmp_eq_u32_e64 s[0:1], 0, v19
	v_cndmask_b32_e32 v23, v23, v8, vcc
	v_add_u32_e32 v20, 4, v20
	s_or_b64 s[8:9], s[0:1], s[8:9]
	s_waitcnt lgkmcnt(0)
	v_fmac_f32_e32 v18, v23, v24
	s_andn2_b64 exec, exec, s[8:9]
	s_cbranch_execnz .LBB3_29
; %bb.30:
	s_or_b64 exec, exec, s[8:9]
.LBB3_31:
	s_or_b64 exec, exec, s[6:7]
.LBB3_32:
	s_or_b64 exec, exec, s[4:5]
	v_mov_b32_e32 v5, 0
	ds_read_b32 v5, v5
	s_waitcnt lgkmcnt(0)
	v_mul_f32_e32 v5, v18, v5
.LBB3_33:
	s_or_b64 exec, exec, s[2:3]
	s_branch .LBB3_55
.LBB3_34:
	v_cmp_eq_u32_e64 s[0:1], 0, v0
	s_waitcnt vmcnt(2)
	ds_write_b32 v17, v2
	s_waitcnt lgkmcnt(0)
	; wave barrier
	s_and_saveexec_b64 s[2:3], s[0:1]
	s_cbranch_execz .LBB3_40
; %bb.35:
	s_and_b64 vcc, exec, s[10:11]
	s_cbranch_vccz .LBB3_37
; %bb.36:
	ds_read_b32 v5, v17
	v_cmp_eq_u32_e32 vcc, 1, v0
	v_cndmask_b32_e32 v2, v1, v2, vcc
	v_cmp_eq_u32_e32 vcc, 2, v0
	s_waitcnt vmcnt(1)
	v_cndmask_b32_e32 v2, v2, v3, vcc
	v_cmp_eq_u32_e32 vcc, 3, v0
	s_waitcnt vmcnt(0)
	v_cndmask_b32_e32 v2, v2, v4, vcc
	s_waitcnt lgkmcnt(0)
	v_mul_f32_e32 v2, v2, v5
	s_cbranch_execz .LBB3_38
	s_branch .LBB3_39
.LBB3_37:
                                        ; implicit-def: $vgpr2
.LBB3_38:
	ds_read_b32 v2, v17
.LBB3_39:
	v_mov_b32_e32 v5, 0
	ds_read_b32 v5, v5 offset:4
	s_waitcnt lgkmcnt(0)
	v_mul_f32_e32 v2, v2, v5
.LBB3_40:
	s_or_b64 exec, exec, s[2:3]
	v_cndmask_b32_e64 v5, 0, 1, s[10:11]
	v_cmp_gt_u32_e64 s[2:3], 2, v0
	v_cmp_ne_u32_e64 s[4:5], 1, v5
	s_waitcnt vmcnt(1)
	ds_write_b32 v17, v3
	s_waitcnt lgkmcnt(0)
	; wave barrier
	s_and_saveexec_b64 s[6:7], s[2:3]
	s_cbranch_execz .LBB3_46
; %bb.41:
	s_and_b64 vcc, exec, s[4:5]
	s_cbranch_vccnz .LBB3_43
; %bb.42:
	ds_read_b32 v6, v17
	v_cmp_eq_u32_e32 vcc, 1, v0
	v_cndmask_b32_e32 v5, v1, v2, vcc
	v_cmp_eq_u32_e32 vcc, 2, v0
	v_cndmask_b32_e32 v3, v5, v3, vcc
	v_cmp_eq_u32_e32 vcc, 3, v0
	s_waitcnt vmcnt(0)
	v_cndmask_b32_e32 v3, v3, v4, vcc
	s_waitcnt lgkmcnt(0)
	v_mul_f32_e32 v3, v3, v6
	s_cbranch_execz .LBB3_44
	s_branch .LBB3_45
.LBB3_43:
                                        ; implicit-def: $vgpr3
.LBB3_44:
	ds_read_b32 v3, v17
.LBB3_45:
	v_mov_b32_e32 v5, 0
	ds_read2_b32 v[5:6], v5 offset0:2 offset1:5
	s_waitcnt lgkmcnt(0)
	v_fma_f32 v6, v2, v6, v3
	v_cndmask_b32_e64 v3, v3, v6, s[0:1]
	v_mul_f32_e32 v3, v3, v5
.LBB3_46:
	s_or_b64 exec, exec, s[6:7]
	v_cmp_ne_u32_e32 vcc, 3, v0
	s_waitcnt vmcnt(0)
	ds_write_b32 v17, v4
	s_waitcnt lgkmcnt(0)
	; wave barrier
	s_and_saveexec_b64 s[6:7], vcc
	s_cbranch_execz .LBB3_54
; %bb.47:
	s_and_b64 vcc, exec, s[4:5]
	s_cbranch_vccnz .LBB3_49
; %bb.48:
	ds_read_b32 v6, v17
	v_cmp_eq_u32_e32 vcc, 1, v0
	v_cndmask_b32_e32 v5, v1, v2, vcc
	v_cmp_eq_u32_e32 vcc, 2, v0
	v_cndmask_b32_e32 v5, v5, v3, vcc
	;; [unrolled: 2-line block ×3, first 2 shown]
	s_waitcnt lgkmcnt(0)
	v_mul_f32_e32 v5, v5, v6
	s_cbranch_execz .LBB3_50
	s_branch .LBB3_51
.LBB3_49:
                                        ; implicit-def: $vgpr5
.LBB3_50:
	ds_read_b32 v5, v17
.LBB3_51:
	s_and_saveexec_b64 s[4:5], s[2:3]
	s_cbranch_execz .LBB3_53
; %bb.52:
	v_add_u32_e32 v0, 1, v0
	v_mov_b32_e32 v7, 0
	v_cmp_eq_u32_e32 vcc, 1, v0
	ds_read_b32 v8, v17 offset:4
	ds_read_b32 v7, v7 offset:24
	v_cndmask_b32_e32 v6, v1, v2, vcc
	v_cmp_eq_u32_e32 vcc, 2, v0
	v_cndmask_b32_e32 v6, v6, v3, vcc
	v_cmp_eq_u32_e32 vcc, 3, v0
	v_cndmask_b32_e32 v0, v6, v4, vcc
	s_waitcnt lgkmcnt(1)
	v_fmac_f32_e32 v5, v0, v8
	s_waitcnt lgkmcnt(0)
	v_fma_f32 v0, v3, v7, v5
	v_cndmask_b32_e64 v5, v5, v0, s[0:1]
.LBB3_53:
	s_or_b64 exec, exec, s[4:5]
	v_mov_b32_e32 v0, 0
	ds_read_b32 v0, v0 offset:12
	s_waitcnt lgkmcnt(0)
	v_mul_f32_e32 v4, v5, v0
.LBB3_54:
	s_or_b64 exec, exec, s[6:7]
	v_mov_b32_e32 v8, v4
	v_mov_b32_e32 v7, v3
	;; [unrolled: 1-line block ×4, first 2 shown]
.LBB3_55:
	global_store_dword v[9:10], v5, off
	global_store_dword v[11:12], v6, off
	;; [unrolled: 1-line block ×4, first 2 shown]
.LBB3_56:
	s_endpgm
	.section	.rodata,"a",@progbits
	.p2align	6, 0x0
	.amdhsa_kernel _ZN9rocsolver6v33100L18trti2_kernel_smallILi4EfPfEEv13rocblas_fill_17rocblas_diagonal_T1_iil
		.amdhsa_group_segment_fixed_size 32
		.amdhsa_private_segment_fixed_size 0
		.amdhsa_kernarg_size 32
		.amdhsa_user_sgpr_count 6
		.amdhsa_user_sgpr_private_segment_buffer 1
		.amdhsa_user_sgpr_dispatch_ptr 0
		.amdhsa_user_sgpr_queue_ptr 0
		.amdhsa_user_sgpr_kernarg_segment_ptr 1
		.amdhsa_user_sgpr_dispatch_id 0
		.amdhsa_user_sgpr_flat_scratch_init 0
		.amdhsa_user_sgpr_private_segment_size 0
		.amdhsa_uses_dynamic_stack 0
		.amdhsa_system_sgpr_private_segment_wavefront_offset 0
		.amdhsa_system_sgpr_workgroup_id_x 1
		.amdhsa_system_sgpr_workgroup_id_y 0
		.amdhsa_system_sgpr_workgroup_id_z 0
		.amdhsa_system_sgpr_workgroup_info 0
		.amdhsa_system_vgpr_workitem_id 0
		.amdhsa_next_free_vgpr 25
		.amdhsa_next_free_sgpr 16
		.amdhsa_reserve_vcc 1
		.amdhsa_reserve_flat_scratch 0
		.amdhsa_float_round_mode_32 0
		.amdhsa_float_round_mode_16_64 0
		.amdhsa_float_denorm_mode_32 3
		.amdhsa_float_denorm_mode_16_64 3
		.amdhsa_dx10_clamp 1
		.amdhsa_ieee_mode 1
		.amdhsa_fp16_overflow 0
		.amdhsa_exception_fp_ieee_invalid_op 0
		.amdhsa_exception_fp_denorm_src 0
		.amdhsa_exception_fp_ieee_div_zero 0
		.amdhsa_exception_fp_ieee_overflow 0
		.amdhsa_exception_fp_ieee_underflow 0
		.amdhsa_exception_fp_ieee_inexact 0
		.amdhsa_exception_int_div_zero 0
	.end_amdhsa_kernel
	.section	.text._ZN9rocsolver6v33100L18trti2_kernel_smallILi4EfPfEEv13rocblas_fill_17rocblas_diagonal_T1_iil,"axG",@progbits,_ZN9rocsolver6v33100L18trti2_kernel_smallILi4EfPfEEv13rocblas_fill_17rocblas_diagonal_T1_iil,comdat
.Lfunc_end3:
	.size	_ZN9rocsolver6v33100L18trti2_kernel_smallILi4EfPfEEv13rocblas_fill_17rocblas_diagonal_T1_iil, .Lfunc_end3-_ZN9rocsolver6v33100L18trti2_kernel_smallILi4EfPfEEv13rocblas_fill_17rocblas_diagonal_T1_iil
                                        ; -- End function
	.set _ZN9rocsolver6v33100L18trti2_kernel_smallILi4EfPfEEv13rocblas_fill_17rocblas_diagonal_T1_iil.num_vgpr, 25
	.set _ZN9rocsolver6v33100L18trti2_kernel_smallILi4EfPfEEv13rocblas_fill_17rocblas_diagonal_T1_iil.num_agpr, 0
	.set _ZN9rocsolver6v33100L18trti2_kernel_smallILi4EfPfEEv13rocblas_fill_17rocblas_diagonal_T1_iil.numbered_sgpr, 16
	.set _ZN9rocsolver6v33100L18trti2_kernel_smallILi4EfPfEEv13rocblas_fill_17rocblas_diagonal_T1_iil.num_named_barrier, 0
	.set _ZN9rocsolver6v33100L18trti2_kernel_smallILi4EfPfEEv13rocblas_fill_17rocblas_diagonal_T1_iil.private_seg_size, 0
	.set _ZN9rocsolver6v33100L18trti2_kernel_smallILi4EfPfEEv13rocblas_fill_17rocblas_diagonal_T1_iil.uses_vcc, 1
	.set _ZN9rocsolver6v33100L18trti2_kernel_smallILi4EfPfEEv13rocblas_fill_17rocblas_diagonal_T1_iil.uses_flat_scratch, 0
	.set _ZN9rocsolver6v33100L18trti2_kernel_smallILi4EfPfEEv13rocblas_fill_17rocblas_diagonal_T1_iil.has_dyn_sized_stack, 0
	.set _ZN9rocsolver6v33100L18trti2_kernel_smallILi4EfPfEEv13rocblas_fill_17rocblas_diagonal_T1_iil.has_recursion, 0
	.set _ZN9rocsolver6v33100L18trti2_kernel_smallILi4EfPfEEv13rocblas_fill_17rocblas_diagonal_T1_iil.has_indirect_call, 0
	.section	.AMDGPU.csdata,"",@progbits
; Kernel info:
; codeLenInByte = 2016
; TotalNumSgprs: 20
; NumVgprs: 25
; ScratchSize: 0
; MemoryBound: 0
; FloatMode: 240
; IeeeMode: 1
; LDSByteSize: 32 bytes/workgroup (compile time only)
; SGPRBlocks: 2
; VGPRBlocks: 6
; NumSGPRsForWavesPerEU: 20
; NumVGPRsForWavesPerEU: 25
; Occupancy: 9
; WaveLimiterHint : 0
; COMPUTE_PGM_RSRC2:SCRATCH_EN: 0
; COMPUTE_PGM_RSRC2:USER_SGPR: 6
; COMPUTE_PGM_RSRC2:TRAP_HANDLER: 0
; COMPUTE_PGM_RSRC2:TGID_X_EN: 1
; COMPUTE_PGM_RSRC2:TGID_Y_EN: 0
; COMPUTE_PGM_RSRC2:TGID_Z_EN: 0
; COMPUTE_PGM_RSRC2:TIDIG_COMP_CNT: 0
	.section	.text._ZN9rocsolver6v33100L18trti2_kernel_smallILi5EfPfEEv13rocblas_fill_17rocblas_diagonal_T1_iil,"axG",@progbits,_ZN9rocsolver6v33100L18trti2_kernel_smallILi5EfPfEEv13rocblas_fill_17rocblas_diagonal_T1_iil,comdat
	.globl	_ZN9rocsolver6v33100L18trti2_kernel_smallILi5EfPfEEv13rocblas_fill_17rocblas_diagonal_T1_iil ; -- Begin function _ZN9rocsolver6v33100L18trti2_kernel_smallILi5EfPfEEv13rocblas_fill_17rocblas_diagonal_T1_iil
	.p2align	8
	.type	_ZN9rocsolver6v33100L18trti2_kernel_smallILi5EfPfEEv13rocblas_fill_17rocblas_diagonal_T1_iil,@function
_ZN9rocsolver6v33100L18trti2_kernel_smallILi5EfPfEEv13rocblas_fill_17rocblas_diagonal_T1_iil: ; @_ZN9rocsolver6v33100L18trti2_kernel_smallILi5EfPfEEv13rocblas_fill_17rocblas_diagonal_T1_iil
; %bb.0:
	v_cmp_gt_u32_e32 vcc, 5, v0
	s_and_saveexec_b64 s[0:1], vcc
	s_cbranch_execz .LBB4_82
; %bb.1:
	s_load_dwordx8 s[12:19], s[4:5], 0x0
	s_ashr_i32 s2, s6, 31
	v_lshlrev_b32_e32 v6, 2, v0
	v_mov_b32_e32 v21, 0
	v_mov_b32_e32 v7, -1.0
	s_waitcnt lgkmcnt(0)
	s_mul_hi_u32 s3, s18, s6
	s_mul_i32 s2, s18, s2
	s_add_i32 s2, s3, s2
	s_mul_i32 s3, s19, s6
	s_add_i32 s3, s2, s3
	s_mul_i32 s2, s18, s6
	s_ashr_i32 s1, s16, 31
	s_lshl_b64 s[2:3], s[2:3], 2
	s_mov_b32 s0, s16
	s_add_u32 s2, s14, s2
	s_addc_u32 s3, s15, s3
	s_lshl_b64 s[0:1], s[0:1], 2
	s_add_u32 s0, s2, s0
	s_addc_u32 s1, s3, s1
	v_mov_b32_e32 v1, s1
	v_add_co_u32_e32 v11, vcc, s0, v6
	s_ashr_i32 s3, s17, 31
	s_mov_b32 s2, s17
	v_addc_co_u32_e32 v12, vcc, 0, v1, vcc
	s_lshl_b64 s[2:3], s[2:3], 2
	v_mov_b32_e32 v1, s3
	v_add_co_u32_e32 v13, vcc, s2, v11
	s_add_i32 s2, s17, s17
	v_addc_co_u32_e32 v14, vcc, v12, v1, vcc
	v_add_u32_e32 v1, s2, v0
	v_ashrrev_i32_e32 v2, 31, v1
	v_lshlrev_b64 v[2:3], 2, v[1:2]
	v_add_u32_e32 v1, s17, v1
	v_mov_b32_e32 v4, s1
	v_add_co_u32_e32 v15, vcc, s0, v2
	v_ashrrev_i32_e32 v2, 31, v1
	v_addc_co_u32_e32 v16, vcc, v4, v3, vcc
	v_lshlrev_b64 v[2:3], 2, v[1:2]
	v_add_u32_e32 v1, s17, v1
	v_add_co_u32_e32 v17, vcc, s0, v2
	v_ashrrev_i32_e32 v2, 31, v1
	v_lshlrev_b64 v[1:2], 2, v[1:2]
	v_addc_co_u32_e32 v18, vcc, v4, v3, vcc
	v_mov_b32_e32 v3, s1
	v_add_co_u32_e32 v19, vcc, s0, v1
	v_addc_co_u32_e32 v20, vcc, v3, v2, vcc
	global_load_dword v1, v6, s[0:1]
	global_load_dword v2, v[13:14], off
	global_load_dword v3, v[15:16], off
	;; [unrolled: 1-line block ×4, first 2 shown]
	s_cmpk_lg_i32 s13, 0x84
	s_cselect_b64 s[10:11], -1, 0
	s_cmpk_eq_i32 s13, 0x84
	v_cmp_eq_u32_e64 s[0:1], 0, v0
	s_cbranch_scc1 .LBB4_3
; %bb.2:
	v_cmp_eq_u32_e64 s[2:3], 1, v0
	s_waitcnt vmcnt(3)
	v_cndmask_b32_e64 v7, v1, v2, s[2:3]
	v_cmp_eq_u32_e64 s[4:5], 2, v0
	s_waitcnt vmcnt(2)
	v_cndmask_b32_e64 v7, v7, v3, s[4:5]
	;; [unrolled: 3-line block ×4, first 2 shown]
	v_div_scale_f32 v8, s[14:15], v7, v7, 1.0
	v_div_scale_f32 v9, vcc, 1.0, v7, 1.0
	v_rcp_f32_e32 v10, v8
	v_fma_f32 v22, -v8, v10, 1.0
	v_fmac_f32_e32 v10, v22, v10
	v_mul_f32_e32 v22, v9, v10
	v_fma_f32 v23, -v8, v22, v9
	v_fmac_f32_e32 v22, v23, v10
	v_fma_f32 v8, -v8, v22, v9
	v_div_fmas_f32 v8, v8, v10, v22
	v_div_fixup_f32 v7, v8, v7, 1.0
	v_cndmask_b32_e64 v5, v5, v7, s[8:9]
	v_cndmask_b32_e64 v4, v4, v7, s[6:7]
	;; [unrolled: 1-line block ×5, first 2 shown]
	v_xor_b32_e32 v7, 0x80000000, v7
.LBB4_3:
	s_cmpk_eq_i32 s12, 0x79
	v_add_u32_e32 v22, 32, v6
	ds_write_b32 v6, v7
	s_cbranch_scc1 .LBB4_7
; %bb.4:
	s_waitcnt vmcnt(0)
	v_mov_b32_e32 v10, v5
	v_cmp_eq_u32_e64 s[0:1], 4, v0
	v_mov_b32_e32 v9, v4
	v_mov_b32_e32 v8, v3
	;; [unrolled: 1-line block ×4, first 2 shown]
	ds_write_b32 v22, v4
	s_waitcnt lgkmcnt(0)
	; wave barrier
	s_and_saveexec_b64 s[2:3], s[0:1]
	s_cbranch_execz .LBB4_11
; %bb.5:
	s_and_b64 vcc, exec, s[10:11]
	s_cbranch_vccz .LBB4_8
; %bb.6:
	v_cmp_eq_u32_e32 vcc, 1, v0
	ds_read_b32 v7, v22
	v_cndmask_b32_e32 v6, v1, v2, vcc
	v_cmp_eq_u32_e32 vcc, 2, v0
	v_cndmask_b32_e32 v6, v6, v3, vcc
	v_cmp_eq_u32_e32 vcc, 3, v0
	v_cndmask_b32_e32 v6, v6, v4, vcc
	v_cmp_eq_u32_e32 vcc, 4, v0
	v_cndmask_b32_e32 v6, v6, v5, vcc
	s_waitcnt lgkmcnt(0)
	v_mul_f32_e32 v6, v6, v7
	s_cbranch_execz .LBB4_9
	s_branch .LBB4_10
.LBB4_7:
                                        ; implicit-def: $vgpr6_vgpr7_vgpr8_vgpr9_vgpr10
	s_cbranch_execnz .LBB4_50
	s_branch .LBB4_81
.LBB4_8:
                                        ; implicit-def: $vgpr6
.LBB4_9:
	ds_read_b32 v6, v22
.LBB4_10:
	v_mov_b32_e32 v7, 0
	ds_read_b32 v7, v7 offset:12
	s_waitcnt lgkmcnt(0)
	v_mul_f32_e32 v23, v6, v7
	v_mov_b32_e32 v10, v5
	v_mov_b32_e32 v9, v4
	;; [unrolled: 1-line block ×6, first 2 shown]
.LBB4_11:
	s_or_b64 exec, exec, s[2:3]
	v_cmp_lt_u32_e64 s[2:3], 2, v0
	ds_write_b32 v22, v8
	s_waitcnt lgkmcnt(0)
	; wave barrier
	s_and_saveexec_b64 s[4:5], s[2:3]
	s_cbranch_execz .LBB4_17
; %bb.12:
	s_andn2_b64 vcc, exec, s[10:11]
	s_cbranch_vccnz .LBB4_14
; %bb.13:
	v_cmp_eq_u32_e32 vcc, 1, v0
	v_cndmask_b32_e32 v23, v6, v7, vcc
	v_cmp_eq_u32_e32 vcc, 2, v0
	v_cndmask_b32_e32 v8, v23, v8, vcc
	ds_read_b32 v23, v22
	v_cmp_eq_u32_e32 vcc, 3, v0
	v_cndmask_b32_e32 v8, v8, v9, vcc
	v_cmp_eq_u32_e32 vcc, 4, v0
	v_cndmask_b32_e32 v8, v8, v10, vcc
	s_waitcnt lgkmcnt(0)
	v_mul_f32_e32 v8, v8, v23
	s_cbranch_execz .LBB4_15
	s_branch .LBB4_16
.LBB4_14:
                                        ; implicit-def: $vgpr8
.LBB4_15:
	ds_read_b32 v8, v22
.LBB4_16:
	v_mov_b32_e32 v23, 0
	ds_read2_b32 v[23:24], v23 offset0:2 offset1:11
	s_waitcnt lgkmcnt(0)
	v_fma_f32 v24, v9, v24, v8
	v_cndmask_b32_e64 v8, v8, v24, s[0:1]
	v_mul_f32_e32 v8, v8, v23
.LBB4_17:
	s_or_b64 exec, exec, s[4:5]
	v_cmp_lt_u32_e64 s[0:1], 1, v0
	ds_write_b32 v22, v7
	s_waitcnt lgkmcnt(0)
	; wave barrier
	s_and_saveexec_b64 s[6:7], s[0:1]
	s_cbranch_execz .LBB4_33
; %bb.18:
	s_andn2_b64 vcc, exec, s[10:11]
	s_cbranch_vccnz .LBB4_20
; %bb.19:
	v_cmp_eq_u32_e32 vcc, 1, v0
	ds_read_b32 v24, v22
	v_cndmask_b32_e32 v23, v6, v7, vcc
	v_cmp_eq_u32_e32 vcc, 2, v0
	v_cndmask_b32_e32 v23, v23, v8, vcc
	v_cmp_eq_u32_e32 vcc, 3, v0
	;; [unrolled: 2-line block ×3, first 2 shown]
	v_cndmask_b32_e32 v23, v23, v10, vcc
	s_waitcnt lgkmcnt(0)
	v_mul_f32_e32 v23, v23, v24
	s_cbranch_execz .LBB4_21
	s_branch .LBB4_22
.LBB4_20:
                                        ; implicit-def: $vgpr23
.LBB4_21:
	ds_read_b32 v23, v22
.LBB4_22:
	s_and_saveexec_b64 s[8:9], s[2:3]
	s_cbranch_execz .LBB4_32
; %bb.23:
	v_add_u32_e32 v25, -3, v0
	v_add_u32_e32 v24, -2, v0
	v_cmp_lt_u32_e32 vcc, 6, v25
	v_mov_b32_e32 v26, 2
	s_and_saveexec_b64 s[2:3], vcc
	s_cbranch_execz .LBB4_27
; %bb.24:
	v_and_b32_e32 v25, -8, v24
	v_sub_u32_e32 v25, 0, v25
	s_mov_b64 s[4:5], 9
	s_mov_b32 s14, 40
	s_mov_b64 s[12:13], 0
.LBB4_25:                               ; =>This Inner Loop Header: Depth=1
	s_add_i32 s15, s4, -7
	s_cmp_eq_u32 s15, 1
	s_cselect_b64 vcc, -1, 0
	s_cmp_eq_u32 s15, 2
	v_cndmask_b32_e32 v26, v6, v7, vcc
	s_cselect_b64 vcc, -1, 0
	s_cmp_eq_u32 s15, 3
	v_cndmask_b32_e32 v26, v26, v8, vcc
	;; [unrolled: 3-line block ×3, first 2 shown]
	s_cselect_b64 vcc, -1, 0
	v_mov_b32_e32 v31, s14
	v_cndmask_b32_e32 v30, v26, v10, vcc
	ds_read2_b64 v[26:29], v31 offset1:1
	s_add_i32 s15, s4, -6
	s_cmp_eq_u32 s15, 1
	s_cselect_b64 vcc, -1, 0
	s_cmp_eq_u32 s15, 2
	s_waitcnt lgkmcnt(0)
	v_fmac_f32_e32 v23, v30, v26
	v_cndmask_b32_e32 v26, v6, v7, vcc
	s_cselect_b64 vcc, -1, 0
	s_cmp_eq_u32 s15, 3
	v_cndmask_b32_e32 v26, v26, v8, vcc
	s_cselect_b64 vcc, -1, 0
	s_cmp_eq_u32 s15, 4
	v_cndmask_b32_e32 v26, v26, v9, vcc
	s_cselect_b64 vcc, -1, 0
	s_add_i32 s15, s4, -5
	s_cmp_eq_u32 s15, 1
	v_cndmask_b32_e32 v26, v26, v10, vcc
	s_cselect_b64 vcc, -1, 0
	s_cmp_eq_u32 s15, 2
	v_fmac_f32_e32 v23, v26, v27
	v_cndmask_b32_e32 v26, v6, v7, vcc
	s_cselect_b64 vcc, -1, 0
	s_cmp_eq_u32 s15, 3
	v_cndmask_b32_e32 v26, v26, v8, vcc
	s_cselect_b64 vcc, -1, 0
	s_cmp_eq_u32 s15, 4
	v_cndmask_b32_e32 v26, v26, v9, vcc
	s_cselect_b64 vcc, -1, 0
	s_add_i32 s15, s4, -4
	s_cmp_eq_u32 s15, 1
	v_cndmask_b32_e32 v26, v26, v10, vcc
	s_cselect_b64 vcc, -1, 0
	s_cmp_eq_u32 s15, 2
	;; [unrolled: 14-line block ×3, first 2 shown]
	v_fmac_f32_e32 v23, v26, v29
	v_cndmask_b32_e32 v26, v6, v7, vcc
	s_cselect_b64 vcc, -1, 0
	s_cmp_eq_u32 s15, 3
	v_cndmask_b32_e32 v26, v26, v8, vcc
	s_cselect_b64 vcc, -1, 0
	s_cmp_eq_u32 s15, 4
	v_cndmask_b32_e32 v26, v26, v9, vcc
	s_cselect_b64 vcc, -1, 0
	v_cndmask_b32_e32 v30, v26, v10, vcc
	ds_read2_b64 v[26:29], v31 offset0:2 offset1:3
	s_add_i32 s15, s4, -2
	s_cmp_eq_u32 s15, 1
	s_cselect_b64 vcc, -1, 0
	s_cmp_eq_u32 s15, 2
	s_waitcnt lgkmcnt(0)
	v_fmac_f32_e32 v23, v30, v26
	v_cndmask_b32_e32 v26, v6, v7, vcc
	s_cselect_b64 vcc, -1, 0
	s_cmp_eq_u32 s15, 3
	v_cndmask_b32_e32 v26, v26, v8, vcc
	s_cselect_b64 vcc, -1, 0
	s_cmp_eq_u32 s15, 4
	v_cndmask_b32_e32 v26, v26, v9, vcc
	s_cselect_b64 vcc, -1, 0
	s_add_i32 s15, s4, -1
	s_cmp_eq_u32 s15, 1
	v_cndmask_b32_e32 v26, v26, v10, vcc
	s_cselect_b64 vcc, -1, 0
	s_cmp_eq_u32 s15, 2
	v_fmac_f32_e32 v23, v26, v27
	v_cndmask_b32_e32 v26, v6, v7, vcc
	s_cselect_b64 vcc, -1, 0
	s_cmp_eq_u32 s15, 3
	v_cndmask_b32_e32 v26, v26, v8, vcc
	s_cselect_b64 vcc, -1, 0
	s_cmp_eq_u32 s15, 4
	v_cndmask_b32_e32 v26, v26, v9, vcc
	s_cselect_b64 vcc, -1, 0
	s_cmp_eq_u32 s4, 1
	v_cndmask_b32_e32 v26, v26, v10, vcc
	s_cselect_b64 vcc, -1, 0
	s_cmp_eq_u32 s4, 2
	v_fmac_f32_e32 v23, v26, v28
	v_cndmask_b32_e32 v26, v6, v7, vcc
	s_cselect_b64 vcc, -1, 0
	s_cmp_eq_u32 s4, 3
	v_cndmask_b32_e32 v26, v26, v8, vcc
	s_cselect_b64 vcc, -1, 0
	s_cmp_eq_u32 s4, 4
	v_cndmask_b32_e32 v26, v26, v9, vcc
	s_cselect_b64 vcc, -1, 0
	v_cndmask_b32_e32 v26, v26, v10, vcc
	s_add_u32 s4, s4, 8
	v_fmac_f32_e32 v23, v26, v29
	v_add_u32_e32 v26, s4, v25
	s_addc_u32 s5, s5, 0
	s_add_i32 s14, s14, 32
	v_cmp_eq_u32_e32 vcc, 9, v26
	s_add_i32 s15, s4, -7
	s_or_b64 s[12:13], vcc, s[12:13]
	v_mov_b32_e32 v26, s15
	s_andn2_b64 exec, exec, s[12:13]
	s_cbranch_execnz .LBB4_25
; %bb.26:
	s_or_b64 exec, exec, s[12:13]
.LBB4_27:
	s_or_b64 exec, exec, s[2:3]
	v_and_b32_e32 v24, 7, v24
	v_cmp_ne_u32_e32 vcc, 0, v24
	s_and_saveexec_b64 s[12:13], vcc
	s_cbranch_execz .LBB4_31
; %bb.28:
	v_lshl_add_u32 v25, v26, 2, 32
	v_mov_b32_e32 v27, 0
	s_mov_b64 s[14:15], 0
.LBB4_29:                               ; =>This Inner Loop Header: Depth=1
	v_cmp_eq_u32_e32 vcc, 1, v26
	ds_read_b32 v29, v25
	v_cndmask_b32_e32 v28, v6, v7, vcc
	v_cmp_eq_u32_e32 vcc, 2, v26
	v_cndmask_b32_e32 v28, v28, v8, vcc
	v_cmp_eq_u32_e64 s[2:3], 3, v26
	v_add_u32_e32 v24, -1, v24
	v_cndmask_b32_e64 v28, v28, v9, s[2:3]
	v_cmp_eq_u32_e64 s[2:3], 4, v26
	v_cmp_eq_u32_e32 vcc, 0, v24
	v_add_co_u32_e64 v26, s[4:5], 1, v26
	v_cndmask_b32_e64 v28, v28, v10, s[2:3]
	v_add_u32_e32 v25, 4, v25
	v_addc_co_u32_e64 v27, s[4:5], 0, v27, s[4:5]
	s_or_b64 s[14:15], vcc, s[14:15]
	s_waitcnt lgkmcnt(0)
	v_fmac_f32_e32 v23, v28, v29
	s_andn2_b64 exec, exec, s[14:15]
	s_cbranch_execnz .LBB4_29
; %bb.30:
	s_or_b64 exec, exec, s[14:15]
.LBB4_31:
	s_or_b64 exec, exec, s[12:13]
.LBB4_32:
	s_or_b64 exec, exec, s[8:9]
	v_mov_b32_e32 v7, 0
	ds_read_b32 v7, v7 offset:4
	s_waitcnt lgkmcnt(0)
	v_mul_f32_e32 v7, v23, v7
.LBB4_33:
	s_or_b64 exec, exec, s[6:7]
	v_cmp_ne_u32_e32 vcc, 0, v0
	ds_write_b32 v22, v6
	s_waitcnt lgkmcnt(0)
	; wave barrier
	s_and_saveexec_b64 s[4:5], vcc
	s_cbranch_execz .LBB4_49
; %bb.34:
	s_andn2_b64 vcc, exec, s[10:11]
	s_cbranch_vccnz .LBB4_36
; %bb.35:
	v_cmp_eq_u32_e32 vcc, 1, v0
	ds_read_b32 v24, v22
	v_cndmask_b32_e32 v23, v6, v7, vcc
	v_cmp_eq_u32_e32 vcc, 2, v0
	v_cndmask_b32_e32 v23, v23, v8, vcc
	v_cmp_eq_u32_e32 vcc, 3, v0
	v_cndmask_b32_e32 v23, v23, v9, vcc
	v_cmp_eq_u32_e32 vcc, 4, v0
	v_cndmask_b32_e32 v23, v23, v10, vcc
	s_waitcnt lgkmcnt(0)
	v_mul_f32_e32 v23, v23, v24
	s_cbranch_execz .LBB4_37
	s_branch .LBB4_38
.LBB4_36:
                                        ; implicit-def: $vgpr23
.LBB4_37:
	ds_read_b32 v23, v22
.LBB4_38:
	s_and_saveexec_b64 s[6:7], s[0:1]
	s_cbranch_execz .LBB4_48
; %bb.39:
	v_add_u32_e32 v25, -2, v0
	v_add_u32_e32 v24, -1, v0
	v_cmp_lt_u32_e32 vcc, 6, v25
	v_mov_b32_e32 v26, 1
	s_and_saveexec_b64 s[0:1], vcc
	s_cbranch_execz .LBB4_43
; %bb.40:
	v_and_b32_e32 v25, -8, v24
	v_sub_u32_e32 v25, 0, v25
	s_mov_b64 s[2:3], 8
	s_mov_b32 s12, 36
	s_mov_b64 s[8:9], 0
.LBB4_41:                               ; =>This Inner Loop Header: Depth=1
	s_add_i32 s13, s2, -7
	s_cmp_eq_u32 s13, 1
	s_cselect_b64 vcc, -1, 0
	s_cmp_eq_u32 s13, 2
	v_cndmask_b32_e32 v26, v6, v7, vcc
	s_cselect_b64 vcc, -1, 0
	s_cmp_eq_u32 s13, 3
	v_cndmask_b32_e32 v26, v26, v8, vcc
	;; [unrolled: 3-line block ×3, first 2 shown]
	s_cselect_b64 vcc, -1, 0
	v_mov_b32_e32 v29, s12
	v_cndmask_b32_e32 v28, v26, v10, vcc
	ds_read2_b32 v[26:27], v29 offset1:1
	s_add_i32 s13, s2, -6
	s_cmp_eq_u32 s13, 1
	s_cselect_b64 vcc, -1, 0
	s_cmp_eq_u32 s13, 2
	s_waitcnt lgkmcnt(0)
	v_fmac_f32_e32 v23, v28, v26
	v_cndmask_b32_e32 v26, v6, v7, vcc
	s_cselect_b64 vcc, -1, 0
	s_cmp_eq_u32 s13, 3
	v_cndmask_b32_e32 v26, v26, v8, vcc
	s_cselect_b64 vcc, -1, 0
	s_cmp_eq_u32 s13, 4
	v_cndmask_b32_e32 v26, v26, v9, vcc
	s_cselect_b64 vcc, -1, 0
	s_add_i32 s13, s2, -5
	s_cmp_eq_u32 s13, 1
	v_cndmask_b32_e32 v26, v26, v10, vcc
	s_cselect_b64 vcc, -1, 0
	s_cmp_eq_u32 s13, 2
	v_fmac_f32_e32 v23, v26, v27
	v_cndmask_b32_e32 v26, v6, v7, vcc
	s_cselect_b64 vcc, -1, 0
	s_cmp_eq_u32 s13, 3
	v_cndmask_b32_e32 v26, v26, v8, vcc
	s_cselect_b64 vcc, -1, 0
	s_cmp_eq_u32 s13, 4
	v_cndmask_b32_e32 v26, v26, v9, vcc
	s_cselect_b64 vcc, -1, 0
	v_cndmask_b32_e32 v28, v26, v10, vcc
	ds_read2_b32 v[26:27], v29 offset0:2 offset1:3
	s_add_i32 s13, s2, -4
	s_cmp_eq_u32 s13, 1
	s_cselect_b64 vcc, -1, 0
	s_cmp_eq_u32 s13, 2
	s_waitcnt lgkmcnt(0)
	v_fmac_f32_e32 v23, v28, v26
	v_cndmask_b32_e32 v26, v6, v7, vcc
	s_cselect_b64 vcc, -1, 0
	s_cmp_eq_u32 s13, 3
	v_cndmask_b32_e32 v26, v26, v8, vcc
	s_cselect_b64 vcc, -1, 0
	s_cmp_eq_u32 s13, 4
	v_cndmask_b32_e32 v26, v26, v9, vcc
	s_cselect_b64 vcc, -1, 0
	s_add_i32 s13, s2, -3
	s_cmp_eq_u32 s13, 1
	v_cndmask_b32_e32 v26, v26, v10, vcc
	s_cselect_b64 vcc, -1, 0
	s_cmp_eq_u32 s13, 2
	v_fmac_f32_e32 v23, v26, v27
	v_cndmask_b32_e32 v26, v6, v7, vcc
	s_cselect_b64 vcc, -1, 0
	s_cmp_eq_u32 s13, 3
	v_cndmask_b32_e32 v26, v26, v8, vcc
	s_cselect_b64 vcc, -1, 0
	s_cmp_eq_u32 s13, 4
	v_cndmask_b32_e32 v26, v26, v9, vcc
	s_cselect_b64 vcc, -1, 0
	v_cndmask_b32_e32 v28, v26, v10, vcc
	ds_read2_b32 v[26:27], v29 offset0:4 offset1:5
	;; [unrolled: 30-line block ×3, first 2 shown]
	s_cmp_eq_u32 s2, 1
	s_cselect_b64 vcc, -1, 0
	s_cmp_eq_u32 s2, 2
	s_waitcnt lgkmcnt(0)
	v_fmac_f32_e32 v23, v28, v26
	v_cndmask_b32_e32 v26, v6, v7, vcc
	s_cselect_b64 vcc, -1, 0
	s_cmp_eq_u32 s2, 3
	v_cndmask_b32_e32 v26, v26, v8, vcc
	s_cselect_b64 vcc, -1, 0
	s_cmp_eq_u32 s2, 4
	v_cndmask_b32_e32 v26, v26, v9, vcc
	s_cselect_b64 vcc, -1, 0
	v_cndmask_b32_e32 v26, v26, v10, vcc
	s_add_u32 s2, s2, 8
	v_fmac_f32_e32 v23, v26, v27
	v_add_u32_e32 v26, s2, v25
	s_addc_u32 s3, s3, 0
	s_add_i32 s12, s12, 32
	v_cmp_eq_u32_e32 vcc, 8, v26
	s_add_i32 s13, s2, -7
	s_or_b64 s[8:9], vcc, s[8:9]
	v_mov_b32_e32 v26, s13
	s_andn2_b64 exec, exec, s[8:9]
	s_cbranch_execnz .LBB4_41
; %bb.42:
	s_or_b64 exec, exec, s[8:9]
.LBB4_43:
	s_or_b64 exec, exec, s[0:1]
	v_and_b32_e32 v24, 7, v24
	v_cmp_ne_u32_e32 vcc, 0, v24
	s_and_saveexec_b64 s[8:9], vcc
	s_cbranch_execz .LBB4_47
; %bb.44:
	v_lshl_add_u32 v25, v26, 2, 32
	v_mov_b32_e32 v27, 0
	s_mov_b64 s[12:13], 0
.LBB4_45:                               ; =>This Inner Loop Header: Depth=1
	v_cmp_eq_u32_e32 vcc, 1, v26
	ds_read_b32 v29, v25
	v_cndmask_b32_e32 v28, v6, v7, vcc
	v_cmp_eq_u32_e32 vcc, 2, v26
	v_cndmask_b32_e32 v28, v28, v8, vcc
	v_cmp_eq_u32_e64 s[0:1], 3, v26
	v_add_u32_e32 v24, -1, v24
	v_cndmask_b32_e64 v28, v28, v9, s[0:1]
	v_cmp_eq_u32_e64 s[0:1], 4, v26
	v_cmp_eq_u32_e32 vcc, 0, v24
	v_add_co_u32_e64 v26, s[2:3], 1, v26
	v_cndmask_b32_e64 v28, v28, v10, s[0:1]
	v_add_u32_e32 v25, 4, v25
	v_addc_co_u32_e64 v27, s[2:3], 0, v27, s[2:3]
	s_or_b64 s[12:13], vcc, s[12:13]
	s_waitcnt lgkmcnt(0)
	v_fmac_f32_e32 v23, v28, v29
	s_andn2_b64 exec, exec, s[12:13]
	s_cbranch_execnz .LBB4_45
; %bb.46:
	s_or_b64 exec, exec, s[12:13]
.LBB4_47:
	s_or_b64 exec, exec, s[8:9]
.LBB4_48:
	s_or_b64 exec, exec, s[6:7]
	v_mov_b32_e32 v6, 0
	ds_read_b32 v6, v6
	s_waitcnt lgkmcnt(0)
	v_mul_f32_e32 v6, v23, v6
.LBB4_49:
	s_or_b64 exec, exec, s[4:5]
	s_branch .LBB4_81
.LBB4_50:
	v_cmp_eq_u32_e64 s[0:1], 0, v0
	s_waitcnt vmcnt(3)
	ds_write_b32 v22, v2
	s_waitcnt lgkmcnt(0)
	; wave barrier
	s_and_saveexec_b64 s[2:3], s[0:1]
	s_cbranch_execz .LBB4_56
; %bb.51:
	s_and_b64 vcc, exec, s[10:11]
	s_cbranch_vccz .LBB4_53
; %bb.52:
	v_cmp_eq_u32_e32 vcc, 1, v0
	ds_read_b32 v6, v22
	v_cndmask_b32_e32 v2, v1, v2, vcc
	v_cmp_eq_u32_e32 vcc, 2, v0
	s_waitcnt vmcnt(2)
	v_cndmask_b32_e32 v2, v2, v3, vcc
	v_cmp_eq_u32_e32 vcc, 3, v0
	s_waitcnt vmcnt(1)
	;; [unrolled: 3-line block ×3, first 2 shown]
	v_cndmask_b32_e32 v2, v2, v5, vcc
	s_waitcnt lgkmcnt(0)
	v_mul_f32_e32 v2, v2, v6
	s_cbranch_execz .LBB4_54
	s_branch .LBB4_55
.LBB4_53:
                                        ; implicit-def: $vgpr2
.LBB4_54:
	ds_read_b32 v2, v22
.LBB4_55:
	v_mov_b32_e32 v6, 0
	ds_read_b32 v6, v6 offset:4
	s_waitcnt lgkmcnt(0)
	v_mul_f32_e32 v2, v2, v6
.LBB4_56:
	s_or_b64 exec, exec, s[2:3]
	v_cndmask_b32_e64 v6, 0, 1, s[10:11]
	v_cmp_gt_u32_e32 vcc, 2, v0
	v_cmp_ne_u32_e64 s[2:3], 1, v6
	s_waitcnt vmcnt(2)
	ds_write_b32 v22, v3
	s_waitcnt lgkmcnt(0)
	; wave barrier
	s_and_saveexec_b64 s[4:5], vcc
	s_cbranch_execz .LBB4_62
; %bb.57:
	s_and_b64 vcc, exec, s[2:3]
	s_cbranch_vccnz .LBB4_59
; %bb.58:
	v_cmp_eq_u32_e32 vcc, 1, v0
	v_cndmask_b32_e32 v6, v1, v2, vcc
	v_cmp_eq_u32_e32 vcc, 2, v0
	v_cndmask_b32_e32 v3, v6, v3, vcc
	ds_read_b32 v6, v22
	v_cmp_eq_u32_e32 vcc, 3, v0
	s_waitcnt vmcnt(1)
	v_cndmask_b32_e32 v3, v3, v4, vcc
	v_cmp_eq_u32_e32 vcc, 4, v0
	s_waitcnt vmcnt(0)
	v_cndmask_b32_e32 v3, v3, v5, vcc
	s_waitcnt lgkmcnt(0)
	v_mul_f32_e32 v3, v3, v6
	s_cbranch_execz .LBB4_60
	s_branch .LBB4_61
.LBB4_59:
                                        ; implicit-def: $vgpr3
.LBB4_60:
	ds_read_b32 v3, v22
.LBB4_61:
	v_mov_b32_e32 v6, 0
	ds_read2_b32 v[6:7], v6 offset0:2 offset1:9
	s_waitcnt lgkmcnt(0)
	v_fma_f32 v7, v2, v7, v3
	v_cndmask_b32_e64 v3, v3, v7, s[0:1]
	v_mul_f32_e32 v3, v3, v6
.LBB4_62:
	s_or_b64 exec, exec, s[4:5]
	v_cmp_gt_u32_e64 s[4:5], 3, v0
	s_waitcnt vmcnt(1)
	ds_write_b32 v22, v4
	s_waitcnt lgkmcnt(0)
	; wave barrier
	s_and_saveexec_b64 s[6:7], s[4:5]
	s_cbranch_execz .LBB4_70
; %bb.63:
	s_and_b64 vcc, exec, s[2:3]
	s_cbranch_vccnz .LBB4_65
; %bb.64:
	v_cmp_eq_u32_e32 vcc, 1, v0
	ds_read_b32 v7, v22
	v_cndmask_b32_e32 v6, v1, v2, vcc
	v_cmp_eq_u32_e32 vcc, 2, v0
	v_cndmask_b32_e32 v6, v6, v3, vcc
	v_cmp_eq_u32_e32 vcc, 3, v0
	;; [unrolled: 2-line block ×3, first 2 shown]
	s_waitcnt vmcnt(0)
	v_cndmask_b32_e32 v6, v6, v5, vcc
	s_waitcnt lgkmcnt(0)
	v_mul_f32_e32 v6, v6, v7
	s_cbranch_execz .LBB4_66
	s_branch .LBB4_67
.LBB4_65:
                                        ; implicit-def: $vgpr6
.LBB4_66:
	ds_read_b32 v6, v22
.LBB4_67:
	v_cmp_ne_u32_e32 vcc, 2, v0
	s_and_saveexec_b64 s[8:9], vcc
	s_cbranch_execz .LBB4_69
; %bb.68:
	v_add_u32_e32 v7, 1, v0
	v_cmp_eq_u32_e32 vcc, 1, v7
	v_mov_b32_e32 v9, 0
	v_cndmask_b32_e32 v8, v1, v2, vcc
	v_cmp_eq_u32_e32 vcc, 2, v7
	ds_read_b32 v10, v22 offset:4
	ds_read_b32 v9, v9 offset:40
	v_cndmask_b32_e32 v8, v8, v3, vcc
	v_cmp_eq_u32_e32 vcc, 3, v7
	v_cndmask_b32_e32 v4, v8, v4, vcc
	v_cmp_eq_u32_e32 vcc, 4, v7
	s_waitcnt vmcnt(0)
	v_cndmask_b32_e32 v4, v4, v5, vcc
	s_waitcnt lgkmcnt(1)
	v_fmac_f32_e32 v6, v4, v10
	s_waitcnt lgkmcnt(0)
	v_fma_f32 v4, v3, v9, v6
	v_cndmask_b32_e64 v6, v6, v4, s[0:1]
.LBB4_69:
	s_or_b64 exec, exec, s[8:9]
	v_mov_b32_e32 v4, 0
	ds_read_b32 v4, v4 offset:12
	s_waitcnt lgkmcnt(0)
	v_mul_f32_e32 v4, v6, v4
.LBB4_70:
	s_or_b64 exec, exec, s[6:7]
	v_cmp_ne_u32_e32 vcc, 4, v0
	s_waitcnt vmcnt(0)
	ds_write_b32 v22, v5
	s_waitcnt lgkmcnt(0)
	; wave barrier
	s_and_saveexec_b64 s[6:7], vcc
	s_cbranch_execz .LBB4_80
; %bb.71:
	s_and_b64 vcc, exec, s[2:3]
	s_cbranch_vccnz .LBB4_73
; %bb.72:
	v_cmp_eq_u32_e32 vcc, 1, v0
	ds_read_b32 v7, v22
	v_cndmask_b32_e32 v6, v1, v2, vcc
	v_cmp_eq_u32_e32 vcc, 2, v0
	v_cndmask_b32_e32 v6, v6, v3, vcc
	v_cmp_eq_u32_e32 vcc, 3, v0
	;; [unrolled: 2-line block ×3, first 2 shown]
	v_cndmask_b32_e32 v6, v6, v5, vcc
	s_waitcnt lgkmcnt(0)
	v_mul_f32_e32 v6, v6, v7
	s_cbranch_execz .LBB4_74
	s_branch .LBB4_75
.LBB4_73:
                                        ; implicit-def: $vgpr6
.LBB4_74:
	ds_read_b32 v6, v22
.LBB4_75:
	s_and_saveexec_b64 s[2:3], s[4:5]
	s_cbranch_execz .LBB4_79
; %bb.76:
	v_lshl_add_u32 v7, v0, 2, 36
	s_mov_b64 s[4:5], 0
.LBB4_77:                               ; =>This Inner Loop Header: Depth=1
	v_add_co_u32_e32 v0, vcc, 1, v0
	v_addc_co_u32_e32 v21, vcc, 0, v21, vcc
	ds_read_b32 v8, v7
	v_cmp_eq_u32_e32 vcc, 1, v0
	v_cndmask_b32_e32 v9, v1, v2, vcc
	v_cmp_lt_u32_e32 vcc, 2, v0
	v_cmp_eq_u32_e64 s[0:1], 2, v0
	v_cndmask_b32_e64 v9, v9, v3, s[0:1]
	s_or_b64 s[4:5], vcc, s[4:5]
	v_cmp_eq_u32_e32 vcc, 3, v0
	v_cndmask_b32_e32 v9, v9, v4, vcc
	v_cmp_eq_u32_e32 vcc, 4, v0
	v_cndmask_b32_e32 v9, v9, v5, vcc
	v_add_u32_e32 v7, 4, v7
	s_waitcnt lgkmcnt(0)
	v_fmac_f32_e32 v6, v9, v8
	s_andn2_b64 exec, exec, s[4:5]
	s_cbranch_execnz .LBB4_77
; %bb.78:
	s_or_b64 exec, exec, s[4:5]
.LBB4_79:
	s_or_b64 exec, exec, s[2:3]
	v_mov_b32_e32 v0, 0
	ds_read_b32 v0, v0 offset:16
	s_waitcnt lgkmcnt(0)
	v_mul_f32_e32 v5, v6, v0
.LBB4_80:
	s_or_b64 exec, exec, s[6:7]
	v_mov_b32_e32 v10, v5
	v_mov_b32_e32 v9, v4
	;; [unrolled: 1-line block ×5, first 2 shown]
.LBB4_81:
	global_store_dword v[11:12], v6, off
	global_store_dword v[13:14], v7, off
	;; [unrolled: 1-line block ×5, first 2 shown]
.LBB4_82:
	s_endpgm
	.section	.rodata,"a",@progbits
	.p2align	6, 0x0
	.amdhsa_kernel _ZN9rocsolver6v33100L18trti2_kernel_smallILi5EfPfEEv13rocblas_fill_17rocblas_diagonal_T1_iil
		.amdhsa_group_segment_fixed_size 52
		.amdhsa_private_segment_fixed_size 0
		.amdhsa_kernarg_size 32
		.amdhsa_user_sgpr_count 6
		.amdhsa_user_sgpr_private_segment_buffer 1
		.amdhsa_user_sgpr_dispatch_ptr 0
		.amdhsa_user_sgpr_queue_ptr 0
		.amdhsa_user_sgpr_kernarg_segment_ptr 1
		.amdhsa_user_sgpr_dispatch_id 0
		.amdhsa_user_sgpr_flat_scratch_init 0
		.amdhsa_user_sgpr_private_segment_size 0
		.amdhsa_uses_dynamic_stack 0
		.amdhsa_system_sgpr_private_segment_wavefront_offset 0
		.amdhsa_system_sgpr_workgroup_id_x 1
		.amdhsa_system_sgpr_workgroup_id_y 0
		.amdhsa_system_sgpr_workgroup_id_z 0
		.amdhsa_system_sgpr_workgroup_info 0
		.amdhsa_system_vgpr_workitem_id 0
		.amdhsa_next_free_vgpr 32
		.amdhsa_next_free_sgpr 20
		.amdhsa_reserve_vcc 1
		.amdhsa_reserve_flat_scratch 0
		.amdhsa_float_round_mode_32 0
		.amdhsa_float_round_mode_16_64 0
		.amdhsa_float_denorm_mode_32 3
		.amdhsa_float_denorm_mode_16_64 3
		.amdhsa_dx10_clamp 1
		.amdhsa_ieee_mode 1
		.amdhsa_fp16_overflow 0
		.amdhsa_exception_fp_ieee_invalid_op 0
		.amdhsa_exception_fp_denorm_src 0
		.amdhsa_exception_fp_ieee_div_zero 0
		.amdhsa_exception_fp_ieee_overflow 0
		.amdhsa_exception_fp_ieee_underflow 0
		.amdhsa_exception_fp_ieee_inexact 0
		.amdhsa_exception_int_div_zero 0
	.end_amdhsa_kernel
	.section	.text._ZN9rocsolver6v33100L18trti2_kernel_smallILi5EfPfEEv13rocblas_fill_17rocblas_diagonal_T1_iil,"axG",@progbits,_ZN9rocsolver6v33100L18trti2_kernel_smallILi5EfPfEEv13rocblas_fill_17rocblas_diagonal_T1_iil,comdat
.Lfunc_end4:
	.size	_ZN9rocsolver6v33100L18trti2_kernel_smallILi5EfPfEEv13rocblas_fill_17rocblas_diagonal_T1_iil, .Lfunc_end4-_ZN9rocsolver6v33100L18trti2_kernel_smallILi5EfPfEEv13rocblas_fill_17rocblas_diagonal_T1_iil
                                        ; -- End function
	.set _ZN9rocsolver6v33100L18trti2_kernel_smallILi5EfPfEEv13rocblas_fill_17rocblas_diagonal_T1_iil.num_vgpr, 32
	.set _ZN9rocsolver6v33100L18trti2_kernel_smallILi5EfPfEEv13rocblas_fill_17rocblas_diagonal_T1_iil.num_agpr, 0
	.set _ZN9rocsolver6v33100L18trti2_kernel_smallILi5EfPfEEv13rocblas_fill_17rocblas_diagonal_T1_iil.numbered_sgpr, 20
	.set _ZN9rocsolver6v33100L18trti2_kernel_smallILi5EfPfEEv13rocblas_fill_17rocblas_diagonal_T1_iil.num_named_barrier, 0
	.set _ZN9rocsolver6v33100L18trti2_kernel_smallILi5EfPfEEv13rocblas_fill_17rocblas_diagonal_T1_iil.private_seg_size, 0
	.set _ZN9rocsolver6v33100L18trti2_kernel_smallILi5EfPfEEv13rocblas_fill_17rocblas_diagonal_T1_iil.uses_vcc, 1
	.set _ZN9rocsolver6v33100L18trti2_kernel_smallILi5EfPfEEv13rocblas_fill_17rocblas_diagonal_T1_iil.uses_flat_scratch, 0
	.set _ZN9rocsolver6v33100L18trti2_kernel_smallILi5EfPfEEv13rocblas_fill_17rocblas_diagonal_T1_iil.has_dyn_sized_stack, 0
	.set _ZN9rocsolver6v33100L18trti2_kernel_smallILi5EfPfEEv13rocblas_fill_17rocblas_diagonal_T1_iil.has_recursion, 0
	.set _ZN9rocsolver6v33100L18trti2_kernel_smallILi5EfPfEEv13rocblas_fill_17rocblas_diagonal_T1_iil.has_indirect_call, 0
	.section	.AMDGPU.csdata,"",@progbits
; Kernel info:
; codeLenInByte = 3372
; TotalNumSgprs: 24
; NumVgprs: 32
; ScratchSize: 0
; MemoryBound: 0
; FloatMode: 240
; IeeeMode: 1
; LDSByteSize: 52 bytes/workgroup (compile time only)
; SGPRBlocks: 2
; VGPRBlocks: 7
; NumSGPRsForWavesPerEU: 24
; NumVGPRsForWavesPerEU: 32
; Occupancy: 8
; WaveLimiterHint : 0
; COMPUTE_PGM_RSRC2:SCRATCH_EN: 0
; COMPUTE_PGM_RSRC2:USER_SGPR: 6
; COMPUTE_PGM_RSRC2:TRAP_HANDLER: 0
; COMPUTE_PGM_RSRC2:TGID_X_EN: 1
; COMPUTE_PGM_RSRC2:TGID_Y_EN: 0
; COMPUTE_PGM_RSRC2:TGID_Z_EN: 0
; COMPUTE_PGM_RSRC2:TIDIG_COMP_CNT: 0
	.section	.text._ZN9rocsolver6v33100L18trti2_kernel_smallILi6EfPfEEv13rocblas_fill_17rocblas_diagonal_T1_iil,"axG",@progbits,_ZN9rocsolver6v33100L18trti2_kernel_smallILi6EfPfEEv13rocblas_fill_17rocblas_diagonal_T1_iil,comdat
	.globl	_ZN9rocsolver6v33100L18trti2_kernel_smallILi6EfPfEEv13rocblas_fill_17rocblas_diagonal_T1_iil ; -- Begin function _ZN9rocsolver6v33100L18trti2_kernel_smallILi6EfPfEEv13rocblas_fill_17rocblas_diagonal_T1_iil
	.p2align	8
	.type	_ZN9rocsolver6v33100L18trti2_kernel_smallILi6EfPfEEv13rocblas_fill_17rocblas_diagonal_T1_iil,@function
_ZN9rocsolver6v33100L18trti2_kernel_smallILi6EfPfEEv13rocblas_fill_17rocblas_diagonal_T1_iil: ; @_ZN9rocsolver6v33100L18trti2_kernel_smallILi6EfPfEEv13rocblas_fill_17rocblas_diagonal_T1_iil
; %bb.0:
	v_cmp_gt_u32_e32 vcc, 6, v0
	s_and_saveexec_b64 s[0:1], vcc
	s_cbranch_execz .LBB5_108
; %bb.1:
	s_load_dwordx8 s[12:19], s[4:5], 0x0
	s_ashr_i32 s2, s6, 31
	v_lshlrev_b32_e32 v8, 2, v0
	v_mov_b32_e32 v9, -1.0
	s_waitcnt lgkmcnt(0)
	s_mul_hi_u32 s3, s18, s6
	s_mul_i32 s2, s18, s2
	s_add_i32 s2, s3, s2
	s_mul_i32 s3, s19, s6
	s_add_i32 s3, s2, s3
	s_mul_i32 s2, s18, s6
	s_ashr_i32 s1, s16, 31
	s_lshl_b64 s[2:3], s[2:3], 2
	s_mov_b32 s0, s16
	s_add_u32 s2, s14, s2
	s_addc_u32 s3, s15, s3
	s_lshl_b64 s[0:1], s[0:1], 2
	s_add_u32 s0, s2, s0
	s_addc_u32 s1, s3, s1
	v_mov_b32_e32 v1, s1
	v_add_co_u32_e32 v14, vcc, s0, v8
	s_ashr_i32 s3, s17, 31
	s_mov_b32 s2, s17
	v_addc_co_u32_e32 v15, vcc, 0, v1, vcc
	s_lshl_b64 s[2:3], s[2:3], 2
	v_mov_b32_e32 v1, s3
	v_add_co_u32_e32 v16, vcc, s2, v14
	s_add_i32 s2, s17, s17
	v_addc_co_u32_e32 v17, vcc, v15, v1, vcc
	v_add_u32_e32 v1, s2, v0
	v_ashrrev_i32_e32 v2, 31, v1
	v_lshlrev_b64 v[2:3], 2, v[1:2]
	v_add_u32_e32 v1, s17, v1
	v_mov_b32_e32 v4, s1
	v_add_co_u32_e32 v18, vcc, s0, v2
	v_ashrrev_i32_e32 v2, 31, v1
	v_addc_co_u32_e32 v19, vcc, v4, v3, vcc
	v_lshlrev_b64 v[2:3], 2, v[1:2]
	v_add_u32_e32 v1, s17, v1
	v_add_co_u32_e32 v20, vcc, s0, v2
	v_ashrrev_i32_e32 v2, 31, v1
	v_addc_co_u32_e32 v21, vcc, v4, v3, vcc
	v_lshlrev_b64 v[2:3], 2, v[1:2]
	v_add_u32_e32 v1, s17, v1
	v_add_co_u32_e32 v22, vcc, s0, v2
	v_ashrrev_i32_e32 v2, 31, v1
	v_lshlrev_b64 v[1:2], 2, v[1:2]
	v_addc_co_u32_e32 v23, vcc, v4, v3, vcc
	v_mov_b32_e32 v3, s1
	v_add_co_u32_e32 v24, vcc, s0, v1
	v_addc_co_u32_e32 v25, vcc, v3, v2, vcc
	global_load_dword v2, v8, s[0:1]
	global_load_dword v3, v[16:17], off
	global_load_dword v4, v[18:19], off
	;; [unrolled: 1-line block ×5, first 2 shown]
	s_cmpk_lg_i32 s13, 0x84
	v_mov_b32_e32 v1, 0
	s_cselect_b64 s[14:15], -1, 0
	s_cmpk_eq_i32 s13, 0x84
	v_cmp_eq_u32_e64 s[0:1], 0, v0
	s_cbranch_scc1 .LBB5_3
; %bb.2:
	v_cmp_eq_u32_e64 s[2:3], 1, v0
	s_waitcnt vmcnt(4)
	v_cndmask_b32_e64 v9, v2, v3, s[2:3]
	v_cmp_eq_u32_e64 s[4:5], 2, v0
	s_waitcnt vmcnt(3)
	v_cndmask_b32_e64 v9, v9, v4, s[4:5]
	;; [unrolled: 3-line block ×5, first 2 shown]
	v_div_scale_f32 v10, s[16:17], v9, v9, 1.0
	v_div_scale_f32 v11, vcc, 1.0, v9, 1.0
	v_rcp_f32_e32 v12, v10
	v_fma_f32 v13, -v10, v12, 1.0
	v_fmac_f32_e32 v12, v13, v12
	v_mul_f32_e32 v13, v11, v12
	v_fma_f32 v26, -v10, v13, v11
	v_fmac_f32_e32 v13, v26, v12
	v_fma_f32 v10, -v10, v13, v11
	v_div_fmas_f32 v10, v10, v12, v13
	v_div_fixup_f32 v9, v10, v9, 1.0
	v_cndmask_b32_e64 v7, v7, v9, s[10:11]
	v_cndmask_b32_e64 v6, v6, v9, s[8:9]
	;; [unrolled: 1-line block ×6, first 2 shown]
	v_xor_b32_e32 v9, 0x80000000, v9
.LBB5_3:
	s_cmpk_eq_i32 s12, 0x79
	v_add_u32_e32 v26, 32, v8
	ds_write_b32 v8, v9
	s_cbranch_scc1 .LBB5_7
; %bb.4:
	s_waitcnt vmcnt(0)
	v_mov_b32_e32 v13, v7
	v_cmp_eq_u32_e64 s[0:1], 5, v0
	v_mov_b32_e32 v12, v6
	v_mov_b32_e32 v11, v5
	;; [unrolled: 1-line block ×5, first 2 shown]
	ds_write_b32 v26, v6
	s_waitcnt lgkmcnt(0)
	; wave barrier
	s_and_saveexec_b64 s[2:3], s[0:1]
	s_cbranch_execz .LBB5_11
; %bb.5:
	s_and_b64 vcc, exec, s[14:15]
	s_cbranch_vccz .LBB5_8
; %bb.6:
	v_cmp_eq_u32_e32 vcc, 1, v0
	v_cndmask_b32_e32 v8, v2, v3, vcc
	v_cmp_eq_u32_e32 vcc, 2, v0
	ds_read_b32 v9, v26
	v_cndmask_b32_e32 v8, v8, v4, vcc
	v_cmp_eq_u32_e32 vcc, 3, v0
	v_cndmask_b32_e32 v8, v8, v5, vcc
	v_cmp_eq_u32_e32 vcc, 4, v0
	;; [unrolled: 2-line block ×3, first 2 shown]
	v_cndmask_b32_e32 v8, v8, v7, vcc
	s_waitcnt lgkmcnt(0)
	v_mul_f32_e32 v8, v8, v9
	s_cbranch_execz .LBB5_9
	s_branch .LBB5_10
.LBB5_7:
                                        ; implicit-def: $vgpr8_vgpr9_vgpr10_vgpr11_vgpr12_vgpr13
	s_cbranch_execnz .LBB5_66
	s_branch .LBB5_107
.LBB5_8:
                                        ; implicit-def: $vgpr8
.LBB5_9:
	ds_read_b32 v8, v26
.LBB5_10:
	v_mov_b32_e32 v9, 0
	ds_read_b32 v9, v9 offset:16
	s_waitcnt lgkmcnt(0)
	v_mul_f32_e32 v27, v8, v9
	v_mov_b32_e32 v13, v7
	v_mov_b32_e32 v12, v6
	;; [unrolled: 1-line block ×7, first 2 shown]
.LBB5_11:
	s_or_b64 exec, exec, s[2:3]
	v_cmp_lt_u32_e64 s[2:3], 3, v0
	ds_write_b32 v26, v11
	s_waitcnt lgkmcnt(0)
	; wave barrier
	s_and_saveexec_b64 s[4:5], s[2:3]
	s_cbranch_execz .LBB5_17
; %bb.12:
	s_andn2_b64 vcc, exec, s[14:15]
	s_cbranch_vccnz .LBB5_14
; %bb.13:
	v_cmp_eq_u32_e32 vcc, 1, v0
	v_cndmask_b32_e32 v27, v8, v9, vcc
	v_cmp_eq_u32_e32 vcc, 2, v0
	v_cndmask_b32_e32 v27, v27, v10, vcc
	;; [unrolled: 2-line block ×3, first 2 shown]
	ds_read_b32 v27, v26
	v_cmp_eq_u32_e32 vcc, 4, v0
	v_cndmask_b32_e32 v11, v11, v12, vcc
	v_cmp_eq_u32_e32 vcc, 5, v0
	v_cndmask_b32_e32 v11, v11, v13, vcc
	s_waitcnt lgkmcnt(0)
	v_mul_f32_e32 v11, v11, v27
	s_cbranch_execz .LBB5_15
	s_branch .LBB5_16
.LBB5_14:
                                        ; implicit-def: $vgpr11
.LBB5_15:
	ds_read_b32 v11, v26
.LBB5_16:
	v_mov_b32_e32 v27, 0
	ds_read2_b32 v[27:28], v27 offset0:3 offset1:12
	s_waitcnt lgkmcnt(0)
	v_fma_f32 v28, v12, v28, v11
	v_cndmask_b32_e64 v11, v11, v28, s[0:1]
	v_mul_f32_e32 v11, v11, v27
.LBB5_17:
	s_or_b64 exec, exec, s[4:5]
	v_cmp_lt_u32_e64 s[0:1], 2, v0
	ds_write_b32 v26, v10
	s_waitcnt lgkmcnt(0)
	; wave barrier
	s_and_saveexec_b64 s[4:5], s[0:1]
	s_cbranch_execz .LBB5_33
; %bb.18:
	s_andn2_b64 vcc, exec, s[14:15]
	s_cbranch_vccnz .LBB5_20
; %bb.19:
	v_cmp_eq_u32_e32 vcc, 1, v0
	v_cndmask_b32_e32 v27, v8, v9, vcc
	v_cmp_eq_u32_e32 vcc, 2, v0
	ds_read_b32 v28, v26
	v_cndmask_b32_e32 v27, v27, v10, vcc
	v_cmp_eq_u32_e32 vcc, 3, v0
	v_cndmask_b32_e32 v27, v27, v11, vcc
	v_cmp_eq_u32_e32 vcc, 4, v0
	;; [unrolled: 2-line block ×3, first 2 shown]
	v_cndmask_b32_e32 v27, v27, v13, vcc
	s_waitcnt lgkmcnt(0)
	v_mul_f32_e32 v27, v27, v28
	s_cbranch_execz .LBB5_21
	s_branch .LBB5_22
.LBB5_20:
                                        ; implicit-def: $vgpr27
.LBB5_21:
	ds_read_b32 v27, v26
.LBB5_22:
	s_and_saveexec_b64 s[6:7], s[2:3]
	s_cbranch_execz .LBB5_32
; %bb.23:
	v_add_u32_e32 v29, -4, v0
	v_add_u32_e32 v28, -3, v0
	v_cmp_lt_u32_e32 vcc, 6, v29
	v_mov_b32_e32 v30, 3
	s_and_saveexec_b64 s[2:3], vcc
	s_cbranch_execz .LBB5_27
; %bb.24:
	v_and_b32_e32 v29, -8, v28
	v_sub_u32_e32 v29, 0, v29
	s_mov_b64 s[8:9], 10
	s_mov_b32 s12, 44
	s_mov_b64 s[10:11], 0
.LBB5_25:                               ; =>This Inner Loop Header: Depth=1
	s_add_i32 s13, s8, -7
	s_cmp_eq_u32 s13, 1
	s_cselect_b64 vcc, -1, 0
	s_cmp_eq_u32 s13, 2
	v_cndmask_b32_e32 v30, v8, v9, vcc
	s_cselect_b64 vcc, -1, 0
	s_cmp_eq_u32 s13, 3
	v_cndmask_b32_e32 v30, v30, v10, vcc
	;; [unrolled: 3-line block ×4, first 2 shown]
	s_cselect_b64 vcc, -1, 0
	v_mov_b32_e32 v33, s12
	v_cndmask_b32_e32 v32, v30, v13, vcc
	ds_read2_b32 v[30:31], v33 offset1:1
	s_add_i32 s13, s8, -6
	s_cmp_eq_u32 s13, 1
	s_cselect_b64 vcc, -1, 0
	s_cmp_eq_u32 s13, 2
	s_waitcnt lgkmcnt(0)
	v_fmac_f32_e32 v27, v32, v30
	v_cndmask_b32_e32 v30, v8, v9, vcc
	s_cselect_b64 vcc, -1, 0
	s_cmp_eq_u32 s13, 3
	v_cndmask_b32_e32 v30, v30, v10, vcc
	s_cselect_b64 vcc, -1, 0
	s_cmp_eq_u32 s13, 4
	v_cndmask_b32_e32 v30, v30, v11, vcc
	s_cselect_b64 vcc, -1, 0
	s_cmp_eq_u32 s13, 5
	v_cndmask_b32_e32 v30, v30, v12, vcc
	s_cselect_b64 vcc, -1, 0
	s_add_i32 s13, s8, -5
	s_cmp_eq_u32 s13, 1
	v_cndmask_b32_e32 v30, v30, v13, vcc
	s_cselect_b64 vcc, -1, 0
	s_cmp_eq_u32 s13, 2
	v_fmac_f32_e32 v27, v30, v31
	v_cndmask_b32_e32 v30, v8, v9, vcc
	s_cselect_b64 vcc, -1, 0
	s_cmp_eq_u32 s13, 3
	v_cndmask_b32_e32 v30, v30, v10, vcc
	s_cselect_b64 vcc, -1, 0
	s_cmp_eq_u32 s13, 4
	v_cndmask_b32_e32 v30, v30, v11, vcc
	s_cselect_b64 vcc, -1, 0
	s_cmp_eq_u32 s13, 5
	v_cndmask_b32_e32 v30, v30, v12, vcc
	s_cselect_b64 vcc, -1, 0
	v_cndmask_b32_e32 v32, v30, v13, vcc
	ds_read2_b32 v[30:31], v33 offset0:2 offset1:3
	s_add_i32 s13, s8, -4
	s_cmp_eq_u32 s13, 1
	s_cselect_b64 vcc, -1, 0
	s_cmp_eq_u32 s13, 2
	s_waitcnt lgkmcnt(0)
	v_fmac_f32_e32 v27, v32, v30
	v_cndmask_b32_e32 v30, v8, v9, vcc
	s_cselect_b64 vcc, -1, 0
	s_cmp_eq_u32 s13, 3
	v_cndmask_b32_e32 v30, v30, v10, vcc
	s_cselect_b64 vcc, -1, 0
	s_cmp_eq_u32 s13, 4
	v_cndmask_b32_e32 v30, v30, v11, vcc
	s_cselect_b64 vcc, -1, 0
	s_cmp_eq_u32 s13, 5
	v_cndmask_b32_e32 v30, v30, v12, vcc
	s_cselect_b64 vcc, -1, 0
	s_add_i32 s13, s8, -3
	s_cmp_eq_u32 s13, 1
	v_cndmask_b32_e32 v30, v30, v13, vcc
	s_cselect_b64 vcc, -1, 0
	s_cmp_eq_u32 s13, 2
	v_fmac_f32_e32 v27, v30, v31
	v_cndmask_b32_e32 v30, v8, v9, vcc
	s_cselect_b64 vcc, -1, 0
	s_cmp_eq_u32 s13, 3
	v_cndmask_b32_e32 v30, v30, v10, vcc
	s_cselect_b64 vcc, -1, 0
	s_cmp_eq_u32 s13, 4
	v_cndmask_b32_e32 v30, v30, v11, vcc
	s_cselect_b64 vcc, -1, 0
	s_cmp_eq_u32 s13, 5
	v_cndmask_b32_e32 v30, v30, v12, vcc
	s_cselect_b64 vcc, -1, 0
	v_cndmask_b32_e32 v32, v30, v13, vcc
	ds_read2_b32 v[30:31], v33 offset0:4 offset1:5
	;; [unrolled: 36-line block ×3, first 2 shown]
	s_cmp_eq_u32 s8, 1
	s_cselect_b64 vcc, -1, 0
	s_cmp_eq_u32 s8, 2
	s_waitcnt lgkmcnt(0)
	v_fmac_f32_e32 v27, v32, v30
	v_cndmask_b32_e32 v30, v8, v9, vcc
	s_cselect_b64 vcc, -1, 0
	s_cmp_eq_u32 s8, 3
	v_cndmask_b32_e32 v30, v30, v10, vcc
	s_cselect_b64 vcc, -1, 0
	s_cmp_eq_u32 s8, 4
	v_cndmask_b32_e32 v30, v30, v11, vcc
	s_cselect_b64 vcc, -1, 0
	s_cmp_eq_u32 s8, 5
	v_cndmask_b32_e32 v30, v30, v12, vcc
	s_cselect_b64 vcc, -1, 0
	v_cndmask_b32_e32 v30, v30, v13, vcc
	s_add_u32 s8, s8, 8
	v_fmac_f32_e32 v27, v30, v31
	v_add_u32_e32 v30, s8, v29
	s_addc_u32 s9, s9, 0
	s_add_i32 s12, s12, 32
	v_cmp_eq_u32_e32 vcc, 10, v30
	s_add_i32 s13, s8, -7
	s_or_b64 s[10:11], vcc, s[10:11]
	v_mov_b32_e32 v30, s13
	s_andn2_b64 exec, exec, s[10:11]
	s_cbranch_execnz .LBB5_25
; %bb.26:
	s_or_b64 exec, exec, s[10:11]
.LBB5_27:
	s_or_b64 exec, exec, s[2:3]
	v_and_b32_e32 v28, 7, v28
	v_cmp_ne_u32_e32 vcc, 0, v28
	s_and_saveexec_b64 s[8:9], vcc
	s_cbranch_execz .LBB5_31
; %bb.28:
	v_lshl_add_u32 v29, v30, 2, 32
	v_mov_b32_e32 v31, 0
	s_mov_b64 s[10:11], 0
.LBB5_29:                               ; =>This Inner Loop Header: Depth=1
	v_cmp_eq_u32_e32 vcc, 1, v30
	v_cndmask_b32_e32 v32, v8, v9, vcc
	ds_read_b32 v33, v29
	v_add_u32_e32 v28, -1, v28
	v_cmp_eq_u32_e32 vcc, 2, v30
	v_cndmask_b32_e32 v32, v32, v10, vcc
	v_cmp_eq_u32_e32 vcc, 0, v28
	v_cmp_eq_u32_e64 s[2:3], 3, v30
	v_cndmask_b32_e64 v32, v32, v11, s[2:3]
	s_or_b64 s[10:11], vcc, s[10:11]
	v_cmp_eq_u32_e32 vcc, 4, v30
	v_cndmask_b32_e32 v32, v32, v12, vcc
	v_cmp_eq_u32_e32 vcc, 5, v30
	v_add_co_u32_e64 v30, s[2:3], 1, v30
	v_cndmask_b32_e32 v32, v32, v13, vcc
	v_add_u32_e32 v29, 4, v29
	v_addc_co_u32_e64 v31, s[2:3], 0, v31, s[2:3]
	s_waitcnt lgkmcnt(0)
	v_fmac_f32_e32 v27, v32, v33
	s_andn2_b64 exec, exec, s[10:11]
	s_cbranch_execnz .LBB5_29
; %bb.30:
	s_or_b64 exec, exec, s[10:11]
.LBB5_31:
	s_or_b64 exec, exec, s[8:9]
.LBB5_32:
	s_or_b64 exec, exec, s[6:7]
	v_mov_b32_e32 v10, 0
	ds_read_b32 v10, v10 offset:8
	s_waitcnt lgkmcnt(0)
	v_mul_f32_e32 v10, v27, v10
.LBB5_33:
	s_or_b64 exec, exec, s[4:5]
	v_cmp_lt_u32_e64 s[2:3], 1, v0
	ds_write_b32 v26, v9
	s_waitcnt lgkmcnt(0)
	; wave barrier
	s_and_saveexec_b64 s[4:5], s[2:3]
	s_cbranch_execz .LBB5_49
; %bb.34:
	s_andn2_b64 vcc, exec, s[14:15]
	s_cbranch_vccnz .LBB5_36
; %bb.35:
	v_cmp_eq_u32_e32 vcc, 1, v0
	v_cndmask_b32_e32 v27, v8, v9, vcc
	v_cmp_eq_u32_e32 vcc, 2, v0
	ds_read_b32 v28, v26
	v_cndmask_b32_e32 v27, v27, v10, vcc
	v_cmp_eq_u32_e32 vcc, 3, v0
	v_cndmask_b32_e32 v27, v27, v11, vcc
	v_cmp_eq_u32_e32 vcc, 4, v0
	;; [unrolled: 2-line block ×3, first 2 shown]
	v_cndmask_b32_e32 v27, v27, v13, vcc
	s_waitcnt lgkmcnt(0)
	v_mul_f32_e32 v27, v27, v28
	s_cbranch_execz .LBB5_37
	s_branch .LBB5_38
.LBB5_36:
                                        ; implicit-def: $vgpr27
.LBB5_37:
	ds_read_b32 v27, v26
.LBB5_38:
	s_and_saveexec_b64 s[6:7], s[0:1]
	s_cbranch_execz .LBB5_48
; %bb.39:
	v_add_u32_e32 v29, -3, v0
	v_add_u32_e32 v28, -2, v0
	v_cmp_lt_u32_e32 vcc, 6, v29
	v_mov_b32_e32 v30, 2
	s_and_saveexec_b64 s[0:1], vcc
	s_cbranch_execz .LBB5_43
; %bb.40:
	v_and_b32_e32 v29, -8, v28
	v_sub_u32_e32 v29, 0, v29
	s_mov_b64 s[8:9], 9
	s_mov_b32 s12, 40
	s_mov_b64 s[10:11], 0
.LBB5_41:                               ; =>This Inner Loop Header: Depth=1
	s_add_i32 s13, s8, -7
	s_cmp_eq_u32 s13, 1
	s_cselect_b64 vcc, -1, 0
	s_cmp_eq_u32 s13, 2
	v_cndmask_b32_e32 v30, v8, v9, vcc
	s_cselect_b64 vcc, -1, 0
	s_cmp_eq_u32 s13, 3
	v_cndmask_b32_e32 v30, v30, v10, vcc
	;; [unrolled: 3-line block ×4, first 2 shown]
	s_cselect_b64 vcc, -1, 0
	v_mov_b32_e32 v35, s12
	v_cndmask_b32_e32 v34, v30, v13, vcc
	ds_read2_b64 v[30:33], v35 offset1:1
	s_add_i32 s13, s8, -6
	s_cmp_eq_u32 s13, 1
	s_cselect_b64 vcc, -1, 0
	s_cmp_eq_u32 s13, 2
	s_waitcnt lgkmcnt(0)
	v_fmac_f32_e32 v27, v34, v30
	v_cndmask_b32_e32 v30, v8, v9, vcc
	s_cselect_b64 vcc, -1, 0
	s_cmp_eq_u32 s13, 3
	v_cndmask_b32_e32 v30, v30, v10, vcc
	s_cselect_b64 vcc, -1, 0
	s_cmp_eq_u32 s13, 4
	v_cndmask_b32_e32 v30, v30, v11, vcc
	s_cselect_b64 vcc, -1, 0
	s_cmp_eq_u32 s13, 5
	v_cndmask_b32_e32 v30, v30, v12, vcc
	s_cselect_b64 vcc, -1, 0
	s_add_i32 s13, s8, -5
	s_cmp_eq_u32 s13, 1
	v_cndmask_b32_e32 v30, v30, v13, vcc
	s_cselect_b64 vcc, -1, 0
	s_cmp_eq_u32 s13, 2
	v_fmac_f32_e32 v27, v30, v31
	v_cndmask_b32_e32 v30, v8, v9, vcc
	s_cselect_b64 vcc, -1, 0
	s_cmp_eq_u32 s13, 3
	v_cndmask_b32_e32 v30, v30, v10, vcc
	s_cselect_b64 vcc, -1, 0
	s_cmp_eq_u32 s13, 4
	v_cndmask_b32_e32 v30, v30, v11, vcc
	s_cselect_b64 vcc, -1, 0
	s_cmp_eq_u32 s13, 5
	v_cndmask_b32_e32 v30, v30, v12, vcc
	s_cselect_b64 vcc, -1, 0
	s_add_i32 s13, s8, -4
	s_cmp_eq_u32 s13, 1
	v_cndmask_b32_e32 v30, v30, v13, vcc
	s_cselect_b64 vcc, -1, 0
	s_cmp_eq_u32 s13, 2
	;; [unrolled: 17-line block ×3, first 2 shown]
	v_fmac_f32_e32 v27, v30, v33
	v_cndmask_b32_e32 v30, v8, v9, vcc
	s_cselect_b64 vcc, -1, 0
	s_cmp_eq_u32 s13, 3
	v_cndmask_b32_e32 v30, v30, v10, vcc
	s_cselect_b64 vcc, -1, 0
	s_cmp_eq_u32 s13, 4
	;; [unrolled: 3-line block ×3, first 2 shown]
	v_cndmask_b32_e32 v30, v30, v12, vcc
	s_cselect_b64 vcc, -1, 0
	v_cndmask_b32_e32 v34, v30, v13, vcc
	ds_read2_b64 v[30:33], v35 offset0:2 offset1:3
	s_add_i32 s13, s8, -2
	s_cmp_eq_u32 s13, 1
	s_cselect_b64 vcc, -1, 0
	s_cmp_eq_u32 s13, 2
	s_waitcnt lgkmcnt(0)
	v_fmac_f32_e32 v27, v34, v30
	v_cndmask_b32_e32 v30, v8, v9, vcc
	s_cselect_b64 vcc, -1, 0
	s_cmp_eq_u32 s13, 3
	v_cndmask_b32_e32 v30, v30, v10, vcc
	s_cselect_b64 vcc, -1, 0
	s_cmp_eq_u32 s13, 4
	v_cndmask_b32_e32 v30, v30, v11, vcc
	s_cselect_b64 vcc, -1, 0
	s_cmp_eq_u32 s13, 5
	v_cndmask_b32_e32 v30, v30, v12, vcc
	s_cselect_b64 vcc, -1, 0
	s_add_i32 s13, s8, -1
	s_cmp_eq_u32 s13, 1
	v_cndmask_b32_e32 v30, v30, v13, vcc
	s_cselect_b64 vcc, -1, 0
	s_cmp_eq_u32 s13, 2
	v_fmac_f32_e32 v27, v30, v31
	v_cndmask_b32_e32 v30, v8, v9, vcc
	s_cselect_b64 vcc, -1, 0
	s_cmp_eq_u32 s13, 3
	v_cndmask_b32_e32 v30, v30, v10, vcc
	s_cselect_b64 vcc, -1, 0
	s_cmp_eq_u32 s13, 4
	;; [unrolled: 3-line block ×5, first 2 shown]
	v_fmac_f32_e32 v27, v30, v32
	v_cndmask_b32_e32 v30, v8, v9, vcc
	s_cselect_b64 vcc, -1, 0
	s_cmp_eq_u32 s8, 3
	v_cndmask_b32_e32 v30, v30, v10, vcc
	s_cselect_b64 vcc, -1, 0
	s_cmp_eq_u32 s8, 4
	v_cndmask_b32_e32 v30, v30, v11, vcc
	s_cselect_b64 vcc, -1, 0
	s_cmp_eq_u32 s8, 5
	v_cndmask_b32_e32 v30, v30, v12, vcc
	s_cselect_b64 vcc, -1, 0
	v_cndmask_b32_e32 v30, v30, v13, vcc
	s_add_u32 s8, s8, 8
	v_fmac_f32_e32 v27, v30, v33
	v_add_u32_e32 v30, s8, v29
	s_addc_u32 s9, s9, 0
	s_add_i32 s12, s12, 32
	v_cmp_eq_u32_e32 vcc, 9, v30
	s_add_i32 s13, s8, -7
	s_or_b64 s[10:11], vcc, s[10:11]
	v_mov_b32_e32 v30, s13
	s_andn2_b64 exec, exec, s[10:11]
	s_cbranch_execnz .LBB5_41
; %bb.42:
	s_or_b64 exec, exec, s[10:11]
.LBB5_43:
	s_or_b64 exec, exec, s[0:1]
	v_and_b32_e32 v28, 7, v28
	v_cmp_ne_u32_e32 vcc, 0, v28
	s_and_saveexec_b64 s[8:9], vcc
	s_cbranch_execz .LBB5_47
; %bb.44:
	v_lshl_add_u32 v29, v30, 2, 32
	v_mov_b32_e32 v31, 0
	s_mov_b64 s[10:11], 0
.LBB5_45:                               ; =>This Inner Loop Header: Depth=1
	v_cmp_eq_u32_e32 vcc, 1, v30
	v_cndmask_b32_e32 v32, v8, v9, vcc
	ds_read_b32 v33, v29
	v_add_u32_e32 v28, -1, v28
	v_cmp_eq_u32_e32 vcc, 2, v30
	v_cndmask_b32_e32 v32, v32, v10, vcc
	v_cmp_eq_u32_e32 vcc, 0, v28
	v_cmp_eq_u32_e64 s[0:1], 3, v30
	v_cndmask_b32_e64 v32, v32, v11, s[0:1]
	s_or_b64 s[10:11], vcc, s[10:11]
	v_cmp_eq_u32_e32 vcc, 4, v30
	v_cndmask_b32_e32 v32, v32, v12, vcc
	v_cmp_eq_u32_e32 vcc, 5, v30
	v_add_co_u32_e64 v30, s[0:1], 1, v30
	v_cndmask_b32_e32 v32, v32, v13, vcc
	v_add_u32_e32 v29, 4, v29
	v_addc_co_u32_e64 v31, s[0:1], 0, v31, s[0:1]
	s_waitcnt lgkmcnt(0)
	v_fmac_f32_e32 v27, v32, v33
	s_andn2_b64 exec, exec, s[10:11]
	s_cbranch_execnz .LBB5_45
; %bb.46:
	s_or_b64 exec, exec, s[10:11]
.LBB5_47:
	s_or_b64 exec, exec, s[8:9]
.LBB5_48:
	s_or_b64 exec, exec, s[6:7]
	v_mov_b32_e32 v9, 0
	ds_read_b32 v9, v9 offset:4
	s_waitcnt lgkmcnt(0)
	v_mul_f32_e32 v9, v27, v9
.LBB5_49:
	s_or_b64 exec, exec, s[4:5]
	v_cmp_ne_u32_e32 vcc, 0, v0
	ds_write_b32 v26, v8
	s_waitcnt lgkmcnt(0)
	; wave barrier
	s_and_saveexec_b64 s[4:5], vcc
	s_cbranch_execz .LBB5_65
; %bb.50:
	s_andn2_b64 vcc, exec, s[14:15]
	s_cbranch_vccnz .LBB5_52
; %bb.51:
	v_cmp_eq_u32_e32 vcc, 1, v0
	v_cndmask_b32_e32 v27, v8, v9, vcc
	v_cmp_eq_u32_e32 vcc, 2, v0
	ds_read_b32 v28, v26
	v_cndmask_b32_e32 v27, v27, v10, vcc
	v_cmp_eq_u32_e32 vcc, 3, v0
	v_cndmask_b32_e32 v27, v27, v11, vcc
	v_cmp_eq_u32_e32 vcc, 4, v0
	;; [unrolled: 2-line block ×3, first 2 shown]
	v_cndmask_b32_e32 v27, v27, v13, vcc
	s_waitcnt lgkmcnt(0)
	v_mul_f32_e32 v27, v27, v28
	s_cbranch_execz .LBB5_53
	s_branch .LBB5_54
.LBB5_52:
                                        ; implicit-def: $vgpr27
.LBB5_53:
	ds_read_b32 v27, v26
.LBB5_54:
	s_and_saveexec_b64 s[6:7], s[2:3]
	s_cbranch_execz .LBB5_64
; %bb.55:
	v_add_u32_e32 v29, -2, v0
	v_add_u32_e32 v28, -1, v0
	v_cmp_lt_u32_e32 vcc, 6, v29
	v_mov_b32_e32 v30, 1
	s_and_saveexec_b64 s[0:1], vcc
	s_cbranch_execz .LBB5_59
; %bb.56:
	v_and_b32_e32 v29, -8, v28
	v_sub_u32_e32 v29, 0, v29
	s_mov_b64 s[2:3], 8
	s_mov_b32 s10, 36
	s_mov_b64 s[8:9], 0
.LBB5_57:                               ; =>This Inner Loop Header: Depth=1
	s_add_i32 s11, s2, -7
	s_cmp_eq_u32 s11, 1
	s_cselect_b64 vcc, -1, 0
	s_cmp_eq_u32 s11, 2
	v_cndmask_b32_e32 v30, v8, v9, vcc
	s_cselect_b64 vcc, -1, 0
	s_cmp_eq_u32 s11, 3
	v_cndmask_b32_e32 v30, v30, v10, vcc
	;; [unrolled: 3-line block ×4, first 2 shown]
	s_cselect_b64 vcc, -1, 0
	v_mov_b32_e32 v33, s10
	v_cndmask_b32_e32 v32, v30, v13, vcc
	ds_read2_b32 v[30:31], v33 offset1:1
	s_add_i32 s11, s2, -6
	s_cmp_eq_u32 s11, 1
	s_cselect_b64 vcc, -1, 0
	s_cmp_eq_u32 s11, 2
	s_waitcnt lgkmcnt(0)
	v_fmac_f32_e32 v27, v32, v30
	v_cndmask_b32_e32 v30, v8, v9, vcc
	s_cselect_b64 vcc, -1, 0
	s_cmp_eq_u32 s11, 3
	v_cndmask_b32_e32 v30, v30, v10, vcc
	s_cselect_b64 vcc, -1, 0
	s_cmp_eq_u32 s11, 4
	v_cndmask_b32_e32 v30, v30, v11, vcc
	s_cselect_b64 vcc, -1, 0
	s_cmp_eq_u32 s11, 5
	v_cndmask_b32_e32 v30, v30, v12, vcc
	s_cselect_b64 vcc, -1, 0
	s_add_i32 s11, s2, -5
	s_cmp_eq_u32 s11, 1
	v_cndmask_b32_e32 v30, v30, v13, vcc
	s_cselect_b64 vcc, -1, 0
	s_cmp_eq_u32 s11, 2
	v_fmac_f32_e32 v27, v30, v31
	v_cndmask_b32_e32 v30, v8, v9, vcc
	s_cselect_b64 vcc, -1, 0
	s_cmp_eq_u32 s11, 3
	v_cndmask_b32_e32 v30, v30, v10, vcc
	s_cselect_b64 vcc, -1, 0
	s_cmp_eq_u32 s11, 4
	v_cndmask_b32_e32 v30, v30, v11, vcc
	s_cselect_b64 vcc, -1, 0
	s_cmp_eq_u32 s11, 5
	v_cndmask_b32_e32 v30, v30, v12, vcc
	s_cselect_b64 vcc, -1, 0
	v_cndmask_b32_e32 v32, v30, v13, vcc
	ds_read2_b32 v[30:31], v33 offset0:2 offset1:3
	s_add_i32 s11, s2, -4
	s_cmp_eq_u32 s11, 1
	s_cselect_b64 vcc, -1, 0
	s_cmp_eq_u32 s11, 2
	s_waitcnt lgkmcnt(0)
	v_fmac_f32_e32 v27, v32, v30
	v_cndmask_b32_e32 v30, v8, v9, vcc
	s_cselect_b64 vcc, -1, 0
	s_cmp_eq_u32 s11, 3
	v_cndmask_b32_e32 v30, v30, v10, vcc
	s_cselect_b64 vcc, -1, 0
	s_cmp_eq_u32 s11, 4
	v_cndmask_b32_e32 v30, v30, v11, vcc
	s_cselect_b64 vcc, -1, 0
	s_cmp_eq_u32 s11, 5
	v_cndmask_b32_e32 v30, v30, v12, vcc
	s_cselect_b64 vcc, -1, 0
	s_add_i32 s11, s2, -3
	s_cmp_eq_u32 s11, 1
	v_cndmask_b32_e32 v30, v30, v13, vcc
	s_cselect_b64 vcc, -1, 0
	s_cmp_eq_u32 s11, 2
	v_fmac_f32_e32 v27, v30, v31
	v_cndmask_b32_e32 v30, v8, v9, vcc
	s_cselect_b64 vcc, -1, 0
	s_cmp_eq_u32 s11, 3
	v_cndmask_b32_e32 v30, v30, v10, vcc
	s_cselect_b64 vcc, -1, 0
	s_cmp_eq_u32 s11, 4
	v_cndmask_b32_e32 v30, v30, v11, vcc
	s_cselect_b64 vcc, -1, 0
	s_cmp_eq_u32 s11, 5
	v_cndmask_b32_e32 v30, v30, v12, vcc
	s_cselect_b64 vcc, -1, 0
	v_cndmask_b32_e32 v32, v30, v13, vcc
	ds_read2_b32 v[30:31], v33 offset0:4 offset1:5
	;; [unrolled: 36-line block ×3, first 2 shown]
	s_cmp_eq_u32 s2, 1
	s_cselect_b64 vcc, -1, 0
	s_cmp_eq_u32 s2, 2
	s_waitcnt lgkmcnt(0)
	v_fmac_f32_e32 v27, v32, v30
	v_cndmask_b32_e32 v30, v8, v9, vcc
	s_cselect_b64 vcc, -1, 0
	s_cmp_eq_u32 s2, 3
	v_cndmask_b32_e32 v30, v30, v10, vcc
	s_cselect_b64 vcc, -1, 0
	s_cmp_eq_u32 s2, 4
	;; [unrolled: 3-line block ×3, first 2 shown]
	v_cndmask_b32_e32 v30, v30, v12, vcc
	s_cselect_b64 vcc, -1, 0
	v_cndmask_b32_e32 v30, v30, v13, vcc
	s_add_u32 s2, s2, 8
	v_fmac_f32_e32 v27, v30, v31
	v_add_u32_e32 v30, s2, v29
	s_addc_u32 s3, s3, 0
	s_add_i32 s10, s10, 32
	v_cmp_eq_u32_e32 vcc, 8, v30
	s_add_i32 s11, s2, -7
	s_or_b64 s[8:9], vcc, s[8:9]
	v_mov_b32_e32 v30, s11
	s_andn2_b64 exec, exec, s[8:9]
	s_cbranch_execnz .LBB5_57
; %bb.58:
	s_or_b64 exec, exec, s[8:9]
.LBB5_59:
	s_or_b64 exec, exec, s[0:1]
	v_and_b32_e32 v28, 7, v28
	v_cmp_ne_u32_e32 vcc, 0, v28
	s_and_saveexec_b64 s[2:3], vcc
	s_cbranch_execz .LBB5_63
; %bb.60:
	v_lshl_add_u32 v29, v30, 2, 32
	v_mov_b32_e32 v31, 0
	s_mov_b64 s[8:9], 0
.LBB5_61:                               ; =>This Inner Loop Header: Depth=1
	v_cmp_eq_u32_e32 vcc, 1, v30
	v_cndmask_b32_e32 v32, v8, v9, vcc
	ds_read_b32 v33, v29
	v_add_u32_e32 v28, -1, v28
	v_cmp_eq_u32_e32 vcc, 2, v30
	v_cndmask_b32_e32 v32, v32, v10, vcc
	v_cmp_eq_u32_e32 vcc, 0, v28
	v_cmp_eq_u32_e64 s[0:1], 3, v30
	v_cndmask_b32_e64 v32, v32, v11, s[0:1]
	s_or_b64 s[8:9], vcc, s[8:9]
	v_cmp_eq_u32_e32 vcc, 4, v30
	v_cndmask_b32_e32 v32, v32, v12, vcc
	v_cmp_eq_u32_e32 vcc, 5, v30
	v_add_co_u32_e64 v30, s[0:1], 1, v30
	v_cndmask_b32_e32 v32, v32, v13, vcc
	v_add_u32_e32 v29, 4, v29
	v_addc_co_u32_e64 v31, s[0:1], 0, v31, s[0:1]
	s_waitcnt lgkmcnt(0)
	v_fmac_f32_e32 v27, v32, v33
	s_andn2_b64 exec, exec, s[8:9]
	s_cbranch_execnz .LBB5_61
; %bb.62:
	s_or_b64 exec, exec, s[8:9]
.LBB5_63:
	s_or_b64 exec, exec, s[2:3]
.LBB5_64:
	s_or_b64 exec, exec, s[6:7]
	v_mov_b32_e32 v8, 0
	ds_read_b32 v8, v8
	s_waitcnt lgkmcnt(0)
	v_mul_f32_e32 v8, v27, v8
.LBB5_65:
	s_or_b64 exec, exec, s[4:5]
	s_branch .LBB5_107
.LBB5_66:
	v_cmp_eq_u32_e64 s[2:3], 0, v0
	s_waitcnt vmcnt(4)
	ds_write_b32 v26, v3
	s_waitcnt lgkmcnt(0)
	; wave barrier
	s_and_saveexec_b64 s[0:1], s[2:3]
	s_cbranch_execz .LBB5_72
; %bb.67:
	s_and_b64 vcc, exec, s[14:15]
	s_cbranch_vccz .LBB5_69
; %bb.68:
	v_cmp_eq_u32_e32 vcc, 1, v0
	v_cndmask_b32_e32 v3, v2, v3, vcc
	v_cmp_eq_u32_e32 vcc, 2, v0
	ds_read_b32 v8, v26
	s_waitcnt vmcnt(3)
	v_cndmask_b32_e32 v3, v3, v4, vcc
	v_cmp_eq_u32_e32 vcc, 3, v0
	s_waitcnt vmcnt(2)
	v_cndmask_b32_e32 v3, v3, v5, vcc
	v_cmp_eq_u32_e32 vcc, 4, v0
	;; [unrolled: 3-line block ×3, first 2 shown]
	s_waitcnt vmcnt(0)
	v_cndmask_b32_e32 v3, v3, v7, vcc
	s_waitcnt lgkmcnt(0)
	v_mul_f32_e32 v3, v3, v8
	s_cbranch_execz .LBB5_70
	s_branch .LBB5_71
.LBB5_69:
                                        ; implicit-def: $vgpr3
.LBB5_70:
	ds_read_b32 v3, v26
.LBB5_71:
	v_mov_b32_e32 v8, 0
	ds_read_b32 v8, v8 offset:4
	s_waitcnt lgkmcnt(0)
	v_mul_f32_e32 v3, v3, v8
.LBB5_72:
	s_or_b64 exec, exec, s[0:1]
	v_cndmask_b32_e64 v8, 0, 1, s[14:15]
	v_cmp_gt_u32_e32 vcc, 2, v0
	v_cmp_ne_u32_e64 s[0:1], 1, v8
	s_waitcnt vmcnt(3)
	ds_write_b32 v26, v4
	s_waitcnt lgkmcnt(0)
	; wave barrier
	s_and_saveexec_b64 s[4:5], vcc
	s_cbranch_execz .LBB5_78
; %bb.73:
	s_and_b64 vcc, exec, s[0:1]
	s_cbranch_vccnz .LBB5_75
; %bb.74:
	v_cmp_eq_u32_e32 vcc, 1, v0
	v_cndmask_b32_e32 v8, v2, v3, vcc
	v_cmp_eq_u32_e32 vcc, 2, v0
	v_cndmask_b32_e32 v4, v8, v4, vcc
	ds_read_b32 v8, v26
	v_cmp_eq_u32_e32 vcc, 3, v0
	s_waitcnt vmcnt(2)
	v_cndmask_b32_e32 v4, v4, v5, vcc
	v_cmp_eq_u32_e32 vcc, 4, v0
	s_waitcnt vmcnt(1)
	v_cndmask_b32_e32 v4, v4, v6, vcc
	;; [unrolled: 3-line block ×3, first 2 shown]
	s_waitcnt lgkmcnt(0)
	v_mul_f32_e32 v4, v4, v8
	s_cbranch_execz .LBB5_76
	s_branch .LBB5_77
.LBB5_75:
                                        ; implicit-def: $vgpr4
.LBB5_76:
	ds_read_b32 v4, v26
.LBB5_77:
	v_mov_b32_e32 v8, 0
	ds_read2_b32 v[8:9], v8 offset0:2 offset1:9
	s_waitcnt lgkmcnt(0)
	v_fma_f32 v9, v3, v9, v4
	v_cndmask_b32_e64 v4, v4, v9, s[2:3]
	v_mul_f32_e32 v4, v4, v8
.LBB5_78:
	s_or_b64 exec, exec, s[4:5]
	v_cmp_gt_u32_e32 vcc, 3, v0
	s_waitcnt vmcnt(2)
	ds_write_b32 v26, v5
	s_waitcnt lgkmcnt(0)
	; wave barrier
	s_and_saveexec_b64 s[4:5], vcc
	s_cbranch_execz .LBB5_86
; %bb.79:
	s_and_b64 vcc, exec, s[0:1]
	s_cbranch_vccnz .LBB5_81
; %bb.80:
	v_cmp_eq_u32_e32 vcc, 1, v0
	v_cndmask_b32_e32 v8, v2, v3, vcc
	v_cmp_eq_u32_e32 vcc, 2, v0
	ds_read_b32 v9, v26
	v_cndmask_b32_e32 v8, v8, v4, vcc
	v_cmp_eq_u32_e32 vcc, 3, v0
	v_cndmask_b32_e32 v8, v8, v5, vcc
	v_cmp_eq_u32_e32 vcc, 4, v0
	s_waitcnt vmcnt(1)
	v_cndmask_b32_e32 v8, v8, v6, vcc
	v_cmp_eq_u32_e32 vcc, 5, v0
	s_waitcnt vmcnt(0)
	v_cndmask_b32_e32 v8, v8, v7, vcc
	s_waitcnt lgkmcnt(0)
	v_mul_f32_e32 v8, v8, v9
	s_cbranch_execz .LBB5_82
	s_branch .LBB5_83
.LBB5_81:
                                        ; implicit-def: $vgpr8
.LBB5_82:
	ds_read_b32 v8, v26
.LBB5_83:
	v_cmp_ne_u32_e32 vcc, 2, v0
	s_and_saveexec_b64 s[6:7], vcc
	s_cbranch_execz .LBB5_85
; %bb.84:
	v_add_u32_e32 v9, 1, v0
	v_cmp_eq_u32_e32 vcc, 1, v9
	v_cndmask_b32_e32 v10, v2, v3, vcc
	v_cmp_eq_u32_e32 vcc, 2, v9
	v_cndmask_b32_e32 v10, v10, v4, vcc
	;; [unrolled: 2-line block ×3, first 2 shown]
	v_mov_b32_e32 v10, 0
	ds_read_b32 v11, v26 offset:4
	ds_read_b32 v10, v10 offset:40
	v_cmp_eq_u32_e32 vcc, 4, v9
	s_waitcnt vmcnt(1)
	v_cndmask_b32_e32 v5, v5, v6, vcc
	v_cmp_eq_u32_e32 vcc, 5, v9
	s_waitcnt vmcnt(0)
	v_cndmask_b32_e32 v5, v5, v7, vcc
	s_waitcnt lgkmcnt(1)
	v_fmac_f32_e32 v8, v5, v11
	s_waitcnt lgkmcnt(0)
	v_fma_f32 v5, v4, v10, v8
	v_cndmask_b32_e64 v8, v8, v5, s[2:3]
.LBB5_85:
	s_or_b64 exec, exec, s[6:7]
	v_mov_b32_e32 v5, 0
	ds_read_b32 v5, v5 offset:12
	s_waitcnt lgkmcnt(0)
	v_mul_f32_e32 v5, v8, v5
.LBB5_86:
	s_or_b64 exec, exec, s[4:5]
	v_cmp_gt_u32_e64 s[2:3], 4, v0
	s_waitcnt vmcnt(1)
	ds_write_b32 v26, v6
	s_waitcnt lgkmcnt(0)
	; wave barrier
	s_and_saveexec_b64 s[6:7], s[2:3]
	s_cbranch_execz .LBB5_96
; %bb.87:
	s_and_b64 vcc, exec, s[0:1]
	s_cbranch_vccnz .LBB5_89
; %bb.88:
	v_cmp_eq_u32_e32 vcc, 1, v0
	v_cndmask_b32_e32 v8, v2, v3, vcc
	v_cmp_eq_u32_e32 vcc, 2, v0
	ds_read_b32 v9, v26
	v_cndmask_b32_e32 v8, v8, v4, vcc
	v_cmp_eq_u32_e32 vcc, 3, v0
	v_cndmask_b32_e32 v8, v8, v5, vcc
	v_cmp_eq_u32_e32 vcc, 4, v0
	;; [unrolled: 2-line block ×3, first 2 shown]
	s_waitcnt vmcnt(0)
	v_cndmask_b32_e32 v8, v8, v7, vcc
	s_waitcnt lgkmcnt(0)
	v_mul_f32_e32 v10, v8, v9
	s_cbranch_execz .LBB5_90
	s_branch .LBB5_91
.LBB5_89:
                                        ; implicit-def: $vgpr10
.LBB5_90:
	ds_read_b32 v10, v26
.LBB5_91:
	v_cmp_ne_u32_e32 vcc, 3, v0
	s_and_saveexec_b64 s[8:9], vcc
	s_cbranch_execz .LBB5_95
; %bb.92:
	v_mov_b32_e32 v9, v1
	v_lshl_add_u32 v11, v0, 2, 36
	s_mov_b64 s[10:11], 0
	v_mov_b32_e32 v8, v0
.LBB5_93:                               ; =>This Inner Loop Header: Depth=1
	v_add_co_u32_e32 v8, vcc, 1, v8
	v_addc_co_u32_e32 v9, vcc, 0, v9, vcc
	v_cmp_eq_u32_e32 vcc, 1, v8
	ds_read_b32 v12, v11
	v_cndmask_b32_e32 v13, v2, v3, vcc
	v_cmp_lt_u32_e32 vcc, 2, v8
	v_cmp_eq_u32_e64 s[4:5], 2, v8
	v_cndmask_b32_e64 v13, v13, v4, s[4:5]
	s_or_b64 s[10:11], vcc, s[10:11]
	v_cmp_eq_u32_e32 vcc, 3, v8
	v_cndmask_b32_e32 v13, v13, v5, vcc
	v_cmp_eq_u32_e32 vcc, 4, v8
	v_cndmask_b32_e32 v13, v13, v6, vcc
	v_cmp_eq_u32_e32 vcc, 5, v8
	s_waitcnt vmcnt(0)
	v_cndmask_b32_e32 v13, v13, v7, vcc
	v_add_u32_e32 v11, 4, v11
	s_waitcnt lgkmcnt(0)
	v_fmac_f32_e32 v10, v13, v12
	s_andn2_b64 exec, exec, s[10:11]
	s_cbranch_execnz .LBB5_93
; %bb.94:
	s_or_b64 exec, exec, s[10:11]
.LBB5_95:
	s_or_b64 exec, exec, s[8:9]
	v_mov_b32_e32 v6, 0
	ds_read_b32 v6, v6 offset:16
	s_waitcnt lgkmcnt(0)
	v_mul_f32_e32 v6, v10, v6
.LBB5_96:
	s_or_b64 exec, exec, s[6:7]
	v_cmp_ne_u32_e32 vcc, 5, v0
	s_waitcnt vmcnt(0)
	ds_write_b32 v26, v7
	s_waitcnt lgkmcnt(0)
	; wave barrier
	s_and_saveexec_b64 s[4:5], vcc
	s_cbranch_execz .LBB5_106
; %bb.97:
	s_and_b64 vcc, exec, s[0:1]
	s_cbranch_vccnz .LBB5_99
; %bb.98:
	v_cmp_eq_u32_e32 vcc, 1, v0
	v_cndmask_b32_e32 v8, v2, v3, vcc
	v_cmp_eq_u32_e32 vcc, 2, v0
	ds_read_b32 v9, v26
	v_cndmask_b32_e32 v8, v8, v4, vcc
	v_cmp_eq_u32_e32 vcc, 3, v0
	v_cndmask_b32_e32 v8, v8, v5, vcc
	v_cmp_eq_u32_e32 vcc, 4, v0
	;; [unrolled: 2-line block ×3, first 2 shown]
	v_cndmask_b32_e32 v8, v8, v7, vcc
	s_waitcnt lgkmcnt(0)
	v_mul_f32_e32 v8, v8, v9
	s_cbranch_execz .LBB5_100
	s_branch .LBB5_101
.LBB5_99:
                                        ; implicit-def: $vgpr8
.LBB5_100:
	ds_read_b32 v8, v26
.LBB5_101:
	s_and_saveexec_b64 s[6:7], s[2:3]
	s_cbranch_execz .LBB5_105
; %bb.102:
	v_lshl_add_u32 v9, v0, 2, 36
	s_mov_b64 s[2:3], 0
.LBB5_103:                              ; =>This Inner Loop Header: Depth=1
	v_add_co_u32_e32 v0, vcc, 1, v0
	v_addc_co_u32_e32 v1, vcc, 0, v1, vcc
	v_cmp_eq_u32_e32 vcc, 1, v0
	ds_read_b32 v10, v9
	v_cndmask_b32_e32 v11, v2, v3, vcc
	v_cmp_lt_u32_e32 vcc, 3, v0
	v_cmp_eq_u32_e64 s[0:1], 2, v0
	v_cndmask_b32_e64 v11, v11, v4, s[0:1]
	s_or_b64 s[2:3], vcc, s[2:3]
	v_cmp_eq_u32_e32 vcc, 3, v0
	v_cndmask_b32_e32 v11, v11, v5, vcc
	v_cmp_eq_u32_e32 vcc, 4, v0
	v_cndmask_b32_e32 v11, v11, v6, vcc
	;; [unrolled: 2-line block ×3, first 2 shown]
	v_add_u32_e32 v9, 4, v9
	s_waitcnt lgkmcnt(0)
	v_fmac_f32_e32 v8, v11, v10
	s_andn2_b64 exec, exec, s[2:3]
	s_cbranch_execnz .LBB5_103
; %bb.104:
	s_or_b64 exec, exec, s[2:3]
.LBB5_105:
	s_or_b64 exec, exec, s[6:7]
	v_mov_b32_e32 v0, 0
	ds_read_b32 v0, v0 offset:20
	s_waitcnt lgkmcnt(0)
	v_mul_f32_e32 v7, v8, v0
.LBB5_106:
	s_or_b64 exec, exec, s[4:5]
	v_mov_b32_e32 v13, v7
	v_mov_b32_e32 v12, v6
	;; [unrolled: 1-line block ×6, first 2 shown]
.LBB5_107:
	global_store_dword v[14:15], v8, off
	global_store_dword v[16:17], v9, off
	global_store_dword v[18:19], v10, off
	global_store_dword v[20:21], v11, off
	global_store_dword v[22:23], v12, off
	global_store_dword v[24:25], v13, off
.LBB5_108:
	s_endpgm
	.section	.rodata,"a",@progbits
	.p2align	6, 0x0
	.amdhsa_kernel _ZN9rocsolver6v33100L18trti2_kernel_smallILi6EfPfEEv13rocblas_fill_17rocblas_diagonal_T1_iil
		.amdhsa_group_segment_fixed_size 56
		.amdhsa_private_segment_fixed_size 0
		.amdhsa_kernarg_size 32
		.amdhsa_user_sgpr_count 6
		.amdhsa_user_sgpr_private_segment_buffer 1
		.amdhsa_user_sgpr_dispatch_ptr 0
		.amdhsa_user_sgpr_queue_ptr 0
		.amdhsa_user_sgpr_kernarg_segment_ptr 1
		.amdhsa_user_sgpr_dispatch_id 0
		.amdhsa_user_sgpr_flat_scratch_init 0
		.amdhsa_user_sgpr_private_segment_size 0
		.amdhsa_uses_dynamic_stack 0
		.amdhsa_system_sgpr_private_segment_wavefront_offset 0
		.amdhsa_system_sgpr_workgroup_id_x 1
		.amdhsa_system_sgpr_workgroup_id_y 0
		.amdhsa_system_sgpr_workgroup_id_z 0
		.amdhsa_system_sgpr_workgroup_info 0
		.amdhsa_system_vgpr_workitem_id 0
		.amdhsa_next_free_vgpr 36
		.amdhsa_next_free_sgpr 20
		.amdhsa_reserve_vcc 1
		.amdhsa_reserve_flat_scratch 0
		.amdhsa_float_round_mode_32 0
		.amdhsa_float_round_mode_16_64 0
		.amdhsa_float_denorm_mode_32 3
		.amdhsa_float_denorm_mode_16_64 3
		.amdhsa_dx10_clamp 1
		.amdhsa_ieee_mode 1
		.amdhsa_fp16_overflow 0
		.amdhsa_exception_fp_ieee_invalid_op 0
		.amdhsa_exception_fp_denorm_src 0
		.amdhsa_exception_fp_ieee_div_zero 0
		.amdhsa_exception_fp_ieee_overflow 0
		.amdhsa_exception_fp_ieee_underflow 0
		.amdhsa_exception_fp_ieee_inexact 0
		.amdhsa_exception_int_div_zero 0
	.end_amdhsa_kernel
	.section	.text._ZN9rocsolver6v33100L18trti2_kernel_smallILi6EfPfEEv13rocblas_fill_17rocblas_diagonal_T1_iil,"axG",@progbits,_ZN9rocsolver6v33100L18trti2_kernel_smallILi6EfPfEEv13rocblas_fill_17rocblas_diagonal_T1_iil,comdat
.Lfunc_end5:
	.size	_ZN9rocsolver6v33100L18trti2_kernel_smallILi6EfPfEEv13rocblas_fill_17rocblas_diagonal_T1_iil, .Lfunc_end5-_ZN9rocsolver6v33100L18trti2_kernel_smallILi6EfPfEEv13rocblas_fill_17rocblas_diagonal_T1_iil
                                        ; -- End function
	.set _ZN9rocsolver6v33100L18trti2_kernel_smallILi6EfPfEEv13rocblas_fill_17rocblas_diagonal_T1_iil.num_vgpr, 36
	.set _ZN9rocsolver6v33100L18trti2_kernel_smallILi6EfPfEEv13rocblas_fill_17rocblas_diagonal_T1_iil.num_agpr, 0
	.set _ZN9rocsolver6v33100L18trti2_kernel_smallILi6EfPfEEv13rocblas_fill_17rocblas_diagonal_T1_iil.numbered_sgpr, 20
	.set _ZN9rocsolver6v33100L18trti2_kernel_smallILi6EfPfEEv13rocblas_fill_17rocblas_diagonal_T1_iil.num_named_barrier, 0
	.set _ZN9rocsolver6v33100L18trti2_kernel_smallILi6EfPfEEv13rocblas_fill_17rocblas_diagonal_T1_iil.private_seg_size, 0
	.set _ZN9rocsolver6v33100L18trti2_kernel_smallILi6EfPfEEv13rocblas_fill_17rocblas_diagonal_T1_iil.uses_vcc, 1
	.set _ZN9rocsolver6v33100L18trti2_kernel_smallILi6EfPfEEv13rocblas_fill_17rocblas_diagonal_T1_iil.uses_flat_scratch, 0
	.set _ZN9rocsolver6v33100L18trti2_kernel_smallILi6EfPfEEv13rocblas_fill_17rocblas_diagonal_T1_iil.has_dyn_sized_stack, 0
	.set _ZN9rocsolver6v33100L18trti2_kernel_smallILi6EfPfEEv13rocblas_fill_17rocblas_diagonal_T1_iil.has_recursion, 0
	.set _ZN9rocsolver6v33100L18trti2_kernel_smallILi6EfPfEEv13rocblas_fill_17rocblas_diagonal_T1_iil.has_indirect_call, 0
	.section	.AMDGPU.csdata,"",@progbits
; Kernel info:
; codeLenInByte = 4984
; TotalNumSgprs: 24
; NumVgprs: 36
; ScratchSize: 0
; MemoryBound: 0
; FloatMode: 240
; IeeeMode: 1
; LDSByteSize: 56 bytes/workgroup (compile time only)
; SGPRBlocks: 2
; VGPRBlocks: 8
; NumSGPRsForWavesPerEU: 24
; NumVGPRsForWavesPerEU: 36
; Occupancy: 7
; WaveLimiterHint : 0
; COMPUTE_PGM_RSRC2:SCRATCH_EN: 0
; COMPUTE_PGM_RSRC2:USER_SGPR: 6
; COMPUTE_PGM_RSRC2:TRAP_HANDLER: 0
; COMPUTE_PGM_RSRC2:TGID_X_EN: 1
; COMPUTE_PGM_RSRC2:TGID_Y_EN: 0
; COMPUTE_PGM_RSRC2:TGID_Z_EN: 0
; COMPUTE_PGM_RSRC2:TIDIG_COMP_CNT: 0
	.section	.text._ZN9rocsolver6v33100L18trti2_kernel_smallILi7EfPfEEv13rocblas_fill_17rocblas_diagonal_T1_iil,"axG",@progbits,_ZN9rocsolver6v33100L18trti2_kernel_smallILi7EfPfEEv13rocblas_fill_17rocblas_diagonal_T1_iil,comdat
	.globl	_ZN9rocsolver6v33100L18trti2_kernel_smallILi7EfPfEEv13rocblas_fill_17rocblas_diagonal_T1_iil ; -- Begin function _ZN9rocsolver6v33100L18trti2_kernel_smallILi7EfPfEEv13rocblas_fill_17rocblas_diagonal_T1_iil
	.p2align	8
	.type	_ZN9rocsolver6v33100L18trti2_kernel_smallILi7EfPfEEv13rocblas_fill_17rocblas_diagonal_T1_iil,@function
_ZN9rocsolver6v33100L18trti2_kernel_smallILi7EfPfEEv13rocblas_fill_17rocblas_diagonal_T1_iil: ; @_ZN9rocsolver6v33100L18trti2_kernel_smallILi7EfPfEEv13rocblas_fill_17rocblas_diagonal_T1_iil
; %bb.0:
	v_cmp_gt_u32_e32 vcc, 7, v0
	s_and_saveexec_b64 s[0:1], vcc
	s_cbranch_execz .LBB6_134
; %bb.1:
	s_load_dwordx8 s[16:23], s[4:5], 0x0
	s_ashr_i32 s2, s6, 31
	v_lshlrev_b32_e32 v9, 2, v0
	v_mov_b32_e32 v10, -1.0
	s_waitcnt lgkmcnt(0)
	s_mul_hi_u32 s3, s22, s6
	s_mul_i32 s2, s22, s2
	s_add_i32 s2, s3, s2
	s_mul_i32 s3, s23, s6
	s_add_i32 s3, s2, s3
	s_mul_i32 s2, s22, s6
	s_ashr_i32 s1, s20, 31
	s_lshl_b64 s[2:3], s[2:3], 2
	s_mov_b32 s0, s20
	s_add_u32 s2, s18, s2
	s_addc_u32 s3, s19, s3
	s_lshl_b64 s[0:1], s[0:1], 2
	s_add_u32 s0, s2, s0
	s_addc_u32 s1, s3, s1
	v_mov_b32_e32 v1, s1
	v_add_co_u32_e32 v16, vcc, s0, v9
	s_ashr_i32 s3, s21, 31
	s_mov_b32 s2, s21
	v_addc_co_u32_e32 v17, vcc, 0, v1, vcc
	s_lshl_b64 s[2:3], s[2:3], 2
	v_mov_b32_e32 v1, s3
	v_add_co_u32_e32 v18, vcc, s2, v16
	s_add_i32 s2, s21, s21
	v_addc_co_u32_e32 v19, vcc, v17, v1, vcc
	v_add_u32_e32 v1, s2, v0
	v_ashrrev_i32_e32 v2, 31, v1
	v_lshlrev_b64 v[2:3], 2, v[1:2]
	v_add_u32_e32 v1, s21, v1
	v_mov_b32_e32 v4, s1
	v_add_co_u32_e32 v20, vcc, s0, v2
	v_ashrrev_i32_e32 v2, 31, v1
	v_addc_co_u32_e32 v21, vcc, v4, v3, vcc
	v_lshlrev_b64 v[2:3], 2, v[1:2]
	v_add_u32_e32 v1, s21, v1
	v_add_co_u32_e32 v22, vcc, s0, v2
	v_ashrrev_i32_e32 v2, 31, v1
	v_addc_co_u32_e32 v23, vcc, v4, v3, vcc
	v_lshlrev_b64 v[2:3], 2, v[1:2]
	v_add_u32_e32 v1, s21, v1
	;; [unrolled: 5-line block ×3, first 2 shown]
	v_add_co_u32_e32 v26, vcc, s0, v2
	v_ashrrev_i32_e32 v2, 31, v1
	v_lshlrev_b64 v[1:2], 2, v[1:2]
	v_addc_co_u32_e32 v27, vcc, v4, v3, vcc
	v_mov_b32_e32 v3, s1
	v_add_co_u32_e32 v28, vcc, s0, v1
	v_addc_co_u32_e32 v29, vcc, v3, v2, vcc
	global_load_dword v2, v9, s[0:1]
	global_load_dword v3, v[18:19], off
	global_load_dword v4, v[20:21], off
	;; [unrolled: 1-line block ×6, first 2 shown]
	s_cmpk_lg_i32 s17, 0x84
	v_mov_b32_e32 v1, 0
	s_cselect_b64 s[14:15], -1, 0
	s_cmpk_eq_i32 s17, 0x84
	v_cmp_eq_u32_e64 s[0:1], 0, v0
	s_cbranch_scc1 .LBB6_3
; %bb.2:
	v_cmp_eq_u32_e64 s[2:3], 1, v0
	s_waitcnt vmcnt(5)
	v_cndmask_b32_e64 v10, v2, v3, s[2:3]
	v_cmp_eq_u32_e64 s[4:5], 2, v0
	s_waitcnt vmcnt(4)
	v_cndmask_b32_e64 v10, v10, v4, s[4:5]
	;; [unrolled: 3-line block ×6, first 2 shown]
	v_div_scale_f32 v11, s[18:19], v10, v10, 1.0
	v_div_scale_f32 v12, vcc, 1.0, v10, 1.0
	v_rcp_f32_e32 v13, v11
	v_fma_f32 v14, -v11, v13, 1.0
	v_fmac_f32_e32 v13, v14, v13
	v_mul_f32_e32 v14, v12, v13
	v_fma_f32 v15, -v11, v14, v12
	v_fmac_f32_e32 v14, v15, v13
	v_fma_f32 v11, -v11, v14, v12
	v_div_fmas_f32 v11, v11, v13, v14
	v_div_fixup_f32 v10, v11, v10, 1.0
	v_cndmask_b32_e64 v8, v8, v10, s[12:13]
	v_cndmask_b32_e64 v7, v7, v10, s[10:11]
	;; [unrolled: 1-line block ×7, first 2 shown]
	v_xor_b32_e32 v10, 0x80000000, v10
.LBB6_3:
	s_cmpk_eq_i32 s16, 0x79
	v_add_u32_e32 v30, 32, v9
	ds_write_b32 v9, v10
	s_cbranch_scc1 .LBB6_7
; %bb.4:
	s_waitcnt vmcnt(0)
	v_mov_b32_e32 v15, v8
	v_cmp_eq_u32_e64 s[2:3], 6, v0
	v_mov_b32_e32 v14, v7
	v_mov_b32_e32 v13, v6
	;; [unrolled: 1-line block ×6, first 2 shown]
	ds_write_b32 v30, v7
	s_waitcnt lgkmcnt(0)
	; wave barrier
	s_and_saveexec_b64 s[0:1], s[2:3]
	s_cbranch_execz .LBB6_11
; %bb.5:
	s_and_b64 vcc, exec, s[14:15]
	s_cbranch_vccz .LBB6_8
; %bb.6:
	v_cmp_eq_u32_e32 vcc, 1, v0
	v_cndmask_b32_e32 v9, v2, v3, vcc
	v_cmp_eq_u32_e32 vcc, 2, v0
	v_cndmask_b32_e32 v9, v9, v4, vcc
	v_cmp_eq_u32_e32 vcc, 3, v0
	ds_read_b32 v10, v30
	v_cndmask_b32_e32 v9, v9, v5, vcc
	v_cmp_eq_u32_e32 vcc, 4, v0
	v_cndmask_b32_e32 v9, v9, v6, vcc
	v_cmp_eq_u32_e32 vcc, 5, v0
	;; [unrolled: 2-line block ×3, first 2 shown]
	v_cndmask_b32_e32 v9, v9, v8, vcc
	s_waitcnt lgkmcnt(0)
	v_mul_f32_e32 v9, v9, v10
	s_cbranch_execz .LBB6_9
	s_branch .LBB6_10
.LBB6_7:
                                        ; implicit-def: $vgpr9_vgpr10_vgpr11_vgpr12_vgpr13_vgpr14_vgpr15
	s_cbranch_execnz .LBB6_82
	s_branch .LBB6_133
.LBB6_8:
                                        ; implicit-def: $vgpr9
.LBB6_9:
	ds_read_b32 v9, v30
.LBB6_10:
	v_mov_b32_e32 v10, 0
	ds_read_b32 v10, v10 offset:20
	s_waitcnt lgkmcnt(0)
	v_mul_f32_e32 v31, v9, v10
	v_mov_b32_e32 v15, v8
	v_mov_b32_e32 v14, v7
	;; [unrolled: 1-line block ×8, first 2 shown]
.LBB6_11:
	s_or_b64 exec, exec, s[0:1]
	v_cmp_lt_u32_e64 s[0:1], 4, v0
	ds_write_b32 v30, v13
	s_waitcnt lgkmcnt(0)
	; wave barrier
	s_and_saveexec_b64 s[4:5], s[0:1]
	s_cbranch_execz .LBB6_17
; %bb.12:
	s_andn2_b64 vcc, exec, s[14:15]
	s_cbranch_vccnz .LBB6_14
; %bb.13:
	v_cmp_eq_u32_e32 vcc, 1, v0
	v_cndmask_b32_e32 v31, v9, v10, vcc
	v_cmp_eq_u32_e32 vcc, 2, v0
	v_cndmask_b32_e32 v31, v31, v11, vcc
	v_cmp_eq_u32_e32 vcc, 3, v0
	v_cndmask_b32_e32 v31, v31, v12, vcc
	v_cmp_eq_u32_e32 vcc, 4, v0
	v_cndmask_b32_e32 v13, v31, v13, vcc
	ds_read_b32 v31, v30
	v_cmp_eq_u32_e32 vcc, 5, v0
	v_cndmask_b32_e32 v13, v13, v14, vcc
	v_cmp_eq_u32_e32 vcc, 6, v0
	v_cndmask_b32_e32 v13, v13, v15, vcc
	s_waitcnt lgkmcnt(0)
	v_mul_f32_e32 v13, v13, v31
	s_cbranch_execz .LBB6_15
	s_branch .LBB6_16
.LBB6_14:
                                        ; implicit-def: $vgpr13
.LBB6_15:
	ds_read_b32 v13, v30
.LBB6_16:
	v_mov_b32_e32 v31, 0
	ds_read2_b32 v[31:32], v31 offset0:4 offset1:13
	s_waitcnt lgkmcnt(0)
	v_fma_f32 v32, v14, v32, v13
	v_cndmask_b32_e64 v13, v13, v32, s[2:3]
	v_mul_f32_e32 v13, v13, v31
.LBB6_17:
	s_or_b64 exec, exec, s[4:5]
	v_cmp_lt_u32_e64 s[2:3], 3, v0
	ds_write_b32 v30, v12
	s_waitcnt lgkmcnt(0)
	; wave barrier
	s_and_saveexec_b64 s[4:5], s[2:3]
	s_cbranch_execz .LBB6_33
; %bb.18:
	s_andn2_b64 vcc, exec, s[14:15]
	s_cbranch_vccnz .LBB6_20
; %bb.19:
	v_cmp_eq_u32_e32 vcc, 1, v0
	v_cndmask_b32_e32 v31, v9, v10, vcc
	v_cmp_eq_u32_e32 vcc, 2, v0
	v_cndmask_b32_e32 v31, v31, v11, vcc
	v_cmp_eq_u32_e32 vcc, 3, v0
	ds_read_b32 v32, v30
	v_cndmask_b32_e32 v31, v31, v12, vcc
	v_cmp_eq_u32_e32 vcc, 4, v0
	v_cndmask_b32_e32 v31, v31, v13, vcc
	v_cmp_eq_u32_e32 vcc, 5, v0
	;; [unrolled: 2-line block ×3, first 2 shown]
	v_cndmask_b32_e32 v31, v31, v15, vcc
	s_waitcnt lgkmcnt(0)
	v_mul_f32_e32 v31, v31, v32
	s_cbranch_execz .LBB6_21
	s_branch .LBB6_22
.LBB6_20:
                                        ; implicit-def: $vgpr31
.LBB6_21:
	ds_read_b32 v31, v30
.LBB6_22:
	s_and_saveexec_b64 s[6:7], s[0:1]
	s_cbranch_execz .LBB6_32
; %bb.23:
	v_add_u32_e32 v33, -5, v0
	v_add_u32_e32 v32, -4, v0
	v_cmp_lt_u32_e32 vcc, 6, v33
	v_mov_b32_e32 v34, 4
	s_and_saveexec_b64 s[0:1], vcc
	s_cbranch_execz .LBB6_27
; %bb.24:
	v_and_b32_e32 v33, -8, v32
	v_sub_u32_e32 v33, 0, v33
	s_mov_b64 s[8:9], 5
	s_mov_b32 s12, 48
	s_mov_b64 s[10:11], 0
.LBB6_25:                               ; =>This Inner Loop Header: Depth=1
	s_add_i32 s13, s8, -1
	s_cmp_eq_u32 s13, 1
	s_cselect_b64 vcc, -1, 0
	s_cmp_eq_u32 s13, 2
	v_cndmask_b32_e32 v42, v9, v10, vcc
	s_cselect_b64 vcc, -1, 0
	s_cmp_eq_u32 s13, 3
	v_mov_b32_e32 v38, s12
	v_cndmask_b32_e32 v42, v42, v11, vcc
	s_cselect_b64 vcc, -1, 0
	s_cmp_eq_u32 s13, 4
	ds_read_b128 v[34:37], v38
	ds_read_b128 v[38:41], v38 offset:16
	v_cndmask_b32_e32 v42, v42, v12, vcc
	s_cselect_b64 vcc, -1, 0
	s_cmp_eq_u32 s13, 5
	v_cndmask_b32_e32 v42, v42, v13, vcc
	s_cselect_b64 vcc, -1, 0
	s_cmp_eq_u32 s13, 6
	;; [unrolled: 3-line block ×4, first 2 shown]
	s_waitcnt lgkmcnt(1)
	v_fmac_f32_e32 v31, v42, v34
	v_cndmask_b32_e32 v34, v9, v10, vcc
	s_cselect_b64 vcc, -1, 0
	s_cmp_eq_u32 s8, 3
	v_cndmask_b32_e32 v34, v34, v11, vcc
	s_cselect_b64 vcc, -1, 0
	s_cmp_eq_u32 s8, 4
	v_cndmask_b32_e32 v34, v34, v12, vcc
	s_cselect_b64 vcc, -1, 0
	s_cmp_eq_u32 s8, 5
	v_cndmask_b32_e32 v34, v34, v13, vcc
	s_cselect_b64 vcc, -1, 0
	s_cmp_eq_u32 s8, 6
	v_cndmask_b32_e32 v34, v34, v14, vcc
	s_cselect_b64 vcc, -1, 0
	s_add_i32 s13, s8, 1
	s_cmp_eq_u32 s13, 1
	v_cndmask_b32_e32 v34, v34, v15, vcc
	s_cselect_b64 vcc, -1, 0
	s_cmp_eq_u32 s13, 2
	v_fmac_f32_e32 v31, v34, v35
	v_cndmask_b32_e32 v34, v9, v10, vcc
	s_cselect_b64 vcc, -1, 0
	s_cmp_eq_u32 s13, 3
	v_cndmask_b32_e32 v34, v34, v11, vcc
	s_cselect_b64 vcc, -1, 0
	s_cmp_eq_u32 s13, 4
	v_cndmask_b32_e32 v34, v34, v12, vcc
	s_cselect_b64 vcc, -1, 0
	s_cmp_eq_u32 s13, 5
	v_cndmask_b32_e32 v34, v34, v13, vcc
	s_cselect_b64 vcc, -1, 0
	s_cmp_eq_u32 s13, 6
	v_cndmask_b32_e32 v34, v34, v14, vcc
	s_cselect_b64 vcc, -1, 0
	s_add_i32 s13, s8, 2
	s_cmp_eq_u32 s13, 1
	v_cndmask_b32_e32 v34, v34, v15, vcc
	s_cselect_b64 vcc, -1, 0
	s_cmp_eq_u32 s13, 2
	;; [unrolled: 20-line block ×4, first 2 shown]
	s_waitcnt lgkmcnt(0)
	v_fmac_f32_e32 v31, v34, v38
	v_cndmask_b32_e32 v34, v9, v10, vcc
	s_cselect_b64 vcc, -1, 0
	s_cmp_eq_u32 s13, 3
	v_cndmask_b32_e32 v34, v34, v11, vcc
	s_cselect_b64 vcc, -1, 0
	s_cmp_eq_u32 s13, 4
	;; [unrolled: 3-line block ×4, first 2 shown]
	v_cndmask_b32_e32 v34, v34, v14, vcc
	s_cselect_b64 vcc, -1, 0
	s_add_i32 s13, s8, 5
	s_cmp_eq_u32 s13, 1
	v_cndmask_b32_e32 v34, v34, v15, vcc
	s_cselect_b64 vcc, -1, 0
	s_cmp_eq_u32 s13, 2
	v_fmac_f32_e32 v31, v34, v39
	v_cndmask_b32_e32 v34, v9, v10, vcc
	s_cselect_b64 vcc, -1, 0
	s_cmp_eq_u32 s13, 3
	v_cndmask_b32_e32 v34, v34, v11, vcc
	s_cselect_b64 vcc, -1, 0
	s_cmp_eq_u32 s13, 4
	;; [unrolled: 3-line block ×4, first 2 shown]
	v_cndmask_b32_e32 v34, v34, v14, vcc
	s_cselect_b64 vcc, -1, 0
	s_add_i32 s13, s8, 6
	s_cmp_eq_u32 s13, 1
	v_cndmask_b32_e32 v34, v34, v15, vcc
	s_cselect_b64 vcc, -1, 0
	s_cmp_eq_u32 s13, 2
	v_fmac_f32_e32 v31, v34, v40
	v_cndmask_b32_e32 v34, v9, v10, vcc
	s_cselect_b64 vcc, -1, 0
	s_cmp_eq_u32 s13, 3
	v_cndmask_b32_e32 v34, v34, v11, vcc
	s_cselect_b64 vcc, -1, 0
	s_cmp_eq_u32 s13, 4
	;; [unrolled: 3-line block ×4, first 2 shown]
	v_cndmask_b32_e32 v34, v34, v14, vcc
	s_cselect_b64 vcc, -1, 0
	s_add_u32 s8, s8, 8
	v_add_u32_e32 v35, s8, v33
	v_cndmask_b32_e32 v34, v34, v15, vcc
	s_addc_u32 s9, s9, 0
	s_add_i32 s12, s12, 32
	s_add_i32 s13, s8, -1
	v_cmp_eq_u32_e32 vcc, 5, v35
	v_fmac_f32_e32 v31, v34, v41
	s_or_b64 s[10:11], vcc, s[10:11]
	v_mov_b32_e32 v34, s13
	s_andn2_b64 exec, exec, s[10:11]
	s_cbranch_execnz .LBB6_25
; %bb.26:
	s_or_b64 exec, exec, s[10:11]
.LBB6_27:
	s_or_b64 exec, exec, s[0:1]
	v_and_b32_e32 v32, 7, v32
	v_cmp_ne_u32_e32 vcc, 0, v32
	s_and_saveexec_b64 s[8:9], vcc
	s_cbranch_execz .LBB6_31
; %bb.28:
	v_lshl_add_u32 v33, v34, 2, 32
	v_mov_b32_e32 v35, 0
	s_mov_b64 s[10:11], 0
.LBB6_29:                               ; =>This Inner Loop Header: Depth=1
	v_cmp_eq_u32_e32 vcc, 1, v34
	v_cndmask_b32_e32 v36, v9, v10, vcc
	v_add_u32_e32 v32, -1, v32
	v_cmp_eq_u32_e32 vcc, 2, v34
	ds_read_b32 v37, v33
	v_cndmask_b32_e32 v36, v36, v11, vcc
	v_cmp_eq_u32_e32 vcc, 0, v32
	v_cmp_eq_u32_e64 s[0:1], 3, v34
	v_cndmask_b32_e64 v36, v36, v12, s[0:1]
	s_or_b64 s[10:11], vcc, s[10:11]
	v_cmp_eq_u32_e32 vcc, 4, v34
	v_cndmask_b32_e32 v36, v36, v13, vcc
	v_cmp_eq_u32_e32 vcc, 5, v34
	v_cndmask_b32_e32 v36, v36, v14, vcc
	v_cmp_eq_u32_e32 vcc, 6, v34
	v_add_co_u32_e64 v34, s[0:1], 1, v34
	v_cndmask_b32_e32 v36, v36, v15, vcc
	v_add_u32_e32 v33, 4, v33
	v_addc_co_u32_e64 v35, s[0:1], 0, v35, s[0:1]
	s_waitcnt lgkmcnt(0)
	v_fmac_f32_e32 v31, v36, v37
	s_andn2_b64 exec, exec, s[10:11]
	s_cbranch_execnz .LBB6_29
; %bb.30:
	s_or_b64 exec, exec, s[10:11]
.LBB6_31:
	s_or_b64 exec, exec, s[8:9]
.LBB6_32:
	s_or_b64 exec, exec, s[6:7]
	v_mov_b32_e32 v12, 0
	ds_read_b32 v12, v12 offset:12
	s_waitcnt lgkmcnt(0)
	v_mul_f32_e32 v12, v31, v12
.LBB6_33:
	s_or_b64 exec, exec, s[4:5]
	v_cmp_lt_u32_e64 s[0:1], 2, v0
	ds_write_b32 v30, v11
	s_waitcnt lgkmcnt(0)
	; wave barrier
	s_and_saveexec_b64 s[4:5], s[0:1]
	s_cbranch_execz .LBB6_49
; %bb.34:
	s_andn2_b64 vcc, exec, s[14:15]
	s_cbranch_vccnz .LBB6_36
; %bb.35:
	v_cmp_eq_u32_e32 vcc, 1, v0
	v_cndmask_b32_e32 v31, v9, v10, vcc
	v_cmp_eq_u32_e32 vcc, 2, v0
	v_cndmask_b32_e32 v31, v31, v11, vcc
	v_cmp_eq_u32_e32 vcc, 3, v0
	ds_read_b32 v32, v30
	v_cndmask_b32_e32 v31, v31, v12, vcc
	v_cmp_eq_u32_e32 vcc, 4, v0
	v_cndmask_b32_e32 v31, v31, v13, vcc
	v_cmp_eq_u32_e32 vcc, 5, v0
	;; [unrolled: 2-line block ×3, first 2 shown]
	v_cndmask_b32_e32 v31, v31, v15, vcc
	s_waitcnt lgkmcnt(0)
	v_mul_f32_e32 v31, v31, v32
	s_cbranch_execz .LBB6_37
	s_branch .LBB6_38
.LBB6_36:
                                        ; implicit-def: $vgpr31
.LBB6_37:
	ds_read_b32 v31, v30
.LBB6_38:
	s_and_saveexec_b64 s[6:7], s[2:3]
	s_cbranch_execz .LBB6_48
; %bb.39:
	v_add_u32_e32 v33, -4, v0
	v_add_u32_e32 v32, -3, v0
	v_cmp_lt_u32_e32 vcc, 6, v33
	v_mov_b32_e32 v34, 3
	s_and_saveexec_b64 s[2:3], vcc
	s_cbranch_execz .LBB6_43
; %bb.40:
	v_and_b32_e32 v33, -8, v32
	v_sub_u32_e32 v33, 0, v33
	s_mov_b64 s[8:9], 10
	s_mov_b32 s12, 44
	s_mov_b64 s[10:11], 0
.LBB6_41:                               ; =>This Inner Loop Header: Depth=1
	s_add_i32 s13, s8, -7
	s_cmp_eq_u32 s13, 1
	s_cselect_b64 vcc, -1, 0
	s_cmp_eq_u32 s13, 2
	v_cndmask_b32_e32 v42, v9, v10, vcc
	s_cselect_b64 vcc, -1, 0
	s_cmp_eq_u32 s13, 3
	v_cndmask_b32_e32 v42, v42, v11, vcc
	;; [unrolled: 3-line block ×4, first 2 shown]
	s_cselect_b64 vcc, -1, 0
	s_cmp_eq_u32 s13, 6
	v_mov_b32_e32 v40, s12
	v_cndmask_b32_e32 v42, v42, v14, vcc
	s_cselect_b64 vcc, -1, 0
	s_add_i32 s13, s8, -6
	ds_read2_b32 v[34:35], v40 offset1:1
	ds_read2_b32 v[36:37], v40 offset0:2 offset1:3
	ds_read2_b32 v[38:39], v40 offset0:4 offset1:5
	;; [unrolled: 1-line block ×3, first 2 shown]
	s_cmp_eq_u32 s13, 1
	v_cndmask_b32_e32 v42, v42, v15, vcc
	s_cselect_b64 vcc, -1, 0
	s_cmp_eq_u32 s13, 2
	s_waitcnt lgkmcnt(3)
	v_fmac_f32_e32 v31, v42, v34
	v_cndmask_b32_e32 v34, v9, v10, vcc
	s_cselect_b64 vcc, -1, 0
	s_cmp_eq_u32 s13, 3
	v_cndmask_b32_e32 v34, v34, v11, vcc
	s_cselect_b64 vcc, -1, 0
	s_cmp_eq_u32 s13, 4
	;; [unrolled: 3-line block ×4, first 2 shown]
	v_cndmask_b32_e32 v34, v34, v14, vcc
	s_cselect_b64 vcc, -1, 0
	s_add_i32 s13, s8, -5
	s_cmp_eq_u32 s13, 1
	v_cndmask_b32_e32 v34, v34, v15, vcc
	s_cselect_b64 vcc, -1, 0
	s_cmp_eq_u32 s13, 2
	v_fmac_f32_e32 v31, v34, v35
	v_cndmask_b32_e32 v34, v9, v10, vcc
	s_cselect_b64 vcc, -1, 0
	s_cmp_eq_u32 s13, 3
	v_cndmask_b32_e32 v34, v34, v11, vcc
	s_cselect_b64 vcc, -1, 0
	s_cmp_eq_u32 s13, 4
	v_cndmask_b32_e32 v34, v34, v12, vcc
	s_cselect_b64 vcc, -1, 0
	s_cmp_eq_u32 s13, 5
	v_cndmask_b32_e32 v34, v34, v13, vcc
	s_cselect_b64 vcc, -1, 0
	s_cmp_eq_u32 s13, 6
	v_cndmask_b32_e32 v34, v34, v14, vcc
	s_cselect_b64 vcc, -1, 0
	s_add_i32 s13, s8, -4
	s_cmp_eq_u32 s13, 1
	v_cndmask_b32_e32 v34, v34, v15, vcc
	s_cselect_b64 vcc, -1, 0
	s_cmp_eq_u32 s13, 2
	s_waitcnt lgkmcnt(2)
	v_fmac_f32_e32 v31, v34, v36
	v_cndmask_b32_e32 v34, v9, v10, vcc
	s_cselect_b64 vcc, -1, 0
	s_cmp_eq_u32 s13, 3
	v_cndmask_b32_e32 v34, v34, v11, vcc
	s_cselect_b64 vcc, -1, 0
	s_cmp_eq_u32 s13, 4
	;; [unrolled: 3-line block ×4, first 2 shown]
	v_cndmask_b32_e32 v34, v34, v14, vcc
	s_cselect_b64 vcc, -1, 0
	s_add_i32 s13, s8, -3
	s_cmp_eq_u32 s13, 1
	v_cndmask_b32_e32 v34, v34, v15, vcc
	s_cselect_b64 vcc, -1, 0
	s_cmp_eq_u32 s13, 2
	v_fmac_f32_e32 v31, v34, v37
	v_cndmask_b32_e32 v34, v9, v10, vcc
	s_cselect_b64 vcc, -1, 0
	s_cmp_eq_u32 s13, 3
	v_cndmask_b32_e32 v34, v34, v11, vcc
	s_cselect_b64 vcc, -1, 0
	s_cmp_eq_u32 s13, 4
	;; [unrolled: 3-line block ×4, first 2 shown]
	v_cndmask_b32_e32 v34, v34, v14, vcc
	s_cselect_b64 vcc, -1, 0
	s_add_i32 s13, s8, -2
	s_cmp_eq_u32 s13, 1
	v_cndmask_b32_e32 v34, v34, v15, vcc
	s_cselect_b64 vcc, -1, 0
	s_cmp_eq_u32 s13, 2
	s_waitcnt lgkmcnt(1)
	v_fmac_f32_e32 v31, v34, v38
	v_cndmask_b32_e32 v34, v9, v10, vcc
	s_cselect_b64 vcc, -1, 0
	s_cmp_eq_u32 s13, 3
	v_cndmask_b32_e32 v34, v34, v11, vcc
	s_cselect_b64 vcc, -1, 0
	s_cmp_eq_u32 s13, 4
	;; [unrolled: 3-line block ×4, first 2 shown]
	v_cndmask_b32_e32 v34, v34, v14, vcc
	s_cselect_b64 vcc, -1, 0
	s_add_i32 s13, s8, -1
	s_cmp_eq_u32 s13, 1
	v_cndmask_b32_e32 v34, v34, v15, vcc
	s_cselect_b64 vcc, -1, 0
	s_cmp_eq_u32 s13, 2
	v_fmac_f32_e32 v31, v34, v39
	v_cndmask_b32_e32 v34, v9, v10, vcc
	s_cselect_b64 vcc, -1, 0
	s_cmp_eq_u32 s13, 3
	v_cndmask_b32_e32 v34, v34, v11, vcc
	s_cselect_b64 vcc, -1, 0
	s_cmp_eq_u32 s13, 4
	v_cndmask_b32_e32 v34, v34, v12, vcc
	s_cselect_b64 vcc, -1, 0
	s_cmp_eq_u32 s13, 5
	v_cndmask_b32_e32 v34, v34, v13, vcc
	s_cselect_b64 vcc, -1, 0
	s_cmp_eq_u32 s13, 6
	v_cndmask_b32_e32 v34, v34, v14, vcc
	s_cselect_b64 vcc, -1, 0
	s_cmp_eq_u32 s8, 1
	v_cndmask_b32_e32 v34, v34, v15, vcc
	s_cselect_b64 vcc, -1, 0
	s_cmp_eq_u32 s8, 2
	s_waitcnt lgkmcnt(0)
	v_fmac_f32_e32 v31, v34, v40
	v_cndmask_b32_e32 v34, v9, v10, vcc
	s_cselect_b64 vcc, -1, 0
	s_cmp_eq_u32 s8, 3
	v_cndmask_b32_e32 v34, v34, v11, vcc
	s_cselect_b64 vcc, -1, 0
	s_cmp_eq_u32 s8, 4
	;; [unrolled: 3-line block ×4, first 2 shown]
	v_cndmask_b32_e32 v34, v34, v14, vcc
	s_cselect_b64 vcc, -1, 0
	v_cndmask_b32_e32 v34, v34, v15, vcc
	s_add_u32 s8, s8, 8
	v_fmac_f32_e32 v31, v34, v41
	v_add_u32_e32 v34, s8, v33
	s_addc_u32 s9, s9, 0
	s_add_i32 s12, s12, 32
	s_add_i32 s13, s8, -7
	v_cmp_eq_u32_e32 vcc, 10, v34
	s_or_b64 s[10:11], vcc, s[10:11]
	v_mov_b32_e32 v34, s13
	s_andn2_b64 exec, exec, s[10:11]
	s_cbranch_execnz .LBB6_41
; %bb.42:
	s_or_b64 exec, exec, s[10:11]
.LBB6_43:
	s_or_b64 exec, exec, s[2:3]
	v_and_b32_e32 v32, 7, v32
	v_cmp_ne_u32_e32 vcc, 0, v32
	s_and_saveexec_b64 s[8:9], vcc
	s_cbranch_execz .LBB6_47
; %bb.44:
	v_lshl_add_u32 v33, v34, 2, 32
	v_mov_b32_e32 v35, 0
	s_mov_b64 s[10:11], 0
.LBB6_45:                               ; =>This Inner Loop Header: Depth=1
	v_cmp_eq_u32_e32 vcc, 1, v34
	v_cndmask_b32_e32 v36, v9, v10, vcc
	v_add_u32_e32 v32, -1, v32
	v_cmp_eq_u32_e32 vcc, 2, v34
	ds_read_b32 v37, v33
	v_cndmask_b32_e32 v36, v36, v11, vcc
	v_cmp_eq_u32_e32 vcc, 0, v32
	v_cmp_eq_u32_e64 s[2:3], 3, v34
	v_cndmask_b32_e64 v36, v36, v12, s[2:3]
	s_or_b64 s[10:11], vcc, s[10:11]
	v_cmp_eq_u32_e32 vcc, 4, v34
	v_cndmask_b32_e32 v36, v36, v13, vcc
	v_cmp_eq_u32_e32 vcc, 5, v34
	v_cndmask_b32_e32 v36, v36, v14, vcc
	v_cmp_eq_u32_e32 vcc, 6, v34
	v_add_co_u32_e64 v34, s[2:3], 1, v34
	v_cndmask_b32_e32 v36, v36, v15, vcc
	v_add_u32_e32 v33, 4, v33
	v_addc_co_u32_e64 v35, s[2:3], 0, v35, s[2:3]
	s_waitcnt lgkmcnt(0)
	v_fmac_f32_e32 v31, v36, v37
	s_andn2_b64 exec, exec, s[10:11]
	s_cbranch_execnz .LBB6_45
; %bb.46:
	s_or_b64 exec, exec, s[10:11]
.LBB6_47:
	s_or_b64 exec, exec, s[8:9]
.LBB6_48:
	s_or_b64 exec, exec, s[6:7]
	v_mov_b32_e32 v11, 0
	ds_read_b32 v11, v11 offset:8
	s_waitcnt lgkmcnt(0)
	v_mul_f32_e32 v11, v31, v11
.LBB6_49:
	s_or_b64 exec, exec, s[4:5]
	v_cmp_lt_u32_e64 s[2:3], 1, v0
	ds_write_b32 v30, v10
	s_waitcnt lgkmcnt(0)
	; wave barrier
	s_and_saveexec_b64 s[4:5], s[2:3]
	s_cbranch_execz .LBB6_65
; %bb.50:
	s_andn2_b64 vcc, exec, s[14:15]
	s_cbranch_vccnz .LBB6_52
; %bb.51:
	v_cmp_eq_u32_e32 vcc, 1, v0
	v_cndmask_b32_e32 v31, v9, v10, vcc
	v_cmp_eq_u32_e32 vcc, 2, v0
	v_cndmask_b32_e32 v31, v31, v11, vcc
	v_cmp_eq_u32_e32 vcc, 3, v0
	ds_read_b32 v32, v30
	v_cndmask_b32_e32 v31, v31, v12, vcc
	v_cmp_eq_u32_e32 vcc, 4, v0
	v_cndmask_b32_e32 v31, v31, v13, vcc
	v_cmp_eq_u32_e32 vcc, 5, v0
	;; [unrolled: 2-line block ×3, first 2 shown]
	v_cndmask_b32_e32 v31, v31, v15, vcc
	s_waitcnt lgkmcnt(0)
	v_mul_f32_e32 v31, v31, v32
	s_cbranch_execz .LBB6_53
	s_branch .LBB6_54
.LBB6_52:
                                        ; implicit-def: $vgpr31
.LBB6_53:
	ds_read_b32 v31, v30
.LBB6_54:
	s_and_saveexec_b64 s[6:7], s[0:1]
	s_cbranch_execz .LBB6_64
; %bb.55:
	v_add_u32_e32 v33, -3, v0
	v_add_u32_e32 v32, -2, v0
	v_cmp_lt_u32_e32 vcc, 6, v33
	v_mov_b32_e32 v34, 2
	s_and_saveexec_b64 s[0:1], vcc
	s_cbranch_execz .LBB6_59
; %bb.56:
	v_and_b32_e32 v33, -8, v32
	v_sub_u32_e32 v33, 0, v33
	s_mov_b64 s[8:9], 9
	s_mov_b32 s12, 40
	s_mov_b64 s[10:11], 0
.LBB6_57:                               ; =>This Inner Loop Header: Depth=1
	s_add_i32 s13, s8, -7
	s_cmp_eq_u32 s13, 1
	s_cselect_b64 vcc, -1, 0
	s_cmp_eq_u32 s13, 2
	v_cndmask_b32_e32 v42, v9, v10, vcc
	s_cselect_b64 vcc, -1, 0
	s_cmp_eq_u32 s13, 3
	v_cndmask_b32_e32 v42, v42, v11, vcc
	s_cselect_b64 vcc, -1, 0
	s_cmp_eq_u32 s13, 4
	v_mov_b32_e32 v38, s12
	v_cndmask_b32_e32 v42, v42, v12, vcc
	s_cselect_b64 vcc, -1, 0
	s_cmp_eq_u32 s13, 5
	ds_read2_b64 v[34:37], v38 offset1:1
	ds_read2_b64 v[38:41], v38 offset0:2 offset1:3
	v_cndmask_b32_e32 v42, v42, v13, vcc
	s_cselect_b64 vcc, -1, 0
	s_cmp_eq_u32 s13, 6
	v_cndmask_b32_e32 v42, v42, v14, vcc
	s_cselect_b64 vcc, -1, 0
	s_add_i32 s13, s8, -6
	s_cmp_eq_u32 s13, 1
	v_cndmask_b32_e32 v42, v42, v15, vcc
	s_cselect_b64 vcc, -1, 0
	s_cmp_eq_u32 s13, 2
	s_waitcnt lgkmcnt(1)
	v_fmac_f32_e32 v31, v42, v34
	v_cndmask_b32_e32 v34, v9, v10, vcc
	s_cselect_b64 vcc, -1, 0
	s_cmp_eq_u32 s13, 3
	v_cndmask_b32_e32 v34, v34, v11, vcc
	s_cselect_b64 vcc, -1, 0
	s_cmp_eq_u32 s13, 4
	v_cndmask_b32_e32 v34, v34, v12, vcc
	s_cselect_b64 vcc, -1, 0
	s_cmp_eq_u32 s13, 5
	v_cndmask_b32_e32 v34, v34, v13, vcc
	s_cselect_b64 vcc, -1, 0
	s_cmp_eq_u32 s13, 6
	v_cndmask_b32_e32 v34, v34, v14, vcc
	s_cselect_b64 vcc, -1, 0
	s_add_i32 s13, s8, -5
	s_cmp_eq_u32 s13, 1
	v_cndmask_b32_e32 v34, v34, v15, vcc
	s_cselect_b64 vcc, -1, 0
	s_cmp_eq_u32 s13, 2
	v_fmac_f32_e32 v31, v34, v35
	v_cndmask_b32_e32 v34, v9, v10, vcc
	s_cselect_b64 vcc, -1, 0
	s_cmp_eq_u32 s13, 3
	v_cndmask_b32_e32 v34, v34, v11, vcc
	s_cselect_b64 vcc, -1, 0
	s_cmp_eq_u32 s13, 4
	v_cndmask_b32_e32 v34, v34, v12, vcc
	s_cselect_b64 vcc, -1, 0
	s_cmp_eq_u32 s13, 5
	v_cndmask_b32_e32 v34, v34, v13, vcc
	s_cselect_b64 vcc, -1, 0
	s_cmp_eq_u32 s13, 6
	v_cndmask_b32_e32 v34, v34, v14, vcc
	s_cselect_b64 vcc, -1, 0
	s_add_i32 s13, s8, -4
	s_cmp_eq_u32 s13, 1
	v_cndmask_b32_e32 v34, v34, v15, vcc
	s_cselect_b64 vcc, -1, 0
	s_cmp_eq_u32 s13, 2
	v_fmac_f32_e32 v31, v34, v36
	v_cndmask_b32_e32 v34, v9, v10, vcc
	s_cselect_b64 vcc, -1, 0
	s_cmp_eq_u32 s13, 3
	v_cndmask_b32_e32 v34, v34, v11, vcc
	s_cselect_b64 vcc, -1, 0
	s_cmp_eq_u32 s13, 4
	v_cndmask_b32_e32 v34, v34, v12, vcc
	s_cselect_b64 vcc, -1, 0
	s_cmp_eq_u32 s13, 5
	v_cndmask_b32_e32 v34, v34, v13, vcc
	s_cselect_b64 vcc, -1, 0
	s_cmp_eq_u32 s13, 6
	v_cndmask_b32_e32 v34, v34, v14, vcc
	s_cselect_b64 vcc, -1, 0
	s_add_i32 s13, s8, -3
	s_cmp_eq_u32 s13, 1
	v_cndmask_b32_e32 v34, v34, v15, vcc
	s_cselect_b64 vcc, -1, 0
	s_cmp_eq_u32 s13, 2
	v_fmac_f32_e32 v31, v34, v37
	v_cndmask_b32_e32 v34, v9, v10, vcc
	s_cselect_b64 vcc, -1, 0
	s_cmp_eq_u32 s13, 3
	v_cndmask_b32_e32 v34, v34, v11, vcc
	s_cselect_b64 vcc, -1, 0
	s_cmp_eq_u32 s13, 4
	v_cndmask_b32_e32 v34, v34, v12, vcc
	s_cselect_b64 vcc, -1, 0
	s_cmp_eq_u32 s13, 5
	v_cndmask_b32_e32 v34, v34, v13, vcc
	s_cselect_b64 vcc, -1, 0
	s_cmp_eq_u32 s13, 6
	v_cndmask_b32_e32 v34, v34, v14, vcc
	s_cselect_b64 vcc, -1, 0
	s_add_i32 s13, s8, -2
	s_cmp_eq_u32 s13, 1
	v_cndmask_b32_e32 v34, v34, v15, vcc
	s_cselect_b64 vcc, -1, 0
	s_cmp_eq_u32 s13, 2
	s_waitcnt lgkmcnt(0)
	v_fmac_f32_e32 v31, v34, v38
	v_cndmask_b32_e32 v34, v9, v10, vcc
	s_cselect_b64 vcc, -1, 0
	s_cmp_eq_u32 s13, 3
	v_cndmask_b32_e32 v34, v34, v11, vcc
	s_cselect_b64 vcc, -1, 0
	s_cmp_eq_u32 s13, 4
	;; [unrolled: 3-line block ×4, first 2 shown]
	v_cndmask_b32_e32 v34, v34, v14, vcc
	s_cselect_b64 vcc, -1, 0
	s_add_i32 s13, s8, -1
	s_cmp_eq_u32 s13, 1
	v_cndmask_b32_e32 v34, v34, v15, vcc
	s_cselect_b64 vcc, -1, 0
	s_cmp_eq_u32 s13, 2
	v_fmac_f32_e32 v31, v34, v39
	v_cndmask_b32_e32 v34, v9, v10, vcc
	s_cselect_b64 vcc, -1, 0
	s_cmp_eq_u32 s13, 3
	v_cndmask_b32_e32 v34, v34, v11, vcc
	s_cselect_b64 vcc, -1, 0
	s_cmp_eq_u32 s13, 4
	;; [unrolled: 3-line block ×6, first 2 shown]
	v_fmac_f32_e32 v31, v34, v40
	v_cndmask_b32_e32 v34, v9, v10, vcc
	s_cselect_b64 vcc, -1, 0
	s_cmp_eq_u32 s8, 3
	v_cndmask_b32_e32 v34, v34, v11, vcc
	s_cselect_b64 vcc, -1, 0
	s_cmp_eq_u32 s8, 4
	;; [unrolled: 3-line block ×4, first 2 shown]
	v_cndmask_b32_e32 v34, v34, v14, vcc
	s_cselect_b64 vcc, -1, 0
	v_cndmask_b32_e32 v34, v34, v15, vcc
	s_add_u32 s8, s8, 8
	v_fmac_f32_e32 v31, v34, v41
	v_add_u32_e32 v34, s8, v33
	s_addc_u32 s9, s9, 0
	s_add_i32 s12, s12, 32
	s_add_i32 s13, s8, -7
	v_cmp_eq_u32_e32 vcc, 9, v34
	s_or_b64 s[10:11], vcc, s[10:11]
	v_mov_b32_e32 v34, s13
	s_andn2_b64 exec, exec, s[10:11]
	s_cbranch_execnz .LBB6_57
; %bb.58:
	s_or_b64 exec, exec, s[10:11]
.LBB6_59:
	s_or_b64 exec, exec, s[0:1]
	v_and_b32_e32 v32, 7, v32
	v_cmp_ne_u32_e32 vcc, 0, v32
	s_and_saveexec_b64 s[8:9], vcc
	s_cbranch_execz .LBB6_63
; %bb.60:
	v_lshl_add_u32 v33, v34, 2, 32
	v_mov_b32_e32 v35, 0
	s_mov_b64 s[10:11], 0
.LBB6_61:                               ; =>This Inner Loop Header: Depth=1
	v_cmp_eq_u32_e32 vcc, 1, v34
	v_cndmask_b32_e32 v36, v9, v10, vcc
	v_add_u32_e32 v32, -1, v32
	v_cmp_eq_u32_e32 vcc, 2, v34
	ds_read_b32 v37, v33
	v_cndmask_b32_e32 v36, v36, v11, vcc
	v_cmp_eq_u32_e32 vcc, 0, v32
	v_cmp_eq_u32_e64 s[0:1], 3, v34
	v_cndmask_b32_e64 v36, v36, v12, s[0:1]
	s_or_b64 s[10:11], vcc, s[10:11]
	v_cmp_eq_u32_e32 vcc, 4, v34
	v_cndmask_b32_e32 v36, v36, v13, vcc
	v_cmp_eq_u32_e32 vcc, 5, v34
	v_cndmask_b32_e32 v36, v36, v14, vcc
	v_cmp_eq_u32_e32 vcc, 6, v34
	v_add_co_u32_e64 v34, s[0:1], 1, v34
	v_cndmask_b32_e32 v36, v36, v15, vcc
	v_add_u32_e32 v33, 4, v33
	v_addc_co_u32_e64 v35, s[0:1], 0, v35, s[0:1]
	s_waitcnt lgkmcnt(0)
	v_fmac_f32_e32 v31, v36, v37
	s_andn2_b64 exec, exec, s[10:11]
	s_cbranch_execnz .LBB6_61
; %bb.62:
	s_or_b64 exec, exec, s[10:11]
.LBB6_63:
	s_or_b64 exec, exec, s[8:9]
.LBB6_64:
	s_or_b64 exec, exec, s[6:7]
	v_mov_b32_e32 v10, 0
	ds_read_b32 v10, v10 offset:4
	s_waitcnt lgkmcnt(0)
	v_mul_f32_e32 v10, v31, v10
.LBB6_65:
	s_or_b64 exec, exec, s[4:5]
	v_cmp_ne_u32_e32 vcc, 0, v0
	ds_write_b32 v30, v9
	s_waitcnt lgkmcnt(0)
	; wave barrier
	s_and_saveexec_b64 s[4:5], vcc
	s_cbranch_execz .LBB6_81
; %bb.66:
	s_andn2_b64 vcc, exec, s[14:15]
	s_cbranch_vccnz .LBB6_68
; %bb.67:
	v_cmp_eq_u32_e32 vcc, 1, v0
	v_cndmask_b32_e32 v31, v9, v10, vcc
	v_cmp_eq_u32_e32 vcc, 2, v0
	v_cndmask_b32_e32 v31, v31, v11, vcc
	v_cmp_eq_u32_e32 vcc, 3, v0
	ds_read_b32 v32, v30
	v_cndmask_b32_e32 v31, v31, v12, vcc
	v_cmp_eq_u32_e32 vcc, 4, v0
	v_cndmask_b32_e32 v31, v31, v13, vcc
	v_cmp_eq_u32_e32 vcc, 5, v0
	;; [unrolled: 2-line block ×3, first 2 shown]
	v_cndmask_b32_e32 v31, v31, v15, vcc
	s_waitcnt lgkmcnt(0)
	v_mul_f32_e32 v31, v31, v32
	s_cbranch_execz .LBB6_69
	s_branch .LBB6_70
.LBB6_68:
                                        ; implicit-def: $vgpr31
.LBB6_69:
	ds_read_b32 v31, v30
.LBB6_70:
	s_and_saveexec_b64 s[6:7], s[2:3]
	s_cbranch_execz .LBB6_80
; %bb.71:
	v_add_u32_e32 v33, -2, v0
	v_add_u32_e32 v32, -1, v0
	v_cmp_lt_u32_e32 vcc, 6, v33
	v_mov_b32_e32 v34, 1
	s_and_saveexec_b64 s[0:1], vcc
	s_cbranch_execz .LBB6_75
; %bb.72:
	v_and_b32_e32 v33, -8, v32
	v_sub_u32_e32 v33, 0, v33
	s_mov_b64 s[2:3], 8
	s_mov_b32 s10, 36
	s_mov_b64 s[8:9], 0
.LBB6_73:                               ; =>This Inner Loop Header: Depth=1
	s_add_i32 s11, s2, -7
	s_cmp_eq_u32 s11, 1
	s_cselect_b64 vcc, -1, 0
	s_cmp_eq_u32 s11, 2
	v_cndmask_b32_e32 v42, v9, v10, vcc
	s_cselect_b64 vcc, -1, 0
	s_cmp_eq_u32 s11, 3
	v_cndmask_b32_e32 v42, v42, v11, vcc
	;; [unrolled: 3-line block ×4, first 2 shown]
	s_cselect_b64 vcc, -1, 0
	s_cmp_eq_u32 s11, 6
	v_mov_b32_e32 v40, s10
	v_cndmask_b32_e32 v42, v42, v14, vcc
	s_cselect_b64 vcc, -1, 0
	s_add_i32 s11, s2, -6
	ds_read2_b32 v[34:35], v40 offset1:1
	ds_read2_b32 v[36:37], v40 offset0:2 offset1:3
	ds_read2_b32 v[38:39], v40 offset0:4 offset1:5
	ds_read2_b32 v[40:41], v40 offset0:6 offset1:7
	s_cmp_eq_u32 s11, 1
	v_cndmask_b32_e32 v42, v42, v15, vcc
	s_cselect_b64 vcc, -1, 0
	s_cmp_eq_u32 s11, 2
	s_waitcnt lgkmcnt(3)
	v_fmac_f32_e32 v31, v42, v34
	v_cndmask_b32_e32 v34, v9, v10, vcc
	s_cselect_b64 vcc, -1, 0
	s_cmp_eq_u32 s11, 3
	v_cndmask_b32_e32 v34, v34, v11, vcc
	s_cselect_b64 vcc, -1, 0
	s_cmp_eq_u32 s11, 4
	;; [unrolled: 3-line block ×4, first 2 shown]
	v_cndmask_b32_e32 v34, v34, v14, vcc
	s_cselect_b64 vcc, -1, 0
	s_add_i32 s11, s2, -5
	s_cmp_eq_u32 s11, 1
	v_cndmask_b32_e32 v34, v34, v15, vcc
	s_cselect_b64 vcc, -1, 0
	s_cmp_eq_u32 s11, 2
	v_fmac_f32_e32 v31, v34, v35
	v_cndmask_b32_e32 v34, v9, v10, vcc
	s_cselect_b64 vcc, -1, 0
	s_cmp_eq_u32 s11, 3
	v_cndmask_b32_e32 v34, v34, v11, vcc
	s_cselect_b64 vcc, -1, 0
	s_cmp_eq_u32 s11, 4
	;; [unrolled: 3-line block ×4, first 2 shown]
	v_cndmask_b32_e32 v34, v34, v14, vcc
	s_cselect_b64 vcc, -1, 0
	s_add_i32 s11, s2, -4
	s_cmp_eq_u32 s11, 1
	v_cndmask_b32_e32 v34, v34, v15, vcc
	s_cselect_b64 vcc, -1, 0
	s_cmp_eq_u32 s11, 2
	s_waitcnt lgkmcnt(2)
	v_fmac_f32_e32 v31, v34, v36
	v_cndmask_b32_e32 v34, v9, v10, vcc
	s_cselect_b64 vcc, -1, 0
	s_cmp_eq_u32 s11, 3
	v_cndmask_b32_e32 v34, v34, v11, vcc
	s_cselect_b64 vcc, -1, 0
	s_cmp_eq_u32 s11, 4
	;; [unrolled: 3-line block ×4, first 2 shown]
	v_cndmask_b32_e32 v34, v34, v14, vcc
	s_cselect_b64 vcc, -1, 0
	s_add_i32 s11, s2, -3
	s_cmp_eq_u32 s11, 1
	v_cndmask_b32_e32 v34, v34, v15, vcc
	s_cselect_b64 vcc, -1, 0
	s_cmp_eq_u32 s11, 2
	v_fmac_f32_e32 v31, v34, v37
	v_cndmask_b32_e32 v34, v9, v10, vcc
	s_cselect_b64 vcc, -1, 0
	s_cmp_eq_u32 s11, 3
	v_cndmask_b32_e32 v34, v34, v11, vcc
	s_cselect_b64 vcc, -1, 0
	s_cmp_eq_u32 s11, 4
	;; [unrolled: 3-line block ×4, first 2 shown]
	v_cndmask_b32_e32 v34, v34, v14, vcc
	s_cselect_b64 vcc, -1, 0
	s_add_i32 s11, s2, -2
	s_cmp_eq_u32 s11, 1
	v_cndmask_b32_e32 v34, v34, v15, vcc
	s_cselect_b64 vcc, -1, 0
	s_cmp_eq_u32 s11, 2
	s_waitcnt lgkmcnt(1)
	v_fmac_f32_e32 v31, v34, v38
	v_cndmask_b32_e32 v34, v9, v10, vcc
	s_cselect_b64 vcc, -1, 0
	s_cmp_eq_u32 s11, 3
	v_cndmask_b32_e32 v34, v34, v11, vcc
	s_cselect_b64 vcc, -1, 0
	s_cmp_eq_u32 s11, 4
	;; [unrolled: 3-line block ×4, first 2 shown]
	v_cndmask_b32_e32 v34, v34, v14, vcc
	s_cselect_b64 vcc, -1, 0
	s_add_i32 s11, s2, -1
	s_cmp_eq_u32 s11, 1
	v_cndmask_b32_e32 v34, v34, v15, vcc
	s_cselect_b64 vcc, -1, 0
	s_cmp_eq_u32 s11, 2
	v_fmac_f32_e32 v31, v34, v39
	v_cndmask_b32_e32 v34, v9, v10, vcc
	s_cselect_b64 vcc, -1, 0
	s_cmp_eq_u32 s11, 3
	v_cndmask_b32_e32 v34, v34, v11, vcc
	s_cselect_b64 vcc, -1, 0
	s_cmp_eq_u32 s11, 4
	;; [unrolled: 3-line block ×6, first 2 shown]
	s_waitcnt lgkmcnt(0)
	v_fmac_f32_e32 v31, v34, v40
	v_cndmask_b32_e32 v34, v9, v10, vcc
	s_cselect_b64 vcc, -1, 0
	s_cmp_eq_u32 s2, 3
	v_cndmask_b32_e32 v34, v34, v11, vcc
	s_cselect_b64 vcc, -1, 0
	s_cmp_eq_u32 s2, 4
	;; [unrolled: 3-line block ×4, first 2 shown]
	v_cndmask_b32_e32 v34, v34, v14, vcc
	s_cselect_b64 vcc, -1, 0
	v_cndmask_b32_e32 v34, v34, v15, vcc
	s_add_u32 s2, s2, 8
	v_fmac_f32_e32 v31, v34, v41
	v_add_u32_e32 v34, s2, v33
	s_addc_u32 s3, s3, 0
	s_add_i32 s10, s10, 32
	s_add_i32 s11, s2, -7
	v_cmp_eq_u32_e32 vcc, 8, v34
	s_or_b64 s[8:9], vcc, s[8:9]
	v_mov_b32_e32 v34, s11
	s_andn2_b64 exec, exec, s[8:9]
	s_cbranch_execnz .LBB6_73
; %bb.74:
	s_or_b64 exec, exec, s[8:9]
.LBB6_75:
	s_or_b64 exec, exec, s[0:1]
	v_and_b32_e32 v32, 7, v32
	v_cmp_ne_u32_e32 vcc, 0, v32
	s_and_saveexec_b64 s[2:3], vcc
	s_cbranch_execz .LBB6_79
; %bb.76:
	v_lshl_add_u32 v33, v34, 2, 32
	v_mov_b32_e32 v35, 0
	s_mov_b64 s[8:9], 0
.LBB6_77:                               ; =>This Inner Loop Header: Depth=1
	v_cmp_eq_u32_e32 vcc, 1, v34
	v_cndmask_b32_e32 v36, v9, v10, vcc
	v_add_u32_e32 v32, -1, v32
	v_cmp_eq_u32_e32 vcc, 2, v34
	ds_read_b32 v37, v33
	v_cndmask_b32_e32 v36, v36, v11, vcc
	v_cmp_eq_u32_e32 vcc, 0, v32
	v_cmp_eq_u32_e64 s[0:1], 3, v34
	v_cndmask_b32_e64 v36, v36, v12, s[0:1]
	s_or_b64 s[8:9], vcc, s[8:9]
	v_cmp_eq_u32_e32 vcc, 4, v34
	v_cndmask_b32_e32 v36, v36, v13, vcc
	v_cmp_eq_u32_e32 vcc, 5, v34
	v_cndmask_b32_e32 v36, v36, v14, vcc
	v_cmp_eq_u32_e32 vcc, 6, v34
	v_add_co_u32_e64 v34, s[0:1], 1, v34
	v_cndmask_b32_e32 v36, v36, v15, vcc
	v_add_u32_e32 v33, 4, v33
	v_addc_co_u32_e64 v35, s[0:1], 0, v35, s[0:1]
	s_waitcnt lgkmcnt(0)
	v_fmac_f32_e32 v31, v36, v37
	s_andn2_b64 exec, exec, s[8:9]
	s_cbranch_execnz .LBB6_77
; %bb.78:
	s_or_b64 exec, exec, s[8:9]
.LBB6_79:
	s_or_b64 exec, exec, s[2:3]
.LBB6_80:
	s_or_b64 exec, exec, s[6:7]
	v_mov_b32_e32 v9, 0
	ds_read_b32 v9, v9
	s_waitcnt lgkmcnt(0)
	v_mul_f32_e32 v9, v31, v9
.LBB6_81:
	s_or_b64 exec, exec, s[4:5]
	s_branch .LBB6_133
.LBB6_82:
	v_cmp_eq_u32_e64 s[2:3], 0, v0
	s_waitcnt vmcnt(5)
	ds_write_b32 v30, v3
	s_waitcnt lgkmcnt(0)
	; wave barrier
	s_and_saveexec_b64 s[0:1], s[2:3]
	s_cbranch_execz .LBB6_88
; %bb.83:
	s_and_b64 vcc, exec, s[14:15]
	s_cbranch_vccz .LBB6_85
; %bb.84:
	v_cmp_eq_u32_e32 vcc, 1, v0
	v_cndmask_b32_e32 v3, v2, v3, vcc
	v_cmp_eq_u32_e32 vcc, 2, v0
	s_waitcnt vmcnt(4)
	v_cndmask_b32_e32 v3, v3, v4, vcc
	v_cmp_eq_u32_e32 vcc, 3, v0
	ds_read_b32 v9, v30
	s_waitcnt vmcnt(3)
	v_cndmask_b32_e32 v3, v3, v5, vcc
	v_cmp_eq_u32_e32 vcc, 4, v0
	s_waitcnt vmcnt(2)
	v_cndmask_b32_e32 v3, v3, v6, vcc
	v_cmp_eq_u32_e32 vcc, 5, v0
	;; [unrolled: 3-line block ×3, first 2 shown]
	s_waitcnt vmcnt(0)
	v_cndmask_b32_e32 v3, v3, v8, vcc
	s_waitcnt lgkmcnt(0)
	v_mul_f32_e32 v3, v3, v9
	s_cbranch_execz .LBB6_86
	s_branch .LBB6_87
.LBB6_85:
                                        ; implicit-def: $vgpr3
.LBB6_86:
	ds_read_b32 v3, v30
.LBB6_87:
	v_mov_b32_e32 v9, 0
	ds_read_b32 v9, v9 offset:4
	s_waitcnt lgkmcnt(0)
	v_mul_f32_e32 v3, v3, v9
.LBB6_88:
	s_or_b64 exec, exec, s[0:1]
	v_cndmask_b32_e64 v9, 0, 1, s[14:15]
	v_cmp_gt_u32_e32 vcc, 2, v0
	v_cmp_ne_u32_e64 s[0:1], 1, v9
	s_waitcnt vmcnt(4)
	ds_write_b32 v30, v4
	s_waitcnt lgkmcnt(0)
	; wave barrier
	s_and_saveexec_b64 s[4:5], vcc
	s_cbranch_execz .LBB6_94
; %bb.89:
	s_and_b64 vcc, exec, s[0:1]
	s_cbranch_vccnz .LBB6_91
; %bb.90:
	v_cmp_eq_u32_e32 vcc, 1, v0
	v_cndmask_b32_e32 v9, v2, v3, vcc
	v_cmp_eq_u32_e32 vcc, 2, v0
	v_cndmask_b32_e32 v4, v9, v4, vcc
	v_cmp_eq_u32_e32 vcc, 3, v0
	ds_read_b32 v9, v30
	s_waitcnt vmcnt(3)
	v_cndmask_b32_e32 v4, v4, v5, vcc
	v_cmp_eq_u32_e32 vcc, 4, v0
	s_waitcnt vmcnt(2)
	v_cndmask_b32_e32 v4, v4, v6, vcc
	v_cmp_eq_u32_e32 vcc, 5, v0
	;; [unrolled: 3-line block ×3, first 2 shown]
	s_waitcnt vmcnt(0)
	v_cndmask_b32_e32 v4, v4, v8, vcc
	s_waitcnt lgkmcnt(0)
	v_mul_f32_e32 v4, v4, v9
	s_cbranch_execz .LBB6_92
	s_branch .LBB6_93
.LBB6_91:
                                        ; implicit-def: $vgpr4
.LBB6_92:
	ds_read_b32 v4, v30
.LBB6_93:
	v_mov_b32_e32 v9, 0
	ds_read2_b32 v[9:10], v9 offset0:2 offset1:9
	s_waitcnt lgkmcnt(0)
	v_fma_f32 v10, v3, v10, v4
	v_cndmask_b32_e64 v4, v4, v10, s[2:3]
	v_mul_f32_e32 v4, v4, v9
.LBB6_94:
	s_or_b64 exec, exec, s[4:5]
	v_cmp_gt_u32_e32 vcc, 3, v0
	s_waitcnt vmcnt(3)
	ds_write_b32 v30, v5
	s_waitcnt lgkmcnt(0)
	; wave barrier
	s_and_saveexec_b64 s[4:5], vcc
	s_cbranch_execz .LBB6_102
; %bb.95:
	s_and_b64 vcc, exec, s[0:1]
	s_cbranch_vccnz .LBB6_97
; %bb.96:
	v_cmp_eq_u32_e32 vcc, 1, v0
	v_cndmask_b32_e32 v9, v2, v3, vcc
	v_cmp_eq_u32_e32 vcc, 2, v0
	v_cndmask_b32_e32 v9, v9, v4, vcc
	v_cmp_eq_u32_e32 vcc, 3, v0
	ds_read_b32 v10, v30
	v_cndmask_b32_e32 v9, v9, v5, vcc
	v_cmp_eq_u32_e32 vcc, 4, v0
	s_waitcnt vmcnt(2)
	v_cndmask_b32_e32 v9, v9, v6, vcc
	v_cmp_eq_u32_e32 vcc, 5, v0
	s_waitcnt vmcnt(1)
	;; [unrolled: 3-line block ×3, first 2 shown]
	v_cndmask_b32_e32 v9, v9, v8, vcc
	s_waitcnt lgkmcnt(0)
	v_mul_f32_e32 v9, v9, v10
	s_cbranch_execz .LBB6_98
	s_branch .LBB6_99
.LBB6_97:
                                        ; implicit-def: $vgpr9
.LBB6_98:
	ds_read_b32 v9, v30
.LBB6_99:
	v_cmp_ne_u32_e32 vcc, 2, v0
	s_and_saveexec_b64 s[6:7], vcc
	s_cbranch_execz .LBB6_101
; %bb.100:
	v_add_u32_e32 v10, 1, v0
	v_cmp_eq_u32_e32 vcc, 1, v10
	v_cndmask_b32_e32 v11, v2, v3, vcc
	v_cmp_eq_u32_e32 vcc, 2, v10
	v_cndmask_b32_e32 v11, v11, v4, vcc
	;; [unrolled: 2-line block ×3, first 2 shown]
	v_mov_b32_e32 v11, 0
	v_cmp_eq_u32_e32 vcc, 4, v10
	ds_read_b32 v12, v30 offset:4
	ds_read_b32 v11, v11 offset:40
	s_waitcnt vmcnt(2)
	v_cndmask_b32_e32 v5, v5, v6, vcc
	v_cmp_eq_u32_e32 vcc, 5, v10
	s_waitcnt vmcnt(1)
	v_cndmask_b32_e32 v5, v5, v7, vcc
	v_cmp_eq_u32_e32 vcc, 6, v10
	s_waitcnt vmcnt(0)
	v_cndmask_b32_e32 v5, v5, v8, vcc
	s_waitcnt lgkmcnt(1)
	v_fmac_f32_e32 v9, v5, v12
	s_waitcnt lgkmcnt(0)
	v_fma_f32 v5, v4, v11, v9
	v_cndmask_b32_e64 v9, v9, v5, s[2:3]
.LBB6_101:
	s_or_b64 exec, exec, s[6:7]
	v_mov_b32_e32 v5, 0
	ds_read_b32 v5, v5 offset:12
	s_waitcnt lgkmcnt(0)
	v_mul_f32_e32 v5, v9, v5
.LBB6_102:
	s_or_b64 exec, exec, s[4:5]
	v_cmp_gt_u32_e32 vcc, 4, v0
	s_waitcnt vmcnt(2)
	ds_write_b32 v30, v6
	s_waitcnt lgkmcnt(0)
	; wave barrier
	s_and_saveexec_b64 s[4:5], vcc
	s_cbranch_execz .LBB6_112
; %bb.103:
	s_and_b64 vcc, exec, s[0:1]
	s_cbranch_vccnz .LBB6_105
; %bb.104:
	v_cmp_eq_u32_e32 vcc, 1, v0
	v_cndmask_b32_e32 v9, v2, v3, vcc
	v_cmp_eq_u32_e32 vcc, 2, v0
	v_cndmask_b32_e32 v9, v9, v4, vcc
	v_cmp_eq_u32_e32 vcc, 3, v0
	ds_read_b32 v10, v30
	v_cndmask_b32_e32 v9, v9, v5, vcc
	v_cmp_eq_u32_e32 vcc, 4, v0
	v_cndmask_b32_e32 v9, v9, v6, vcc
	v_cmp_eq_u32_e32 vcc, 5, v0
	s_waitcnt vmcnt(1)
	v_cndmask_b32_e32 v9, v9, v7, vcc
	v_cmp_eq_u32_e32 vcc, 6, v0
	s_waitcnt vmcnt(0)
	v_cndmask_b32_e32 v9, v9, v8, vcc
	s_waitcnt lgkmcnt(0)
	v_mul_f32_e32 v11, v9, v10
	s_cbranch_execz .LBB6_106
	s_branch .LBB6_107
.LBB6_105:
                                        ; implicit-def: $vgpr11
.LBB6_106:
	ds_read_b32 v11, v30
.LBB6_107:
	v_cmp_ne_u32_e32 vcc, 3, v0
	s_and_saveexec_b64 s[6:7], vcc
	s_cbranch_execz .LBB6_111
; %bb.108:
	v_mov_b32_e32 v10, v1
	v_lshl_add_u32 v12, v0, 2, 36
	s_mov_b64 s[8:9], 0
	v_mov_b32_e32 v9, v0
.LBB6_109:                              ; =>This Inner Loop Header: Depth=1
	v_add_co_u32_e32 v9, vcc, 1, v9
	v_addc_co_u32_e32 v10, vcc, 0, v10, vcc
	v_cmp_eq_u32_e32 vcc, 1, v9
	v_cndmask_b32_e32 v14, v2, v3, vcc
	v_cmp_lt_u32_e32 vcc, 2, v9
	v_cmp_eq_u32_e64 s[2:3], 2, v9
	ds_read_b32 v13, v12
	v_cndmask_b32_e64 v14, v14, v4, s[2:3]
	s_or_b64 s[8:9], vcc, s[8:9]
	v_cmp_eq_u32_e32 vcc, 3, v9
	v_cndmask_b32_e32 v14, v14, v5, vcc
	v_cmp_eq_u32_e32 vcc, 4, v9
	v_cndmask_b32_e32 v14, v14, v6, vcc
	v_cmp_eq_u32_e32 vcc, 5, v9
	s_waitcnt vmcnt(1)
	v_cndmask_b32_e32 v14, v14, v7, vcc
	v_cmp_eq_u32_e32 vcc, 6, v9
	s_waitcnt vmcnt(0)
	v_cndmask_b32_e32 v14, v14, v8, vcc
	v_add_u32_e32 v12, 4, v12
	s_waitcnt lgkmcnt(0)
	v_fmac_f32_e32 v11, v14, v13
	s_andn2_b64 exec, exec, s[8:9]
	s_cbranch_execnz .LBB6_109
; %bb.110:
	s_or_b64 exec, exec, s[8:9]
.LBB6_111:
	s_or_b64 exec, exec, s[6:7]
	v_mov_b32_e32 v6, 0
	ds_read_b32 v6, v6 offset:16
	s_waitcnt lgkmcnt(0)
	v_mul_f32_e32 v6, v11, v6
.LBB6_112:
	s_or_b64 exec, exec, s[4:5]
	v_cmp_gt_u32_e64 s[2:3], 5, v0
	s_waitcnt vmcnt(1)
	ds_write_b32 v30, v7
	s_waitcnt lgkmcnt(0)
	; wave barrier
	s_and_saveexec_b64 s[6:7], s[2:3]
	s_cbranch_execz .LBB6_122
; %bb.113:
	s_and_b64 vcc, exec, s[0:1]
	s_cbranch_vccnz .LBB6_115
; %bb.114:
	v_cmp_eq_u32_e32 vcc, 1, v0
	v_cndmask_b32_e32 v9, v2, v3, vcc
	v_cmp_eq_u32_e32 vcc, 2, v0
	v_cndmask_b32_e32 v9, v9, v4, vcc
	v_cmp_eq_u32_e32 vcc, 3, v0
	ds_read_b32 v10, v30
	v_cndmask_b32_e32 v9, v9, v5, vcc
	v_cmp_eq_u32_e32 vcc, 4, v0
	v_cndmask_b32_e32 v9, v9, v6, vcc
	v_cmp_eq_u32_e32 vcc, 5, v0
	;; [unrolled: 2-line block ×3, first 2 shown]
	s_waitcnt vmcnt(0)
	v_cndmask_b32_e32 v9, v9, v8, vcc
	s_waitcnt lgkmcnt(0)
	v_mul_f32_e32 v11, v9, v10
	s_cbranch_execz .LBB6_116
	s_branch .LBB6_117
.LBB6_115:
                                        ; implicit-def: $vgpr11
.LBB6_116:
	ds_read_b32 v11, v30
.LBB6_117:
	v_cmp_ne_u32_e32 vcc, 4, v0
	s_and_saveexec_b64 s[8:9], vcc
	s_cbranch_execz .LBB6_121
; %bb.118:
	v_mov_b32_e32 v10, v1
	v_lshl_add_u32 v12, v0, 2, 36
	s_mov_b64 s[10:11], 0
	v_mov_b32_e32 v9, v0
.LBB6_119:                              ; =>This Inner Loop Header: Depth=1
	v_add_co_u32_e32 v9, vcc, 1, v9
	v_addc_co_u32_e32 v10, vcc, 0, v10, vcc
	v_cmp_eq_u32_e32 vcc, 1, v9
	v_cndmask_b32_e32 v14, v2, v3, vcc
	v_cmp_lt_u32_e32 vcc, 3, v9
	v_cmp_eq_u32_e64 s[4:5], 2, v9
	ds_read_b32 v13, v12
	v_cndmask_b32_e64 v14, v14, v4, s[4:5]
	s_or_b64 s[10:11], vcc, s[10:11]
	v_cmp_eq_u32_e32 vcc, 3, v9
	v_cndmask_b32_e32 v14, v14, v5, vcc
	v_cmp_eq_u32_e32 vcc, 4, v9
	v_cndmask_b32_e32 v14, v14, v6, vcc
	;; [unrolled: 2-line block ×3, first 2 shown]
	v_cmp_eq_u32_e32 vcc, 6, v9
	s_waitcnt vmcnt(0)
	v_cndmask_b32_e32 v14, v14, v8, vcc
	v_add_u32_e32 v12, 4, v12
	s_waitcnt lgkmcnt(0)
	v_fmac_f32_e32 v11, v14, v13
	s_andn2_b64 exec, exec, s[10:11]
	s_cbranch_execnz .LBB6_119
; %bb.120:
	s_or_b64 exec, exec, s[10:11]
.LBB6_121:
	s_or_b64 exec, exec, s[8:9]
	v_mov_b32_e32 v7, 0
	ds_read_b32 v7, v7 offset:20
	s_waitcnt lgkmcnt(0)
	v_mul_f32_e32 v7, v11, v7
.LBB6_122:
	s_or_b64 exec, exec, s[6:7]
	v_cmp_ne_u32_e32 vcc, 6, v0
	s_waitcnt vmcnt(0)
	ds_write_b32 v30, v8
	s_waitcnt lgkmcnt(0)
	; wave barrier
	s_and_saveexec_b64 s[4:5], vcc
	s_cbranch_execz .LBB6_132
; %bb.123:
	s_and_b64 vcc, exec, s[0:1]
	s_cbranch_vccnz .LBB6_125
; %bb.124:
	v_cmp_eq_u32_e32 vcc, 1, v0
	v_cndmask_b32_e32 v9, v2, v3, vcc
	v_cmp_eq_u32_e32 vcc, 2, v0
	v_cndmask_b32_e32 v9, v9, v4, vcc
	v_cmp_eq_u32_e32 vcc, 3, v0
	ds_read_b32 v10, v30
	v_cndmask_b32_e32 v9, v9, v5, vcc
	v_cmp_eq_u32_e32 vcc, 4, v0
	v_cndmask_b32_e32 v9, v9, v6, vcc
	v_cmp_eq_u32_e32 vcc, 5, v0
	;; [unrolled: 2-line block ×3, first 2 shown]
	v_cndmask_b32_e32 v9, v9, v8, vcc
	s_waitcnt lgkmcnt(0)
	v_mul_f32_e32 v9, v9, v10
	s_cbranch_execz .LBB6_126
	s_branch .LBB6_127
.LBB6_125:
                                        ; implicit-def: $vgpr9
.LBB6_126:
	ds_read_b32 v9, v30
.LBB6_127:
	s_and_saveexec_b64 s[6:7], s[2:3]
	s_cbranch_execz .LBB6_131
; %bb.128:
	v_lshl_add_u32 v10, v0, 2, 36
	s_mov_b64 s[2:3], 0
.LBB6_129:                              ; =>This Inner Loop Header: Depth=1
	v_add_co_u32_e32 v0, vcc, 1, v0
	v_addc_co_u32_e32 v1, vcc, 0, v1, vcc
	v_cmp_eq_u32_e32 vcc, 1, v0
	v_cndmask_b32_e32 v12, v2, v3, vcc
	v_cmp_lt_u32_e32 vcc, 4, v0
	v_cmp_eq_u32_e64 s[0:1], 2, v0
	ds_read_b32 v11, v10
	v_cndmask_b32_e64 v12, v12, v4, s[0:1]
	s_or_b64 s[2:3], vcc, s[2:3]
	v_cmp_eq_u32_e32 vcc, 3, v0
	v_cndmask_b32_e32 v12, v12, v5, vcc
	v_cmp_eq_u32_e32 vcc, 4, v0
	v_cndmask_b32_e32 v12, v12, v6, vcc
	;; [unrolled: 2-line block ×4, first 2 shown]
	v_add_u32_e32 v10, 4, v10
	s_waitcnt lgkmcnt(0)
	v_fmac_f32_e32 v9, v12, v11
	s_andn2_b64 exec, exec, s[2:3]
	s_cbranch_execnz .LBB6_129
; %bb.130:
	s_or_b64 exec, exec, s[2:3]
.LBB6_131:
	s_or_b64 exec, exec, s[6:7]
	v_mov_b32_e32 v0, 0
	ds_read_b32 v0, v0 offset:24
	s_waitcnt lgkmcnt(0)
	v_mul_f32_e32 v8, v9, v0
.LBB6_132:
	s_or_b64 exec, exec, s[4:5]
	v_mov_b32_e32 v15, v8
	v_mov_b32_e32 v14, v7
	;; [unrolled: 1-line block ×7, first 2 shown]
.LBB6_133:
	global_store_dword v[16:17], v9, off
	global_store_dword v[18:19], v10, off
	;; [unrolled: 1-line block ×7, first 2 shown]
.LBB6_134:
	s_endpgm
	.section	.rodata,"a",@progbits
	.p2align	6, 0x0
	.amdhsa_kernel _ZN9rocsolver6v33100L18trti2_kernel_smallILi7EfPfEEv13rocblas_fill_17rocblas_diagonal_T1_iil
		.amdhsa_group_segment_fixed_size 60
		.amdhsa_private_segment_fixed_size 0
		.amdhsa_kernarg_size 32
		.amdhsa_user_sgpr_count 6
		.amdhsa_user_sgpr_private_segment_buffer 1
		.amdhsa_user_sgpr_dispatch_ptr 0
		.amdhsa_user_sgpr_queue_ptr 0
		.amdhsa_user_sgpr_kernarg_segment_ptr 1
		.amdhsa_user_sgpr_dispatch_id 0
		.amdhsa_user_sgpr_flat_scratch_init 0
		.amdhsa_user_sgpr_private_segment_size 0
		.amdhsa_uses_dynamic_stack 0
		.amdhsa_system_sgpr_private_segment_wavefront_offset 0
		.amdhsa_system_sgpr_workgroup_id_x 1
		.amdhsa_system_sgpr_workgroup_id_y 0
		.amdhsa_system_sgpr_workgroup_id_z 0
		.amdhsa_system_sgpr_workgroup_info 0
		.amdhsa_system_vgpr_workitem_id 0
		.amdhsa_next_free_vgpr 43
		.amdhsa_next_free_sgpr 24
		.amdhsa_reserve_vcc 1
		.amdhsa_reserve_flat_scratch 0
		.amdhsa_float_round_mode_32 0
		.amdhsa_float_round_mode_16_64 0
		.amdhsa_float_denorm_mode_32 3
		.amdhsa_float_denorm_mode_16_64 3
		.amdhsa_dx10_clamp 1
		.amdhsa_ieee_mode 1
		.amdhsa_fp16_overflow 0
		.amdhsa_exception_fp_ieee_invalid_op 0
		.amdhsa_exception_fp_denorm_src 0
		.amdhsa_exception_fp_ieee_div_zero 0
		.amdhsa_exception_fp_ieee_overflow 0
		.amdhsa_exception_fp_ieee_underflow 0
		.amdhsa_exception_fp_ieee_inexact 0
		.amdhsa_exception_int_div_zero 0
	.end_amdhsa_kernel
	.section	.text._ZN9rocsolver6v33100L18trti2_kernel_smallILi7EfPfEEv13rocblas_fill_17rocblas_diagonal_T1_iil,"axG",@progbits,_ZN9rocsolver6v33100L18trti2_kernel_smallILi7EfPfEEv13rocblas_fill_17rocblas_diagonal_T1_iil,comdat
.Lfunc_end6:
	.size	_ZN9rocsolver6v33100L18trti2_kernel_smallILi7EfPfEEv13rocblas_fill_17rocblas_diagonal_T1_iil, .Lfunc_end6-_ZN9rocsolver6v33100L18trti2_kernel_smallILi7EfPfEEv13rocblas_fill_17rocblas_diagonal_T1_iil
                                        ; -- End function
	.set _ZN9rocsolver6v33100L18trti2_kernel_smallILi7EfPfEEv13rocblas_fill_17rocblas_diagonal_T1_iil.num_vgpr, 43
	.set _ZN9rocsolver6v33100L18trti2_kernel_smallILi7EfPfEEv13rocblas_fill_17rocblas_diagonal_T1_iil.num_agpr, 0
	.set _ZN9rocsolver6v33100L18trti2_kernel_smallILi7EfPfEEv13rocblas_fill_17rocblas_diagonal_T1_iil.numbered_sgpr, 24
	.set _ZN9rocsolver6v33100L18trti2_kernel_smallILi7EfPfEEv13rocblas_fill_17rocblas_diagonal_T1_iil.num_named_barrier, 0
	.set _ZN9rocsolver6v33100L18trti2_kernel_smallILi7EfPfEEv13rocblas_fill_17rocblas_diagonal_T1_iil.private_seg_size, 0
	.set _ZN9rocsolver6v33100L18trti2_kernel_smallILi7EfPfEEv13rocblas_fill_17rocblas_diagonal_T1_iil.uses_vcc, 1
	.set _ZN9rocsolver6v33100L18trti2_kernel_smallILi7EfPfEEv13rocblas_fill_17rocblas_diagonal_T1_iil.uses_flat_scratch, 0
	.set _ZN9rocsolver6v33100L18trti2_kernel_smallILi7EfPfEEv13rocblas_fill_17rocblas_diagonal_T1_iil.has_dyn_sized_stack, 0
	.set _ZN9rocsolver6v33100L18trti2_kernel_smallILi7EfPfEEv13rocblas_fill_17rocblas_diagonal_T1_iil.has_recursion, 0
	.set _ZN9rocsolver6v33100L18trti2_kernel_smallILi7EfPfEEv13rocblas_fill_17rocblas_diagonal_T1_iil.has_indirect_call, 0
	.section	.AMDGPU.csdata,"",@progbits
; Kernel info:
; codeLenInByte = 6852
; TotalNumSgprs: 28
; NumVgprs: 43
; ScratchSize: 0
; MemoryBound: 0
; FloatMode: 240
; IeeeMode: 1
; LDSByteSize: 60 bytes/workgroup (compile time only)
; SGPRBlocks: 3
; VGPRBlocks: 10
; NumSGPRsForWavesPerEU: 28
; NumVGPRsForWavesPerEU: 43
; Occupancy: 5
; WaveLimiterHint : 0
; COMPUTE_PGM_RSRC2:SCRATCH_EN: 0
; COMPUTE_PGM_RSRC2:USER_SGPR: 6
; COMPUTE_PGM_RSRC2:TRAP_HANDLER: 0
; COMPUTE_PGM_RSRC2:TGID_X_EN: 1
; COMPUTE_PGM_RSRC2:TGID_Y_EN: 0
; COMPUTE_PGM_RSRC2:TGID_Z_EN: 0
; COMPUTE_PGM_RSRC2:TIDIG_COMP_CNT: 0
	.section	.text._ZN9rocsolver6v33100L18trti2_kernel_smallILi8EfPfEEv13rocblas_fill_17rocblas_diagonal_T1_iil,"axG",@progbits,_ZN9rocsolver6v33100L18trti2_kernel_smallILi8EfPfEEv13rocblas_fill_17rocblas_diagonal_T1_iil,comdat
	.globl	_ZN9rocsolver6v33100L18trti2_kernel_smallILi8EfPfEEv13rocblas_fill_17rocblas_diagonal_T1_iil ; -- Begin function _ZN9rocsolver6v33100L18trti2_kernel_smallILi8EfPfEEv13rocblas_fill_17rocblas_diagonal_T1_iil
	.p2align	8
	.type	_ZN9rocsolver6v33100L18trti2_kernel_smallILi8EfPfEEv13rocblas_fill_17rocblas_diagonal_T1_iil,@function
_ZN9rocsolver6v33100L18trti2_kernel_smallILi8EfPfEEv13rocblas_fill_17rocblas_diagonal_T1_iil: ; @_ZN9rocsolver6v33100L18trti2_kernel_smallILi8EfPfEEv13rocblas_fill_17rocblas_diagonal_T1_iil
; %bb.0:
	v_cmp_gt_u32_e32 vcc, 8, v0
	s_and_saveexec_b64 s[0:1], vcc
	s_cbranch_execz .LBB7_160
; %bb.1:
	s_load_dwordx8 s[16:23], s[4:5], 0x0
	s_ashr_i32 s2, s6, 31
	v_lshlrev_b32_e32 v10, 2, v0
	v_mov_b32_e32 v11, -1.0
	s_waitcnt lgkmcnt(0)
	s_mul_hi_u32 s3, s22, s6
	s_mul_i32 s2, s22, s2
	s_add_i32 s2, s3, s2
	s_mul_i32 s3, s23, s6
	s_add_i32 s3, s2, s3
	s_mul_i32 s2, s22, s6
	s_ashr_i32 s1, s20, 31
	s_lshl_b64 s[2:3], s[2:3], 2
	s_mov_b32 s0, s20
	s_add_u32 s2, s18, s2
	s_addc_u32 s3, s19, s3
	s_lshl_b64 s[0:1], s[0:1], 2
	s_add_u32 s0, s2, s0
	s_addc_u32 s1, s3, s1
	v_mov_b32_e32 v1, s1
	v_add_co_u32_e32 v18, vcc, s0, v10
	s_add_i32 s4, s21, s21
	v_addc_co_u32_e32 v19, vcc, 0, v1, vcc
	v_add_u32_e32 v1, s4, v0
	v_ashrrev_i32_e32 v2, 31, v1
	v_lshlrev_b64 v[2:3], 2, v[1:2]
	v_add_u32_e32 v1, s21, v1
	v_mov_b32_e32 v4, s1
	v_add_co_u32_e32 v20, vcc, s0, v2
	v_ashrrev_i32_e32 v2, 31, v1
	v_addc_co_u32_e32 v21, vcc, v4, v3, vcc
	v_lshlrev_b64 v[2:3], 2, v[1:2]
	v_add_u32_e32 v1, s21, v1
	v_add_co_u32_e32 v22, vcc, s0, v2
	v_ashrrev_i32_e32 v2, 31, v1
	v_addc_co_u32_e32 v23, vcc, v4, v3, vcc
	v_lshlrev_b64 v[2:3], 2, v[1:2]
	v_add_u32_e32 v1, s21, v1
	;; [unrolled: 5-line block ×4, first 2 shown]
	v_add_co_u32_e32 v28, vcc, s0, v2
	v_ashrrev_i32_e32 v2, 31, v1
	v_lshlrev_b64 v[1:2], 2, v[1:2]
	v_addc_co_u32_e32 v29, vcc, v4, v3, vcc
	s_ashr_i32 s3, s21, 31
	s_mov_b32 s2, s21
	v_mov_b32_e32 v3, s1
	v_add_co_u32_e32 v30, vcc, s0, v1
	s_lshl_b64 s[2:3], s[2:3], 2
	v_addc_co_u32_e32 v31, vcc, v3, v2, vcc
	v_mov_b32_e32 v1, s3
	v_add_co_u32_e32 v32, vcc, s2, v18
	v_addc_co_u32_e32 v33, vcc, v19, v1, vcc
	global_load_dword v2, v10, s[0:1]
	global_load_dword v3, v[32:33], off
	global_load_dword v4, v[20:21], off
	;; [unrolled: 1-line block ×7, first 2 shown]
	s_cmpk_lg_i32 s17, 0x84
	v_mov_b32_e32 v1, 0
	s_cselect_b64 s[18:19], -1, 0
	s_cmpk_eq_i32 s17, 0x84
	v_cmp_eq_u32_e64 s[0:1], 0, v0
	s_cbranch_scc1 .LBB7_3
; %bb.2:
	v_cmp_eq_u32_e64 s[2:3], 1, v0
	s_waitcnt vmcnt(6)
	v_cndmask_b32_e64 v11, v2, v3, s[2:3]
	v_cmp_eq_u32_e64 s[4:5], 2, v0
	s_waitcnt vmcnt(5)
	v_cndmask_b32_e64 v11, v11, v4, s[4:5]
	;; [unrolled: 3-line block ×7, first 2 shown]
	v_div_scale_f32 v12, s[20:21], v11, v11, 1.0
	v_div_scale_f32 v13, vcc, 1.0, v11, 1.0
	v_rcp_f32_e32 v14, v12
	v_fma_f32 v15, -v12, v14, 1.0
	v_fmac_f32_e32 v14, v15, v14
	v_mul_f32_e32 v15, v13, v14
	v_fma_f32 v16, -v12, v15, v13
	v_fmac_f32_e32 v15, v16, v14
	v_fma_f32 v12, -v12, v15, v13
	v_div_fmas_f32 v12, v12, v14, v15
	v_div_fixup_f32 v11, v12, v11, 1.0
	v_cndmask_b32_e64 v9, v9, v11, s[14:15]
	v_cndmask_b32_e64 v8, v8, v11, s[12:13]
	;; [unrolled: 1-line block ×8, first 2 shown]
	v_xor_b32_e32 v11, 0x80000000, v11
.LBB7_3:
	s_cmpk_eq_i32 s16, 0x79
	v_add_u32_e32 v34, 32, v10
	ds_write_b32 v10, v11
	s_cbranch_scc1 .LBB7_7
; %bb.4:
	s_waitcnt vmcnt(0)
	v_mov_b32_e32 v17, v9
	v_cmp_eq_u32_e64 s[0:1], 7, v0
	v_mov_b32_e32 v16, v8
	v_mov_b32_e32 v15, v7
	;; [unrolled: 1-line block ×7, first 2 shown]
	ds_write_b32 v34, v8
	s_waitcnt lgkmcnt(0)
	; wave barrier
	s_and_saveexec_b64 s[2:3], s[0:1]
	s_cbranch_execz .LBB7_11
; %bb.5:
	s_and_b64 vcc, exec, s[18:19]
	s_cbranch_vccz .LBB7_8
; %bb.6:
	v_cmp_eq_u32_e32 vcc, 1, v0
	v_cndmask_b32_e32 v10, v2, v3, vcc
	v_cmp_eq_u32_e32 vcc, 2, v0
	v_cndmask_b32_e32 v10, v10, v4, vcc
	;; [unrolled: 2-line block ×3, first 2 shown]
	v_cmp_eq_u32_e32 vcc, 4, v0
	ds_read_b32 v11, v34
	v_cndmask_b32_e32 v10, v10, v6, vcc
	v_cmp_eq_u32_e32 vcc, 5, v0
	v_cndmask_b32_e32 v10, v10, v7, vcc
	v_cmp_eq_u32_e32 vcc, 6, v0
	;; [unrolled: 2-line block ×3, first 2 shown]
	v_cndmask_b32_e32 v10, v10, v9, vcc
	s_waitcnt lgkmcnt(0)
	v_mul_f32_e32 v10, v10, v11
	s_cbranch_execz .LBB7_9
	s_branch .LBB7_10
.LBB7_7:
                                        ; implicit-def: $vgpr10_vgpr11_vgpr12_vgpr13_vgpr14_vgpr15_vgpr16_vgpr17
	s_cbranch_execnz .LBB7_98
	s_branch .LBB7_159
.LBB7_8:
                                        ; implicit-def: $vgpr10
.LBB7_9:
	ds_read_b32 v10, v34
.LBB7_10:
	v_mov_b32_e32 v11, 0
	ds_read_b32 v11, v11 offset:24
	s_waitcnt lgkmcnt(0)
	v_mul_f32_e32 v35, v10, v11
	v_mov_b32_e32 v17, v9
	v_mov_b32_e32 v16, v8
	;; [unrolled: 1-line block ×9, first 2 shown]
.LBB7_11:
	s_or_b64 exec, exec, s[2:3]
	v_cmp_lt_u32_e64 s[2:3], 5, v0
	ds_write_b32 v34, v15
	s_waitcnt lgkmcnt(0)
	; wave barrier
	s_and_saveexec_b64 s[4:5], s[2:3]
	s_cbranch_execz .LBB7_17
; %bb.12:
	s_andn2_b64 vcc, exec, s[18:19]
	s_cbranch_vccnz .LBB7_14
; %bb.13:
	v_cmp_eq_u32_e32 vcc, 1, v0
	v_cndmask_b32_e32 v35, v10, v11, vcc
	v_cmp_eq_u32_e32 vcc, 2, v0
	v_cndmask_b32_e32 v35, v35, v12, vcc
	;; [unrolled: 2-line block ×5, first 2 shown]
	ds_read_b32 v35, v34
	v_cmp_eq_u32_e32 vcc, 6, v0
	v_cndmask_b32_e32 v15, v15, v16, vcc
	v_cmp_eq_u32_e32 vcc, 7, v0
	v_cndmask_b32_e32 v15, v15, v17, vcc
	s_waitcnt lgkmcnt(0)
	v_mul_f32_e32 v15, v15, v35
	s_cbranch_execz .LBB7_15
	s_branch .LBB7_16
.LBB7_14:
                                        ; implicit-def: $vgpr15
.LBB7_15:
	ds_read_b32 v15, v34
.LBB7_16:
	v_mov_b32_e32 v35, 0
	ds_read2_b32 v[35:36], v35 offset0:5 offset1:14
	s_waitcnt lgkmcnt(0)
	v_fma_f32 v36, v16, v36, v15
	v_cndmask_b32_e64 v15, v15, v36, s[0:1]
	v_mul_f32_e32 v15, v15, v35
.LBB7_17:
	s_or_b64 exec, exec, s[4:5]
	v_cmp_lt_u32_e64 s[0:1], 4, v0
	ds_write_b32 v34, v14
	s_waitcnt lgkmcnt(0)
	; wave barrier
	s_and_saveexec_b64 s[4:5], s[0:1]
	s_cbranch_execz .LBB7_33
; %bb.18:
	s_andn2_b64 vcc, exec, s[18:19]
	s_cbranch_vccnz .LBB7_20
; %bb.19:
	v_cmp_eq_u32_e32 vcc, 1, v0
	v_cndmask_b32_e32 v35, v10, v11, vcc
	v_cmp_eq_u32_e32 vcc, 2, v0
	v_cndmask_b32_e32 v35, v35, v12, vcc
	;; [unrolled: 2-line block ×3, first 2 shown]
	v_cmp_eq_u32_e32 vcc, 4, v0
	ds_read_b32 v36, v34
	v_cndmask_b32_e32 v35, v35, v14, vcc
	v_cmp_eq_u32_e32 vcc, 5, v0
	v_cndmask_b32_e32 v35, v35, v15, vcc
	v_cmp_eq_u32_e32 vcc, 6, v0
	;; [unrolled: 2-line block ×3, first 2 shown]
	v_cndmask_b32_e32 v35, v35, v17, vcc
	s_waitcnt lgkmcnt(0)
	v_mul_f32_e32 v35, v35, v36
	s_cbranch_execz .LBB7_21
	s_branch .LBB7_22
.LBB7_20:
                                        ; implicit-def: $vgpr35
.LBB7_21:
	ds_read_b32 v35, v34
.LBB7_22:
	s_and_saveexec_b64 s[6:7], s[2:3]
	s_cbranch_execz .LBB7_32
; %bb.23:
	v_add_u32_e32 v37, -6, v0
	v_add_u32_e32 v36, -5, v0
	v_cmp_lt_u32_e32 vcc, 6, v37
	v_mov_b32_e32 v38, 5
	s_and_saveexec_b64 s[2:3], vcc
	s_cbranch_execz .LBB7_27
; %bb.24:
	v_and_b32_e32 v37, -8, v36
	v_sub_u32_e32 v37, 0, v37
	s_mov_b64 s[8:9], 12
	s_mov_b32 s12, 52
	s_mov_b64 s[10:11], 0
.LBB7_25:                               ; =>This Inner Loop Header: Depth=1
	s_add_i32 s13, s8, -7
	s_cmp_eq_u32 s13, 1
	s_cselect_b64 vcc, -1, 0
	s_cmp_eq_u32 s13, 2
	v_cndmask_b32_e32 v46, v10, v11, vcc
	s_cselect_b64 vcc, -1, 0
	s_cmp_eq_u32 s13, 3
	v_cndmask_b32_e32 v46, v46, v12, vcc
	;; [unrolled: 3-line block ×5, first 2 shown]
	s_cselect_b64 vcc, -1, 0
	s_cmp_eq_u32 s13, 7
	v_mov_b32_e32 v44, s12
	v_cndmask_b32_e32 v46, v46, v16, vcc
	s_cselect_b64 vcc, -1, 0
	s_add_i32 s13, s8, -6
	ds_read2_b32 v[38:39], v44 offset1:1
	ds_read2_b32 v[40:41], v44 offset0:2 offset1:3
	ds_read2_b32 v[42:43], v44 offset0:4 offset1:5
	;; [unrolled: 1-line block ×3, first 2 shown]
	s_cmp_eq_u32 s13, 1
	v_cndmask_b32_e32 v46, v46, v17, vcc
	s_cselect_b64 vcc, -1, 0
	s_cmp_eq_u32 s13, 2
	s_waitcnt lgkmcnt(3)
	v_fmac_f32_e32 v35, v46, v38
	v_cndmask_b32_e32 v38, v10, v11, vcc
	s_cselect_b64 vcc, -1, 0
	s_cmp_eq_u32 s13, 3
	v_cndmask_b32_e32 v38, v38, v12, vcc
	s_cselect_b64 vcc, -1, 0
	s_cmp_eq_u32 s13, 4
	;; [unrolled: 3-line block ×5, first 2 shown]
	v_cndmask_b32_e32 v38, v38, v16, vcc
	s_cselect_b64 vcc, -1, 0
	s_add_i32 s13, s8, -5
	s_cmp_eq_u32 s13, 1
	v_cndmask_b32_e32 v38, v38, v17, vcc
	s_cselect_b64 vcc, -1, 0
	s_cmp_eq_u32 s13, 2
	v_fmac_f32_e32 v35, v38, v39
	v_cndmask_b32_e32 v38, v10, v11, vcc
	s_cselect_b64 vcc, -1, 0
	s_cmp_eq_u32 s13, 3
	v_cndmask_b32_e32 v38, v38, v12, vcc
	s_cselect_b64 vcc, -1, 0
	s_cmp_eq_u32 s13, 4
	;; [unrolled: 3-line block ×5, first 2 shown]
	v_cndmask_b32_e32 v38, v38, v16, vcc
	s_cselect_b64 vcc, -1, 0
	s_add_i32 s13, s8, -4
	s_cmp_eq_u32 s13, 1
	v_cndmask_b32_e32 v38, v38, v17, vcc
	s_cselect_b64 vcc, -1, 0
	s_cmp_eq_u32 s13, 2
	s_waitcnt lgkmcnt(2)
	v_fmac_f32_e32 v35, v38, v40
	v_cndmask_b32_e32 v38, v10, v11, vcc
	s_cselect_b64 vcc, -1, 0
	s_cmp_eq_u32 s13, 3
	v_cndmask_b32_e32 v38, v38, v12, vcc
	s_cselect_b64 vcc, -1, 0
	s_cmp_eq_u32 s13, 4
	;; [unrolled: 3-line block ×5, first 2 shown]
	v_cndmask_b32_e32 v38, v38, v16, vcc
	s_cselect_b64 vcc, -1, 0
	s_add_i32 s13, s8, -3
	s_cmp_eq_u32 s13, 1
	v_cndmask_b32_e32 v38, v38, v17, vcc
	s_cselect_b64 vcc, -1, 0
	s_cmp_eq_u32 s13, 2
	v_fmac_f32_e32 v35, v38, v41
	v_cndmask_b32_e32 v38, v10, v11, vcc
	s_cselect_b64 vcc, -1, 0
	s_cmp_eq_u32 s13, 3
	v_cndmask_b32_e32 v38, v38, v12, vcc
	s_cselect_b64 vcc, -1, 0
	s_cmp_eq_u32 s13, 4
	;; [unrolled: 3-line block ×5, first 2 shown]
	v_cndmask_b32_e32 v38, v38, v16, vcc
	s_cselect_b64 vcc, -1, 0
	s_add_i32 s13, s8, -2
	s_cmp_eq_u32 s13, 1
	v_cndmask_b32_e32 v38, v38, v17, vcc
	s_cselect_b64 vcc, -1, 0
	s_cmp_eq_u32 s13, 2
	s_waitcnt lgkmcnt(1)
	v_fmac_f32_e32 v35, v38, v42
	v_cndmask_b32_e32 v38, v10, v11, vcc
	s_cselect_b64 vcc, -1, 0
	s_cmp_eq_u32 s13, 3
	v_cndmask_b32_e32 v38, v38, v12, vcc
	s_cselect_b64 vcc, -1, 0
	s_cmp_eq_u32 s13, 4
	;; [unrolled: 3-line block ×5, first 2 shown]
	v_cndmask_b32_e32 v38, v38, v16, vcc
	s_cselect_b64 vcc, -1, 0
	s_add_i32 s13, s8, -1
	s_cmp_eq_u32 s13, 1
	v_cndmask_b32_e32 v38, v38, v17, vcc
	s_cselect_b64 vcc, -1, 0
	s_cmp_eq_u32 s13, 2
	v_fmac_f32_e32 v35, v38, v43
	v_cndmask_b32_e32 v38, v10, v11, vcc
	s_cselect_b64 vcc, -1, 0
	s_cmp_eq_u32 s13, 3
	v_cndmask_b32_e32 v38, v38, v12, vcc
	s_cselect_b64 vcc, -1, 0
	s_cmp_eq_u32 s13, 4
	;; [unrolled: 3-line block ×7, first 2 shown]
	s_waitcnt lgkmcnt(0)
	v_fmac_f32_e32 v35, v38, v44
	v_cndmask_b32_e32 v38, v10, v11, vcc
	s_cselect_b64 vcc, -1, 0
	s_cmp_eq_u32 s8, 3
	v_cndmask_b32_e32 v38, v38, v12, vcc
	s_cselect_b64 vcc, -1, 0
	s_cmp_eq_u32 s8, 4
	;; [unrolled: 3-line block ×5, first 2 shown]
	v_cndmask_b32_e32 v38, v38, v16, vcc
	s_cselect_b64 vcc, -1, 0
	s_add_u32 s8, s8, 8
	v_add_u32_e32 v39, s8, v37
	v_cndmask_b32_e32 v38, v38, v17, vcc
	s_addc_u32 s9, s9, 0
	s_add_i32 s12, s12, 32
	s_add_i32 s13, s8, -7
	v_cmp_eq_u32_e32 vcc, 12, v39
	v_fmac_f32_e32 v35, v38, v45
	s_or_b64 s[10:11], vcc, s[10:11]
	v_mov_b32_e32 v38, s13
	s_andn2_b64 exec, exec, s[10:11]
	s_cbranch_execnz .LBB7_25
; %bb.26:
	s_or_b64 exec, exec, s[10:11]
.LBB7_27:
	s_or_b64 exec, exec, s[2:3]
	v_and_b32_e32 v36, 7, v36
	v_cmp_ne_u32_e32 vcc, 0, v36
	s_and_saveexec_b64 s[8:9], vcc
	s_cbranch_execz .LBB7_31
; %bb.28:
	v_lshl_add_u32 v37, v38, 2, 32
	v_mov_b32_e32 v39, 0
	s_mov_b64 s[10:11], 0
.LBB7_29:                               ; =>This Inner Loop Header: Depth=1
	v_cmp_eq_u32_e32 vcc, 1, v38
	v_cndmask_b32_e32 v40, v10, v11, vcc
	v_add_u32_e32 v36, -1, v36
	v_cmp_eq_u32_e32 vcc, 2, v38
	v_cndmask_b32_e32 v40, v40, v12, vcc
	v_cmp_eq_u32_e32 vcc, 0, v36
	v_cmp_eq_u32_e64 s[2:3], 3, v38
	ds_read_b32 v41, v37
	v_cndmask_b32_e64 v40, v40, v13, s[2:3]
	s_or_b64 s[10:11], vcc, s[10:11]
	v_cmp_eq_u32_e32 vcc, 4, v38
	v_cndmask_b32_e32 v40, v40, v14, vcc
	v_cmp_eq_u32_e32 vcc, 5, v38
	v_cndmask_b32_e32 v40, v40, v15, vcc
	;; [unrolled: 2-line block ×3, first 2 shown]
	v_cmp_eq_u32_e32 vcc, 7, v38
	v_add_co_u32_e64 v38, s[2:3], 1, v38
	v_cndmask_b32_e32 v40, v40, v17, vcc
	v_add_u32_e32 v37, 4, v37
	v_addc_co_u32_e64 v39, s[2:3], 0, v39, s[2:3]
	s_waitcnt lgkmcnt(0)
	v_fmac_f32_e32 v35, v40, v41
	s_andn2_b64 exec, exec, s[10:11]
	s_cbranch_execnz .LBB7_29
; %bb.30:
	s_or_b64 exec, exec, s[10:11]
.LBB7_31:
	s_or_b64 exec, exec, s[8:9]
.LBB7_32:
	s_or_b64 exec, exec, s[6:7]
	v_mov_b32_e32 v14, 0
	ds_read_b32 v14, v14 offset:16
	s_waitcnt lgkmcnt(0)
	v_mul_f32_e32 v14, v35, v14
.LBB7_33:
	s_or_b64 exec, exec, s[4:5]
	v_cmp_lt_u32_e64 s[2:3], 3, v0
	ds_write_b32 v34, v13
	s_waitcnt lgkmcnt(0)
	; wave barrier
	s_and_saveexec_b64 s[4:5], s[2:3]
	s_cbranch_execz .LBB7_49
; %bb.34:
	s_andn2_b64 vcc, exec, s[18:19]
	s_cbranch_vccnz .LBB7_36
; %bb.35:
	v_cmp_eq_u32_e32 vcc, 1, v0
	v_cndmask_b32_e32 v35, v10, v11, vcc
	v_cmp_eq_u32_e32 vcc, 2, v0
	v_cndmask_b32_e32 v35, v35, v12, vcc
	;; [unrolled: 2-line block ×3, first 2 shown]
	v_cmp_eq_u32_e32 vcc, 4, v0
	ds_read_b32 v36, v34
	v_cndmask_b32_e32 v35, v35, v14, vcc
	v_cmp_eq_u32_e32 vcc, 5, v0
	v_cndmask_b32_e32 v35, v35, v15, vcc
	v_cmp_eq_u32_e32 vcc, 6, v0
	;; [unrolled: 2-line block ×3, first 2 shown]
	v_cndmask_b32_e32 v35, v35, v17, vcc
	s_waitcnt lgkmcnt(0)
	v_mul_f32_e32 v35, v35, v36
	s_cbranch_execz .LBB7_37
	s_branch .LBB7_38
.LBB7_36:
                                        ; implicit-def: $vgpr35
.LBB7_37:
	ds_read_b32 v35, v34
.LBB7_38:
	s_and_saveexec_b64 s[6:7], s[0:1]
	s_cbranch_execz .LBB7_48
; %bb.39:
	v_add_u32_e32 v37, -5, v0
	v_add_u32_e32 v36, -4, v0
	v_cmp_lt_u32_e32 vcc, 6, v37
	v_mov_b32_e32 v38, 4
	s_and_saveexec_b64 s[0:1], vcc
	s_cbranch_execz .LBB7_43
; %bb.40:
	v_and_b32_e32 v37, -8, v36
	v_sub_u32_e32 v37, 0, v37
	s_mov_b64 s[8:9], 5
	s_mov_b32 s12, 48
	s_mov_b64 s[10:11], 0
.LBB7_41:                               ; =>This Inner Loop Header: Depth=1
	s_add_i32 s13, s8, -1
	s_cmp_eq_u32 s13, 1
	s_cselect_b64 vcc, -1, 0
	s_cmp_eq_u32 s13, 2
	v_cndmask_b32_e32 v46, v10, v11, vcc
	s_cselect_b64 vcc, -1, 0
	s_cmp_eq_u32 s13, 3
	v_cndmask_b32_e32 v46, v46, v12, vcc
	s_cselect_b64 vcc, -1, 0
	s_cmp_eq_u32 s13, 4
	v_mov_b32_e32 v42, s12
	v_cndmask_b32_e32 v46, v46, v13, vcc
	s_cselect_b64 vcc, -1, 0
	s_cmp_eq_u32 s13, 5
	ds_read_b128 v[38:41], v42
	ds_read_b128 v[42:45], v42 offset:16
	v_cndmask_b32_e32 v46, v46, v14, vcc
	s_cselect_b64 vcc, -1, 0
	s_cmp_eq_u32 s13, 6
	v_cndmask_b32_e32 v46, v46, v15, vcc
	s_cselect_b64 vcc, -1, 0
	s_cmp_eq_u32 s13, 7
	;; [unrolled: 3-line block ×4, first 2 shown]
	s_waitcnt lgkmcnt(1)
	v_fmac_f32_e32 v35, v46, v38
	v_cndmask_b32_e32 v38, v10, v11, vcc
	s_cselect_b64 vcc, -1, 0
	s_cmp_eq_u32 s8, 3
	v_cndmask_b32_e32 v38, v38, v12, vcc
	s_cselect_b64 vcc, -1, 0
	s_cmp_eq_u32 s8, 4
	v_cndmask_b32_e32 v38, v38, v13, vcc
	s_cselect_b64 vcc, -1, 0
	s_cmp_eq_u32 s8, 5
	v_cndmask_b32_e32 v38, v38, v14, vcc
	s_cselect_b64 vcc, -1, 0
	s_cmp_eq_u32 s8, 6
	v_cndmask_b32_e32 v38, v38, v15, vcc
	s_cselect_b64 vcc, -1, 0
	s_cmp_eq_u32 s8, 7
	v_cndmask_b32_e32 v38, v38, v16, vcc
	s_cselect_b64 vcc, -1, 0
	s_add_i32 s13, s8, 1
	s_cmp_eq_u32 s13, 1
	v_cndmask_b32_e32 v38, v38, v17, vcc
	s_cselect_b64 vcc, -1, 0
	s_cmp_eq_u32 s13, 2
	v_fmac_f32_e32 v35, v38, v39
	v_cndmask_b32_e32 v38, v10, v11, vcc
	s_cselect_b64 vcc, -1, 0
	s_cmp_eq_u32 s13, 3
	v_cndmask_b32_e32 v38, v38, v12, vcc
	s_cselect_b64 vcc, -1, 0
	s_cmp_eq_u32 s13, 4
	v_cndmask_b32_e32 v38, v38, v13, vcc
	s_cselect_b64 vcc, -1, 0
	s_cmp_eq_u32 s13, 5
	v_cndmask_b32_e32 v38, v38, v14, vcc
	s_cselect_b64 vcc, -1, 0
	s_cmp_eq_u32 s13, 6
	v_cndmask_b32_e32 v38, v38, v15, vcc
	s_cselect_b64 vcc, -1, 0
	s_cmp_eq_u32 s13, 7
	v_cndmask_b32_e32 v38, v38, v16, vcc
	s_cselect_b64 vcc, -1, 0
	s_add_i32 s13, s8, 2
	s_cmp_eq_u32 s13, 1
	v_cndmask_b32_e32 v38, v38, v17, vcc
	s_cselect_b64 vcc, -1, 0
	s_cmp_eq_u32 s13, 2
	;; [unrolled: 23-line block ×4, first 2 shown]
	s_waitcnt lgkmcnt(0)
	v_fmac_f32_e32 v35, v38, v42
	v_cndmask_b32_e32 v38, v10, v11, vcc
	s_cselect_b64 vcc, -1, 0
	s_cmp_eq_u32 s13, 3
	v_cndmask_b32_e32 v38, v38, v12, vcc
	s_cselect_b64 vcc, -1, 0
	s_cmp_eq_u32 s13, 4
	;; [unrolled: 3-line block ×5, first 2 shown]
	v_cndmask_b32_e32 v38, v38, v16, vcc
	s_cselect_b64 vcc, -1, 0
	s_add_i32 s13, s8, 5
	s_cmp_eq_u32 s13, 1
	v_cndmask_b32_e32 v38, v38, v17, vcc
	s_cselect_b64 vcc, -1, 0
	s_cmp_eq_u32 s13, 2
	v_fmac_f32_e32 v35, v38, v43
	v_cndmask_b32_e32 v38, v10, v11, vcc
	s_cselect_b64 vcc, -1, 0
	s_cmp_eq_u32 s13, 3
	v_cndmask_b32_e32 v38, v38, v12, vcc
	s_cselect_b64 vcc, -1, 0
	s_cmp_eq_u32 s13, 4
	;; [unrolled: 3-line block ×5, first 2 shown]
	v_cndmask_b32_e32 v38, v38, v16, vcc
	s_cselect_b64 vcc, -1, 0
	s_add_i32 s13, s8, 6
	s_cmp_eq_u32 s13, 1
	v_cndmask_b32_e32 v38, v38, v17, vcc
	s_cselect_b64 vcc, -1, 0
	s_cmp_eq_u32 s13, 2
	v_fmac_f32_e32 v35, v38, v44
	v_cndmask_b32_e32 v38, v10, v11, vcc
	s_cselect_b64 vcc, -1, 0
	s_cmp_eq_u32 s13, 3
	v_cndmask_b32_e32 v38, v38, v12, vcc
	s_cselect_b64 vcc, -1, 0
	s_cmp_eq_u32 s13, 4
	v_cndmask_b32_e32 v38, v38, v13, vcc
	s_cselect_b64 vcc, -1, 0
	s_cmp_eq_u32 s13, 5
	v_cndmask_b32_e32 v38, v38, v14, vcc
	s_cselect_b64 vcc, -1, 0
	s_cmp_eq_u32 s13, 6
	v_cndmask_b32_e32 v38, v38, v15, vcc
	s_cselect_b64 vcc, -1, 0
	s_cmp_eq_u32 s13, 7
	v_cndmask_b32_e32 v38, v38, v16, vcc
	s_cselect_b64 vcc, -1, 0
	v_cndmask_b32_e32 v38, v38, v17, vcc
	s_add_u32 s8, s8, 8
	v_fmac_f32_e32 v35, v38, v45
	v_add_u32_e32 v38, s8, v37
	s_addc_u32 s9, s9, 0
	s_add_i32 s12, s12, 32
	s_add_i32 s13, s8, -1
	v_cmp_eq_u32_e32 vcc, 5, v38
	s_or_b64 s[10:11], vcc, s[10:11]
	v_mov_b32_e32 v38, s13
	s_andn2_b64 exec, exec, s[10:11]
	s_cbranch_execnz .LBB7_41
; %bb.42:
	s_or_b64 exec, exec, s[10:11]
.LBB7_43:
	s_or_b64 exec, exec, s[0:1]
	v_and_b32_e32 v36, 7, v36
	v_cmp_ne_u32_e32 vcc, 0, v36
	s_and_saveexec_b64 s[8:9], vcc
	s_cbranch_execz .LBB7_47
; %bb.44:
	v_lshl_add_u32 v37, v38, 2, 32
	v_mov_b32_e32 v39, 0
	s_mov_b64 s[10:11], 0
.LBB7_45:                               ; =>This Inner Loop Header: Depth=1
	v_cmp_eq_u32_e32 vcc, 1, v38
	v_cndmask_b32_e32 v40, v10, v11, vcc
	v_add_u32_e32 v36, -1, v36
	v_cmp_eq_u32_e32 vcc, 2, v38
	v_cndmask_b32_e32 v40, v40, v12, vcc
	v_cmp_eq_u32_e32 vcc, 0, v36
	v_cmp_eq_u32_e64 s[0:1], 3, v38
	ds_read_b32 v41, v37
	v_cndmask_b32_e64 v40, v40, v13, s[0:1]
	s_or_b64 s[10:11], vcc, s[10:11]
	v_cmp_eq_u32_e32 vcc, 4, v38
	v_cndmask_b32_e32 v40, v40, v14, vcc
	v_cmp_eq_u32_e32 vcc, 5, v38
	v_cndmask_b32_e32 v40, v40, v15, vcc
	;; [unrolled: 2-line block ×3, first 2 shown]
	v_cmp_eq_u32_e32 vcc, 7, v38
	v_add_co_u32_e64 v38, s[0:1], 1, v38
	v_cndmask_b32_e32 v40, v40, v17, vcc
	v_add_u32_e32 v37, 4, v37
	v_addc_co_u32_e64 v39, s[0:1], 0, v39, s[0:1]
	s_waitcnt lgkmcnt(0)
	v_fmac_f32_e32 v35, v40, v41
	s_andn2_b64 exec, exec, s[10:11]
	s_cbranch_execnz .LBB7_45
; %bb.46:
	s_or_b64 exec, exec, s[10:11]
.LBB7_47:
	s_or_b64 exec, exec, s[8:9]
.LBB7_48:
	s_or_b64 exec, exec, s[6:7]
	v_mov_b32_e32 v13, 0
	ds_read_b32 v13, v13 offset:12
	s_waitcnt lgkmcnt(0)
	v_mul_f32_e32 v13, v35, v13
.LBB7_49:
	s_or_b64 exec, exec, s[4:5]
	v_cmp_lt_u32_e64 s[0:1], 2, v0
	ds_write_b32 v34, v12
	s_waitcnt lgkmcnt(0)
	; wave barrier
	s_and_saveexec_b64 s[4:5], s[0:1]
	s_cbranch_execz .LBB7_65
; %bb.50:
	s_andn2_b64 vcc, exec, s[18:19]
	s_cbranch_vccnz .LBB7_52
; %bb.51:
	v_cmp_eq_u32_e32 vcc, 1, v0
	v_cndmask_b32_e32 v35, v10, v11, vcc
	v_cmp_eq_u32_e32 vcc, 2, v0
	v_cndmask_b32_e32 v35, v35, v12, vcc
	;; [unrolled: 2-line block ×3, first 2 shown]
	v_cmp_eq_u32_e32 vcc, 4, v0
	ds_read_b32 v36, v34
	v_cndmask_b32_e32 v35, v35, v14, vcc
	v_cmp_eq_u32_e32 vcc, 5, v0
	v_cndmask_b32_e32 v35, v35, v15, vcc
	v_cmp_eq_u32_e32 vcc, 6, v0
	;; [unrolled: 2-line block ×3, first 2 shown]
	v_cndmask_b32_e32 v35, v35, v17, vcc
	s_waitcnt lgkmcnt(0)
	v_mul_f32_e32 v35, v35, v36
	s_cbranch_execz .LBB7_53
	s_branch .LBB7_54
.LBB7_52:
                                        ; implicit-def: $vgpr35
.LBB7_53:
	ds_read_b32 v35, v34
.LBB7_54:
	s_and_saveexec_b64 s[6:7], s[2:3]
	s_cbranch_execz .LBB7_64
; %bb.55:
	v_add_u32_e32 v37, -4, v0
	v_add_u32_e32 v36, -3, v0
	v_cmp_lt_u32_e32 vcc, 6, v37
	v_mov_b32_e32 v38, 3
	s_and_saveexec_b64 s[2:3], vcc
	s_cbranch_execz .LBB7_59
; %bb.56:
	v_and_b32_e32 v37, -8, v36
	v_sub_u32_e32 v37, 0, v37
	s_mov_b64 s[8:9], 10
	s_mov_b32 s12, 44
	s_mov_b64 s[10:11], 0
.LBB7_57:                               ; =>This Inner Loop Header: Depth=1
	s_add_i32 s13, s8, -7
	s_cmp_eq_u32 s13, 1
	s_cselect_b64 vcc, -1, 0
	s_cmp_eq_u32 s13, 2
	v_cndmask_b32_e32 v46, v10, v11, vcc
	s_cselect_b64 vcc, -1, 0
	s_cmp_eq_u32 s13, 3
	v_cndmask_b32_e32 v46, v46, v12, vcc
	s_cselect_b64 vcc, -1, 0
	s_cmp_eq_u32 s13, 4
	v_cndmask_b32_e32 v46, v46, v13, vcc
	s_cselect_b64 vcc, -1, 0
	s_cmp_eq_u32 s13, 5
	v_cndmask_b32_e32 v46, v46, v14, vcc
	s_cselect_b64 vcc, -1, 0
	s_cmp_eq_u32 s13, 6
	v_cndmask_b32_e32 v46, v46, v15, vcc
	s_cselect_b64 vcc, -1, 0
	s_cmp_eq_u32 s13, 7
	v_mov_b32_e32 v44, s12
	v_cndmask_b32_e32 v46, v46, v16, vcc
	s_cselect_b64 vcc, -1, 0
	s_add_i32 s13, s8, -6
	ds_read2_b32 v[38:39], v44 offset1:1
	ds_read2_b32 v[40:41], v44 offset0:2 offset1:3
	ds_read2_b32 v[42:43], v44 offset0:4 offset1:5
	;; [unrolled: 1-line block ×3, first 2 shown]
	s_cmp_eq_u32 s13, 1
	v_cndmask_b32_e32 v46, v46, v17, vcc
	s_cselect_b64 vcc, -1, 0
	s_cmp_eq_u32 s13, 2
	s_waitcnt lgkmcnt(3)
	v_fmac_f32_e32 v35, v46, v38
	v_cndmask_b32_e32 v38, v10, v11, vcc
	s_cselect_b64 vcc, -1, 0
	s_cmp_eq_u32 s13, 3
	v_cndmask_b32_e32 v38, v38, v12, vcc
	s_cselect_b64 vcc, -1, 0
	s_cmp_eq_u32 s13, 4
	;; [unrolled: 3-line block ×5, first 2 shown]
	v_cndmask_b32_e32 v38, v38, v16, vcc
	s_cselect_b64 vcc, -1, 0
	s_add_i32 s13, s8, -5
	s_cmp_eq_u32 s13, 1
	v_cndmask_b32_e32 v38, v38, v17, vcc
	s_cselect_b64 vcc, -1, 0
	s_cmp_eq_u32 s13, 2
	v_fmac_f32_e32 v35, v38, v39
	v_cndmask_b32_e32 v38, v10, v11, vcc
	s_cselect_b64 vcc, -1, 0
	s_cmp_eq_u32 s13, 3
	v_cndmask_b32_e32 v38, v38, v12, vcc
	s_cselect_b64 vcc, -1, 0
	s_cmp_eq_u32 s13, 4
	;; [unrolled: 3-line block ×5, first 2 shown]
	v_cndmask_b32_e32 v38, v38, v16, vcc
	s_cselect_b64 vcc, -1, 0
	s_add_i32 s13, s8, -4
	s_cmp_eq_u32 s13, 1
	v_cndmask_b32_e32 v38, v38, v17, vcc
	s_cselect_b64 vcc, -1, 0
	s_cmp_eq_u32 s13, 2
	s_waitcnt lgkmcnt(2)
	v_fmac_f32_e32 v35, v38, v40
	v_cndmask_b32_e32 v38, v10, v11, vcc
	s_cselect_b64 vcc, -1, 0
	s_cmp_eq_u32 s13, 3
	v_cndmask_b32_e32 v38, v38, v12, vcc
	s_cselect_b64 vcc, -1, 0
	s_cmp_eq_u32 s13, 4
	;; [unrolled: 3-line block ×5, first 2 shown]
	v_cndmask_b32_e32 v38, v38, v16, vcc
	s_cselect_b64 vcc, -1, 0
	s_add_i32 s13, s8, -3
	s_cmp_eq_u32 s13, 1
	v_cndmask_b32_e32 v38, v38, v17, vcc
	s_cselect_b64 vcc, -1, 0
	s_cmp_eq_u32 s13, 2
	v_fmac_f32_e32 v35, v38, v41
	v_cndmask_b32_e32 v38, v10, v11, vcc
	s_cselect_b64 vcc, -1, 0
	s_cmp_eq_u32 s13, 3
	v_cndmask_b32_e32 v38, v38, v12, vcc
	s_cselect_b64 vcc, -1, 0
	s_cmp_eq_u32 s13, 4
	;; [unrolled: 3-line block ×5, first 2 shown]
	v_cndmask_b32_e32 v38, v38, v16, vcc
	s_cselect_b64 vcc, -1, 0
	s_add_i32 s13, s8, -2
	s_cmp_eq_u32 s13, 1
	v_cndmask_b32_e32 v38, v38, v17, vcc
	s_cselect_b64 vcc, -1, 0
	s_cmp_eq_u32 s13, 2
	s_waitcnt lgkmcnt(1)
	v_fmac_f32_e32 v35, v38, v42
	v_cndmask_b32_e32 v38, v10, v11, vcc
	s_cselect_b64 vcc, -1, 0
	s_cmp_eq_u32 s13, 3
	v_cndmask_b32_e32 v38, v38, v12, vcc
	s_cselect_b64 vcc, -1, 0
	s_cmp_eq_u32 s13, 4
	;; [unrolled: 3-line block ×5, first 2 shown]
	v_cndmask_b32_e32 v38, v38, v16, vcc
	s_cselect_b64 vcc, -1, 0
	s_add_i32 s13, s8, -1
	s_cmp_eq_u32 s13, 1
	v_cndmask_b32_e32 v38, v38, v17, vcc
	s_cselect_b64 vcc, -1, 0
	s_cmp_eq_u32 s13, 2
	v_fmac_f32_e32 v35, v38, v43
	v_cndmask_b32_e32 v38, v10, v11, vcc
	s_cselect_b64 vcc, -1, 0
	s_cmp_eq_u32 s13, 3
	v_cndmask_b32_e32 v38, v38, v12, vcc
	s_cselect_b64 vcc, -1, 0
	s_cmp_eq_u32 s13, 4
	;; [unrolled: 3-line block ×7, first 2 shown]
	s_waitcnt lgkmcnt(0)
	v_fmac_f32_e32 v35, v38, v44
	v_cndmask_b32_e32 v38, v10, v11, vcc
	s_cselect_b64 vcc, -1, 0
	s_cmp_eq_u32 s8, 3
	v_cndmask_b32_e32 v38, v38, v12, vcc
	s_cselect_b64 vcc, -1, 0
	s_cmp_eq_u32 s8, 4
	;; [unrolled: 3-line block ×5, first 2 shown]
	v_cndmask_b32_e32 v38, v38, v16, vcc
	s_cselect_b64 vcc, -1, 0
	v_cndmask_b32_e32 v38, v38, v17, vcc
	s_add_u32 s8, s8, 8
	v_fmac_f32_e32 v35, v38, v45
	v_add_u32_e32 v38, s8, v37
	s_addc_u32 s9, s9, 0
	s_add_i32 s12, s12, 32
	s_add_i32 s13, s8, -7
	v_cmp_eq_u32_e32 vcc, 10, v38
	s_or_b64 s[10:11], vcc, s[10:11]
	v_mov_b32_e32 v38, s13
	s_andn2_b64 exec, exec, s[10:11]
	s_cbranch_execnz .LBB7_57
; %bb.58:
	s_or_b64 exec, exec, s[10:11]
.LBB7_59:
	s_or_b64 exec, exec, s[2:3]
	v_and_b32_e32 v36, 7, v36
	v_cmp_ne_u32_e32 vcc, 0, v36
	s_and_saveexec_b64 s[8:9], vcc
	s_cbranch_execz .LBB7_63
; %bb.60:
	v_lshl_add_u32 v37, v38, 2, 32
	v_mov_b32_e32 v39, 0
	s_mov_b64 s[10:11], 0
.LBB7_61:                               ; =>This Inner Loop Header: Depth=1
	v_cmp_eq_u32_e32 vcc, 1, v38
	v_cndmask_b32_e32 v40, v10, v11, vcc
	v_add_u32_e32 v36, -1, v36
	v_cmp_eq_u32_e32 vcc, 2, v38
	v_cndmask_b32_e32 v40, v40, v12, vcc
	v_cmp_eq_u32_e32 vcc, 0, v36
	v_cmp_eq_u32_e64 s[2:3], 3, v38
	ds_read_b32 v41, v37
	v_cndmask_b32_e64 v40, v40, v13, s[2:3]
	s_or_b64 s[10:11], vcc, s[10:11]
	v_cmp_eq_u32_e32 vcc, 4, v38
	v_cndmask_b32_e32 v40, v40, v14, vcc
	v_cmp_eq_u32_e32 vcc, 5, v38
	v_cndmask_b32_e32 v40, v40, v15, vcc
	;; [unrolled: 2-line block ×3, first 2 shown]
	v_cmp_eq_u32_e32 vcc, 7, v38
	v_add_co_u32_e64 v38, s[2:3], 1, v38
	v_cndmask_b32_e32 v40, v40, v17, vcc
	v_add_u32_e32 v37, 4, v37
	v_addc_co_u32_e64 v39, s[2:3], 0, v39, s[2:3]
	s_waitcnt lgkmcnt(0)
	v_fmac_f32_e32 v35, v40, v41
	s_andn2_b64 exec, exec, s[10:11]
	s_cbranch_execnz .LBB7_61
; %bb.62:
	s_or_b64 exec, exec, s[10:11]
.LBB7_63:
	s_or_b64 exec, exec, s[8:9]
.LBB7_64:
	s_or_b64 exec, exec, s[6:7]
	v_mov_b32_e32 v12, 0
	ds_read_b32 v12, v12 offset:8
	s_waitcnt lgkmcnt(0)
	v_mul_f32_e32 v12, v35, v12
.LBB7_65:
	s_or_b64 exec, exec, s[4:5]
	v_cmp_lt_u32_e64 s[2:3], 1, v0
	ds_write_b32 v34, v11
	s_waitcnt lgkmcnt(0)
	; wave barrier
	s_and_saveexec_b64 s[4:5], s[2:3]
	s_cbranch_execz .LBB7_81
; %bb.66:
	s_andn2_b64 vcc, exec, s[18:19]
	s_cbranch_vccnz .LBB7_68
; %bb.67:
	v_cmp_eq_u32_e32 vcc, 1, v0
	v_cndmask_b32_e32 v35, v10, v11, vcc
	v_cmp_eq_u32_e32 vcc, 2, v0
	v_cndmask_b32_e32 v35, v35, v12, vcc
	;; [unrolled: 2-line block ×3, first 2 shown]
	v_cmp_eq_u32_e32 vcc, 4, v0
	ds_read_b32 v36, v34
	v_cndmask_b32_e32 v35, v35, v14, vcc
	v_cmp_eq_u32_e32 vcc, 5, v0
	v_cndmask_b32_e32 v35, v35, v15, vcc
	v_cmp_eq_u32_e32 vcc, 6, v0
	;; [unrolled: 2-line block ×3, first 2 shown]
	v_cndmask_b32_e32 v35, v35, v17, vcc
	s_waitcnt lgkmcnt(0)
	v_mul_f32_e32 v35, v35, v36
	s_cbranch_execz .LBB7_69
	s_branch .LBB7_70
.LBB7_68:
                                        ; implicit-def: $vgpr35
.LBB7_69:
	ds_read_b32 v35, v34
.LBB7_70:
	s_and_saveexec_b64 s[6:7], s[0:1]
	s_cbranch_execz .LBB7_80
; %bb.71:
	v_add_u32_e32 v37, -3, v0
	v_add_u32_e32 v36, -2, v0
	v_cmp_lt_u32_e32 vcc, 6, v37
	v_mov_b32_e32 v38, 2
	s_and_saveexec_b64 s[0:1], vcc
	s_cbranch_execz .LBB7_75
; %bb.72:
	v_and_b32_e32 v37, -8, v36
	v_sub_u32_e32 v37, 0, v37
	s_mov_b64 s[8:9], 9
	s_mov_b32 s12, 40
	s_mov_b64 s[10:11], 0
.LBB7_73:                               ; =>This Inner Loop Header: Depth=1
	s_add_i32 s13, s8, -7
	s_cmp_eq_u32 s13, 1
	s_cselect_b64 vcc, -1, 0
	s_cmp_eq_u32 s13, 2
	v_cndmask_b32_e32 v46, v10, v11, vcc
	s_cselect_b64 vcc, -1, 0
	s_cmp_eq_u32 s13, 3
	v_cndmask_b32_e32 v46, v46, v12, vcc
	;; [unrolled: 3-line block ×3, first 2 shown]
	s_cselect_b64 vcc, -1, 0
	s_cmp_eq_u32 s13, 5
	v_mov_b32_e32 v42, s12
	v_cndmask_b32_e32 v46, v46, v14, vcc
	s_cselect_b64 vcc, -1, 0
	s_cmp_eq_u32 s13, 6
	ds_read2_b64 v[38:41], v42 offset1:1
	ds_read2_b64 v[42:45], v42 offset0:2 offset1:3
	v_cndmask_b32_e32 v46, v46, v15, vcc
	s_cselect_b64 vcc, -1, 0
	s_cmp_eq_u32 s13, 7
	v_cndmask_b32_e32 v46, v46, v16, vcc
	s_cselect_b64 vcc, -1, 0
	s_add_i32 s13, s8, -6
	s_cmp_eq_u32 s13, 1
	v_cndmask_b32_e32 v46, v46, v17, vcc
	s_cselect_b64 vcc, -1, 0
	s_cmp_eq_u32 s13, 2
	s_waitcnt lgkmcnt(1)
	v_fmac_f32_e32 v35, v46, v38
	v_cndmask_b32_e32 v38, v10, v11, vcc
	s_cselect_b64 vcc, -1, 0
	s_cmp_eq_u32 s13, 3
	v_cndmask_b32_e32 v38, v38, v12, vcc
	s_cselect_b64 vcc, -1, 0
	s_cmp_eq_u32 s13, 4
	v_cndmask_b32_e32 v38, v38, v13, vcc
	s_cselect_b64 vcc, -1, 0
	s_cmp_eq_u32 s13, 5
	v_cndmask_b32_e32 v38, v38, v14, vcc
	s_cselect_b64 vcc, -1, 0
	s_cmp_eq_u32 s13, 6
	v_cndmask_b32_e32 v38, v38, v15, vcc
	s_cselect_b64 vcc, -1, 0
	s_cmp_eq_u32 s13, 7
	v_cndmask_b32_e32 v38, v38, v16, vcc
	s_cselect_b64 vcc, -1, 0
	s_add_i32 s13, s8, -5
	s_cmp_eq_u32 s13, 1
	v_cndmask_b32_e32 v38, v38, v17, vcc
	s_cselect_b64 vcc, -1, 0
	s_cmp_eq_u32 s13, 2
	v_fmac_f32_e32 v35, v38, v39
	v_cndmask_b32_e32 v38, v10, v11, vcc
	s_cselect_b64 vcc, -1, 0
	s_cmp_eq_u32 s13, 3
	v_cndmask_b32_e32 v38, v38, v12, vcc
	s_cselect_b64 vcc, -1, 0
	s_cmp_eq_u32 s13, 4
	v_cndmask_b32_e32 v38, v38, v13, vcc
	s_cselect_b64 vcc, -1, 0
	s_cmp_eq_u32 s13, 5
	v_cndmask_b32_e32 v38, v38, v14, vcc
	s_cselect_b64 vcc, -1, 0
	s_cmp_eq_u32 s13, 6
	v_cndmask_b32_e32 v38, v38, v15, vcc
	s_cselect_b64 vcc, -1, 0
	s_cmp_eq_u32 s13, 7
	v_cndmask_b32_e32 v38, v38, v16, vcc
	s_cselect_b64 vcc, -1, 0
	s_add_i32 s13, s8, -4
	s_cmp_eq_u32 s13, 1
	v_cndmask_b32_e32 v38, v38, v17, vcc
	s_cselect_b64 vcc, -1, 0
	s_cmp_eq_u32 s13, 2
	;; [unrolled: 23-line block ×4, first 2 shown]
	s_waitcnt lgkmcnt(0)
	v_fmac_f32_e32 v35, v38, v42
	v_cndmask_b32_e32 v38, v10, v11, vcc
	s_cselect_b64 vcc, -1, 0
	s_cmp_eq_u32 s13, 3
	v_cndmask_b32_e32 v38, v38, v12, vcc
	s_cselect_b64 vcc, -1, 0
	s_cmp_eq_u32 s13, 4
	;; [unrolled: 3-line block ×5, first 2 shown]
	v_cndmask_b32_e32 v38, v38, v16, vcc
	s_cselect_b64 vcc, -1, 0
	s_add_i32 s13, s8, -1
	s_cmp_eq_u32 s13, 1
	v_cndmask_b32_e32 v38, v38, v17, vcc
	s_cselect_b64 vcc, -1, 0
	s_cmp_eq_u32 s13, 2
	v_fmac_f32_e32 v35, v38, v43
	v_cndmask_b32_e32 v38, v10, v11, vcc
	s_cselect_b64 vcc, -1, 0
	s_cmp_eq_u32 s13, 3
	v_cndmask_b32_e32 v38, v38, v12, vcc
	s_cselect_b64 vcc, -1, 0
	s_cmp_eq_u32 s13, 4
	;; [unrolled: 3-line block ×7, first 2 shown]
	v_fmac_f32_e32 v35, v38, v44
	v_cndmask_b32_e32 v38, v10, v11, vcc
	s_cselect_b64 vcc, -1, 0
	s_cmp_eq_u32 s8, 3
	v_cndmask_b32_e32 v38, v38, v12, vcc
	s_cselect_b64 vcc, -1, 0
	s_cmp_eq_u32 s8, 4
	v_cndmask_b32_e32 v38, v38, v13, vcc
	s_cselect_b64 vcc, -1, 0
	s_cmp_eq_u32 s8, 5
	v_cndmask_b32_e32 v38, v38, v14, vcc
	s_cselect_b64 vcc, -1, 0
	s_cmp_eq_u32 s8, 6
	v_cndmask_b32_e32 v38, v38, v15, vcc
	s_cselect_b64 vcc, -1, 0
	s_cmp_eq_u32 s8, 7
	v_cndmask_b32_e32 v38, v38, v16, vcc
	s_cselect_b64 vcc, -1, 0
	v_cndmask_b32_e32 v38, v38, v17, vcc
	s_add_u32 s8, s8, 8
	v_fmac_f32_e32 v35, v38, v45
	v_add_u32_e32 v38, s8, v37
	s_addc_u32 s9, s9, 0
	s_add_i32 s12, s12, 32
	s_add_i32 s13, s8, -7
	v_cmp_eq_u32_e32 vcc, 9, v38
	s_or_b64 s[10:11], vcc, s[10:11]
	v_mov_b32_e32 v38, s13
	s_andn2_b64 exec, exec, s[10:11]
	s_cbranch_execnz .LBB7_73
; %bb.74:
	s_or_b64 exec, exec, s[10:11]
.LBB7_75:
	s_or_b64 exec, exec, s[0:1]
	v_and_b32_e32 v36, 7, v36
	v_cmp_ne_u32_e32 vcc, 0, v36
	s_and_saveexec_b64 s[8:9], vcc
	s_cbranch_execz .LBB7_79
; %bb.76:
	v_lshl_add_u32 v37, v38, 2, 32
	v_mov_b32_e32 v39, 0
	s_mov_b64 s[10:11], 0
.LBB7_77:                               ; =>This Inner Loop Header: Depth=1
	v_cmp_eq_u32_e32 vcc, 1, v38
	v_cndmask_b32_e32 v40, v10, v11, vcc
	v_add_u32_e32 v36, -1, v36
	v_cmp_eq_u32_e32 vcc, 2, v38
	v_cndmask_b32_e32 v40, v40, v12, vcc
	v_cmp_eq_u32_e32 vcc, 0, v36
	v_cmp_eq_u32_e64 s[0:1], 3, v38
	ds_read_b32 v41, v37
	v_cndmask_b32_e64 v40, v40, v13, s[0:1]
	s_or_b64 s[10:11], vcc, s[10:11]
	v_cmp_eq_u32_e32 vcc, 4, v38
	v_cndmask_b32_e32 v40, v40, v14, vcc
	v_cmp_eq_u32_e32 vcc, 5, v38
	v_cndmask_b32_e32 v40, v40, v15, vcc
	;; [unrolled: 2-line block ×3, first 2 shown]
	v_cmp_eq_u32_e32 vcc, 7, v38
	v_add_co_u32_e64 v38, s[0:1], 1, v38
	v_cndmask_b32_e32 v40, v40, v17, vcc
	v_add_u32_e32 v37, 4, v37
	v_addc_co_u32_e64 v39, s[0:1], 0, v39, s[0:1]
	s_waitcnt lgkmcnt(0)
	v_fmac_f32_e32 v35, v40, v41
	s_andn2_b64 exec, exec, s[10:11]
	s_cbranch_execnz .LBB7_77
; %bb.78:
	s_or_b64 exec, exec, s[10:11]
.LBB7_79:
	s_or_b64 exec, exec, s[8:9]
.LBB7_80:
	s_or_b64 exec, exec, s[6:7]
	v_mov_b32_e32 v11, 0
	ds_read_b32 v11, v11 offset:4
	s_waitcnt lgkmcnt(0)
	v_mul_f32_e32 v11, v35, v11
.LBB7_81:
	s_or_b64 exec, exec, s[4:5]
	v_cmp_ne_u32_e32 vcc, 0, v0
	ds_write_b32 v34, v10
	s_waitcnt lgkmcnt(0)
	; wave barrier
	s_and_saveexec_b64 s[4:5], vcc
	s_cbranch_execz .LBB7_97
; %bb.82:
	s_andn2_b64 vcc, exec, s[18:19]
	s_cbranch_vccnz .LBB7_84
; %bb.83:
	v_cmp_eq_u32_e32 vcc, 1, v0
	v_cndmask_b32_e32 v35, v10, v11, vcc
	v_cmp_eq_u32_e32 vcc, 2, v0
	v_cndmask_b32_e32 v35, v35, v12, vcc
	;; [unrolled: 2-line block ×3, first 2 shown]
	v_cmp_eq_u32_e32 vcc, 4, v0
	ds_read_b32 v36, v34
	v_cndmask_b32_e32 v35, v35, v14, vcc
	v_cmp_eq_u32_e32 vcc, 5, v0
	v_cndmask_b32_e32 v35, v35, v15, vcc
	v_cmp_eq_u32_e32 vcc, 6, v0
	;; [unrolled: 2-line block ×3, first 2 shown]
	v_cndmask_b32_e32 v35, v35, v17, vcc
	s_waitcnt lgkmcnt(0)
	v_mul_f32_e32 v35, v35, v36
	s_cbranch_execz .LBB7_85
	s_branch .LBB7_86
.LBB7_84:
                                        ; implicit-def: $vgpr35
.LBB7_85:
	ds_read_b32 v35, v34
.LBB7_86:
	s_and_saveexec_b64 s[6:7], s[2:3]
	s_cbranch_execz .LBB7_96
; %bb.87:
	v_add_u32_e32 v37, -2, v0
	v_add_u32_e32 v36, -1, v0
	v_cmp_lt_u32_e32 vcc, 6, v37
	v_mov_b32_e32 v38, 1
	s_and_saveexec_b64 s[0:1], vcc
	s_cbranch_execz .LBB7_91
; %bb.88:
	v_and_b32_e32 v37, -8, v36
	v_sub_u32_e32 v37, 0, v37
	s_mov_b64 s[2:3], 8
	s_mov_b32 s10, 36
	s_mov_b64 s[8:9], 0
.LBB7_89:                               ; =>This Inner Loop Header: Depth=1
	s_add_i32 s11, s2, -7
	s_cmp_eq_u32 s11, 1
	s_cselect_b64 vcc, -1, 0
	s_cmp_eq_u32 s11, 2
	v_cndmask_b32_e32 v46, v10, v11, vcc
	s_cselect_b64 vcc, -1, 0
	s_cmp_eq_u32 s11, 3
	v_cndmask_b32_e32 v46, v46, v12, vcc
	;; [unrolled: 3-line block ×5, first 2 shown]
	s_cselect_b64 vcc, -1, 0
	s_cmp_eq_u32 s11, 7
	v_mov_b32_e32 v44, s10
	v_cndmask_b32_e32 v46, v46, v16, vcc
	s_cselect_b64 vcc, -1, 0
	s_add_i32 s11, s2, -6
	ds_read2_b32 v[38:39], v44 offset1:1
	ds_read2_b32 v[40:41], v44 offset0:2 offset1:3
	ds_read2_b32 v[42:43], v44 offset0:4 offset1:5
	;; [unrolled: 1-line block ×3, first 2 shown]
	s_cmp_eq_u32 s11, 1
	v_cndmask_b32_e32 v46, v46, v17, vcc
	s_cselect_b64 vcc, -1, 0
	s_cmp_eq_u32 s11, 2
	s_waitcnt lgkmcnt(3)
	v_fmac_f32_e32 v35, v46, v38
	v_cndmask_b32_e32 v38, v10, v11, vcc
	s_cselect_b64 vcc, -1, 0
	s_cmp_eq_u32 s11, 3
	v_cndmask_b32_e32 v38, v38, v12, vcc
	s_cselect_b64 vcc, -1, 0
	s_cmp_eq_u32 s11, 4
	;; [unrolled: 3-line block ×5, first 2 shown]
	v_cndmask_b32_e32 v38, v38, v16, vcc
	s_cselect_b64 vcc, -1, 0
	s_add_i32 s11, s2, -5
	s_cmp_eq_u32 s11, 1
	v_cndmask_b32_e32 v38, v38, v17, vcc
	s_cselect_b64 vcc, -1, 0
	s_cmp_eq_u32 s11, 2
	v_fmac_f32_e32 v35, v38, v39
	v_cndmask_b32_e32 v38, v10, v11, vcc
	s_cselect_b64 vcc, -1, 0
	s_cmp_eq_u32 s11, 3
	v_cndmask_b32_e32 v38, v38, v12, vcc
	s_cselect_b64 vcc, -1, 0
	s_cmp_eq_u32 s11, 4
	;; [unrolled: 3-line block ×5, first 2 shown]
	v_cndmask_b32_e32 v38, v38, v16, vcc
	s_cselect_b64 vcc, -1, 0
	s_add_i32 s11, s2, -4
	s_cmp_eq_u32 s11, 1
	v_cndmask_b32_e32 v38, v38, v17, vcc
	s_cselect_b64 vcc, -1, 0
	s_cmp_eq_u32 s11, 2
	s_waitcnt lgkmcnt(2)
	v_fmac_f32_e32 v35, v38, v40
	v_cndmask_b32_e32 v38, v10, v11, vcc
	s_cselect_b64 vcc, -1, 0
	s_cmp_eq_u32 s11, 3
	v_cndmask_b32_e32 v38, v38, v12, vcc
	s_cselect_b64 vcc, -1, 0
	s_cmp_eq_u32 s11, 4
	;; [unrolled: 3-line block ×5, first 2 shown]
	v_cndmask_b32_e32 v38, v38, v16, vcc
	s_cselect_b64 vcc, -1, 0
	s_add_i32 s11, s2, -3
	s_cmp_eq_u32 s11, 1
	v_cndmask_b32_e32 v38, v38, v17, vcc
	s_cselect_b64 vcc, -1, 0
	s_cmp_eq_u32 s11, 2
	v_fmac_f32_e32 v35, v38, v41
	v_cndmask_b32_e32 v38, v10, v11, vcc
	s_cselect_b64 vcc, -1, 0
	s_cmp_eq_u32 s11, 3
	v_cndmask_b32_e32 v38, v38, v12, vcc
	s_cselect_b64 vcc, -1, 0
	s_cmp_eq_u32 s11, 4
	;; [unrolled: 3-line block ×5, first 2 shown]
	v_cndmask_b32_e32 v38, v38, v16, vcc
	s_cselect_b64 vcc, -1, 0
	s_add_i32 s11, s2, -2
	s_cmp_eq_u32 s11, 1
	v_cndmask_b32_e32 v38, v38, v17, vcc
	s_cselect_b64 vcc, -1, 0
	s_cmp_eq_u32 s11, 2
	s_waitcnt lgkmcnt(1)
	v_fmac_f32_e32 v35, v38, v42
	v_cndmask_b32_e32 v38, v10, v11, vcc
	s_cselect_b64 vcc, -1, 0
	s_cmp_eq_u32 s11, 3
	v_cndmask_b32_e32 v38, v38, v12, vcc
	s_cselect_b64 vcc, -1, 0
	s_cmp_eq_u32 s11, 4
	;; [unrolled: 3-line block ×5, first 2 shown]
	v_cndmask_b32_e32 v38, v38, v16, vcc
	s_cselect_b64 vcc, -1, 0
	s_add_i32 s11, s2, -1
	s_cmp_eq_u32 s11, 1
	v_cndmask_b32_e32 v38, v38, v17, vcc
	s_cselect_b64 vcc, -1, 0
	s_cmp_eq_u32 s11, 2
	v_fmac_f32_e32 v35, v38, v43
	v_cndmask_b32_e32 v38, v10, v11, vcc
	s_cselect_b64 vcc, -1, 0
	s_cmp_eq_u32 s11, 3
	v_cndmask_b32_e32 v38, v38, v12, vcc
	s_cselect_b64 vcc, -1, 0
	s_cmp_eq_u32 s11, 4
	;; [unrolled: 3-line block ×7, first 2 shown]
	s_waitcnt lgkmcnt(0)
	v_fmac_f32_e32 v35, v38, v44
	v_cndmask_b32_e32 v38, v10, v11, vcc
	s_cselect_b64 vcc, -1, 0
	s_cmp_eq_u32 s2, 3
	v_cndmask_b32_e32 v38, v38, v12, vcc
	s_cselect_b64 vcc, -1, 0
	s_cmp_eq_u32 s2, 4
	v_cndmask_b32_e32 v38, v38, v13, vcc
	s_cselect_b64 vcc, -1, 0
	s_cmp_eq_u32 s2, 5
	v_cndmask_b32_e32 v38, v38, v14, vcc
	s_cselect_b64 vcc, -1, 0
	s_cmp_eq_u32 s2, 6
	v_cndmask_b32_e32 v38, v38, v15, vcc
	s_cselect_b64 vcc, -1, 0
	s_cmp_eq_u32 s2, 7
	v_cndmask_b32_e32 v38, v38, v16, vcc
	s_cselect_b64 vcc, -1, 0
	v_cndmask_b32_e32 v38, v38, v17, vcc
	s_add_u32 s2, s2, 8
	v_fmac_f32_e32 v35, v38, v45
	v_add_u32_e32 v38, s2, v37
	s_addc_u32 s3, s3, 0
	s_add_i32 s10, s10, 32
	s_add_i32 s11, s2, -7
	v_cmp_eq_u32_e32 vcc, 8, v38
	s_or_b64 s[8:9], vcc, s[8:9]
	v_mov_b32_e32 v38, s11
	s_andn2_b64 exec, exec, s[8:9]
	s_cbranch_execnz .LBB7_89
; %bb.90:
	s_or_b64 exec, exec, s[8:9]
.LBB7_91:
	s_or_b64 exec, exec, s[0:1]
	v_and_b32_e32 v36, 7, v36
	v_cmp_ne_u32_e32 vcc, 0, v36
	s_and_saveexec_b64 s[2:3], vcc
	s_cbranch_execz .LBB7_95
; %bb.92:
	v_lshl_add_u32 v37, v38, 2, 32
	v_mov_b32_e32 v39, 0
	s_mov_b64 s[8:9], 0
.LBB7_93:                               ; =>This Inner Loop Header: Depth=1
	v_cmp_eq_u32_e32 vcc, 1, v38
	v_cndmask_b32_e32 v40, v10, v11, vcc
	v_add_u32_e32 v36, -1, v36
	v_cmp_eq_u32_e32 vcc, 2, v38
	v_cndmask_b32_e32 v40, v40, v12, vcc
	v_cmp_eq_u32_e32 vcc, 0, v36
	v_cmp_eq_u32_e64 s[0:1], 3, v38
	ds_read_b32 v41, v37
	v_cndmask_b32_e64 v40, v40, v13, s[0:1]
	s_or_b64 s[8:9], vcc, s[8:9]
	v_cmp_eq_u32_e32 vcc, 4, v38
	v_cndmask_b32_e32 v40, v40, v14, vcc
	v_cmp_eq_u32_e32 vcc, 5, v38
	v_cndmask_b32_e32 v40, v40, v15, vcc
	;; [unrolled: 2-line block ×3, first 2 shown]
	v_cmp_eq_u32_e32 vcc, 7, v38
	v_add_co_u32_e64 v38, s[0:1], 1, v38
	v_cndmask_b32_e32 v40, v40, v17, vcc
	v_add_u32_e32 v37, 4, v37
	v_addc_co_u32_e64 v39, s[0:1], 0, v39, s[0:1]
	s_waitcnt lgkmcnt(0)
	v_fmac_f32_e32 v35, v40, v41
	s_andn2_b64 exec, exec, s[8:9]
	s_cbranch_execnz .LBB7_93
; %bb.94:
	s_or_b64 exec, exec, s[8:9]
.LBB7_95:
	s_or_b64 exec, exec, s[2:3]
.LBB7_96:
	s_or_b64 exec, exec, s[6:7]
	v_mov_b32_e32 v10, 0
	ds_read_b32 v10, v10
	s_waitcnt lgkmcnt(0)
	v_mul_f32_e32 v10, v35, v10
.LBB7_97:
	s_or_b64 exec, exec, s[4:5]
	s_branch .LBB7_159
.LBB7_98:
	v_cmp_eq_u32_e64 s[2:3], 0, v0
	s_waitcnt vmcnt(6)
	ds_write_b32 v34, v3
	s_waitcnt lgkmcnt(0)
	; wave barrier
	s_and_saveexec_b64 s[0:1], s[2:3]
	s_cbranch_execz .LBB7_104
; %bb.99:
	s_and_b64 vcc, exec, s[18:19]
	s_cbranch_vccz .LBB7_101
; %bb.100:
	v_cmp_eq_u32_e32 vcc, 1, v0
	v_cndmask_b32_e32 v3, v2, v3, vcc
	v_cmp_eq_u32_e32 vcc, 2, v0
	s_waitcnt vmcnt(5)
	v_cndmask_b32_e32 v3, v3, v4, vcc
	v_cmp_eq_u32_e32 vcc, 3, v0
	s_waitcnt vmcnt(4)
	v_cndmask_b32_e32 v3, v3, v5, vcc
	v_cmp_eq_u32_e32 vcc, 4, v0
	ds_read_b32 v10, v34
	s_waitcnt vmcnt(3)
	v_cndmask_b32_e32 v3, v3, v6, vcc
	v_cmp_eq_u32_e32 vcc, 5, v0
	s_waitcnt vmcnt(2)
	v_cndmask_b32_e32 v3, v3, v7, vcc
	v_cmp_eq_u32_e32 vcc, 6, v0
	;; [unrolled: 3-line block ×3, first 2 shown]
	s_waitcnt vmcnt(0)
	v_cndmask_b32_e32 v3, v3, v9, vcc
	s_waitcnt lgkmcnt(0)
	v_mul_f32_e32 v3, v3, v10
	s_cbranch_execz .LBB7_102
	s_branch .LBB7_103
.LBB7_101:
                                        ; implicit-def: $vgpr3
.LBB7_102:
	ds_read_b32 v3, v34
.LBB7_103:
	v_mov_b32_e32 v10, 0
	ds_read_b32 v10, v10 offset:4
	s_waitcnt lgkmcnt(0)
	v_mul_f32_e32 v3, v3, v10
.LBB7_104:
	s_or_b64 exec, exec, s[0:1]
	v_cndmask_b32_e64 v10, 0, 1, s[18:19]
	v_cmp_gt_u32_e32 vcc, 2, v0
	v_cmp_ne_u32_e64 s[0:1], 1, v10
	s_waitcnt vmcnt(5)
	ds_write_b32 v34, v4
	s_waitcnt lgkmcnt(0)
	; wave barrier
	s_and_saveexec_b64 s[4:5], vcc
	s_cbranch_execz .LBB7_110
; %bb.105:
	s_and_b64 vcc, exec, s[0:1]
	s_cbranch_vccnz .LBB7_107
; %bb.106:
	v_cmp_eq_u32_e32 vcc, 1, v0
	v_cndmask_b32_e32 v10, v2, v3, vcc
	v_cmp_eq_u32_e32 vcc, 2, v0
	v_cndmask_b32_e32 v4, v10, v4, vcc
	v_cmp_eq_u32_e32 vcc, 3, v0
	s_waitcnt vmcnt(4)
	v_cndmask_b32_e32 v4, v4, v5, vcc
	v_cmp_eq_u32_e32 vcc, 4, v0
	ds_read_b32 v10, v34
	s_waitcnt vmcnt(3)
	v_cndmask_b32_e32 v4, v4, v6, vcc
	v_cmp_eq_u32_e32 vcc, 5, v0
	s_waitcnt vmcnt(2)
	v_cndmask_b32_e32 v4, v4, v7, vcc
	v_cmp_eq_u32_e32 vcc, 6, v0
	;; [unrolled: 3-line block ×3, first 2 shown]
	s_waitcnt vmcnt(0)
	v_cndmask_b32_e32 v4, v4, v9, vcc
	s_waitcnt lgkmcnt(0)
	v_mul_f32_e32 v4, v4, v10
	s_cbranch_execz .LBB7_108
	s_branch .LBB7_109
.LBB7_107:
                                        ; implicit-def: $vgpr4
.LBB7_108:
	ds_read_b32 v4, v34
.LBB7_109:
	v_mov_b32_e32 v10, 0
	ds_read2_b32 v[10:11], v10 offset0:2 offset1:9
	s_waitcnt lgkmcnt(0)
	v_fma_f32 v11, v3, v11, v4
	v_cndmask_b32_e64 v4, v4, v11, s[2:3]
	v_mul_f32_e32 v4, v4, v10
.LBB7_110:
	s_or_b64 exec, exec, s[4:5]
	v_cmp_gt_u32_e32 vcc, 3, v0
	s_waitcnt vmcnt(4)
	ds_write_b32 v34, v5
	s_waitcnt lgkmcnt(0)
	; wave barrier
	s_and_saveexec_b64 s[4:5], vcc
	s_cbranch_execz .LBB7_118
; %bb.111:
	s_and_b64 vcc, exec, s[0:1]
	s_cbranch_vccnz .LBB7_113
; %bb.112:
	v_cmp_eq_u32_e32 vcc, 1, v0
	v_cndmask_b32_e32 v10, v2, v3, vcc
	v_cmp_eq_u32_e32 vcc, 2, v0
	v_cndmask_b32_e32 v10, v10, v4, vcc
	;; [unrolled: 2-line block ×3, first 2 shown]
	v_cmp_eq_u32_e32 vcc, 4, v0
	ds_read_b32 v11, v34
	s_waitcnt vmcnt(3)
	v_cndmask_b32_e32 v10, v10, v6, vcc
	v_cmp_eq_u32_e32 vcc, 5, v0
	s_waitcnt vmcnt(2)
	v_cndmask_b32_e32 v10, v10, v7, vcc
	v_cmp_eq_u32_e32 vcc, 6, v0
	s_waitcnt vmcnt(1)
	v_cndmask_b32_e32 v10, v10, v8, vcc
	v_cmp_eq_u32_e32 vcc, 7, v0
	s_waitcnt vmcnt(0)
	v_cndmask_b32_e32 v10, v10, v9, vcc
	s_waitcnt lgkmcnt(0)
	v_mul_f32_e32 v10, v10, v11
	s_cbranch_execz .LBB7_114
	s_branch .LBB7_115
.LBB7_113:
                                        ; implicit-def: $vgpr10
.LBB7_114:
	ds_read_b32 v10, v34
.LBB7_115:
	v_cmp_ne_u32_e32 vcc, 2, v0
	s_and_saveexec_b64 s[6:7], vcc
	s_cbranch_execz .LBB7_117
; %bb.116:
	v_add_u32_e32 v11, 1, v0
	v_cmp_eq_u32_e32 vcc, 1, v11
	v_cndmask_b32_e32 v12, v2, v3, vcc
	v_cmp_eq_u32_e32 vcc, 2, v11
	v_cndmask_b32_e32 v12, v12, v4, vcc
	;; [unrolled: 2-line block ×3, first 2 shown]
	v_cmp_eq_u32_e32 vcc, 4, v11
	v_mov_b32_e32 v12, 0
	s_waitcnt vmcnt(3)
	v_cndmask_b32_e32 v5, v5, v6, vcc
	v_cmp_eq_u32_e32 vcc, 5, v11
	ds_read_b32 v13, v34 offset:4
	ds_read_b32 v12, v12 offset:40
	s_waitcnt vmcnt(2)
	v_cndmask_b32_e32 v5, v5, v7, vcc
	v_cmp_eq_u32_e32 vcc, 6, v11
	s_waitcnt vmcnt(1)
	v_cndmask_b32_e32 v5, v5, v8, vcc
	v_cmp_eq_u32_e32 vcc, 7, v11
	s_waitcnt vmcnt(0)
	v_cndmask_b32_e32 v5, v5, v9, vcc
	s_waitcnt lgkmcnt(1)
	v_fmac_f32_e32 v10, v5, v13
	s_waitcnt lgkmcnt(0)
	v_fma_f32 v5, v4, v12, v10
	v_cndmask_b32_e64 v10, v10, v5, s[2:3]
.LBB7_117:
	s_or_b64 exec, exec, s[6:7]
	v_mov_b32_e32 v5, 0
	ds_read_b32 v5, v5 offset:12
	s_waitcnt lgkmcnt(0)
	v_mul_f32_e32 v5, v10, v5
.LBB7_118:
	s_or_b64 exec, exec, s[4:5]
	v_cmp_gt_u32_e32 vcc, 4, v0
	s_waitcnt vmcnt(3)
	ds_write_b32 v34, v6
	s_waitcnt lgkmcnt(0)
	; wave barrier
	s_and_saveexec_b64 s[4:5], vcc
	s_cbranch_execz .LBB7_128
; %bb.119:
	s_and_b64 vcc, exec, s[0:1]
	s_cbranch_vccnz .LBB7_121
; %bb.120:
	v_cmp_eq_u32_e32 vcc, 1, v0
	v_cndmask_b32_e32 v10, v2, v3, vcc
	v_cmp_eq_u32_e32 vcc, 2, v0
	v_cndmask_b32_e32 v10, v10, v4, vcc
	;; [unrolled: 2-line block ×3, first 2 shown]
	v_cmp_eq_u32_e32 vcc, 4, v0
	ds_read_b32 v11, v34
	v_cndmask_b32_e32 v10, v10, v6, vcc
	v_cmp_eq_u32_e32 vcc, 5, v0
	s_waitcnt vmcnt(2)
	v_cndmask_b32_e32 v10, v10, v7, vcc
	v_cmp_eq_u32_e32 vcc, 6, v0
	s_waitcnt vmcnt(1)
	;; [unrolled: 3-line block ×3, first 2 shown]
	v_cndmask_b32_e32 v10, v10, v9, vcc
	s_waitcnt lgkmcnt(0)
	v_mul_f32_e32 v12, v10, v11
	s_cbranch_execz .LBB7_122
	s_branch .LBB7_123
.LBB7_121:
                                        ; implicit-def: $vgpr12
.LBB7_122:
	ds_read_b32 v12, v34
.LBB7_123:
	v_cmp_ne_u32_e32 vcc, 3, v0
	s_and_saveexec_b64 s[6:7], vcc
	s_cbranch_execz .LBB7_127
; %bb.124:
	v_mov_b32_e32 v11, v1
	v_lshl_add_u32 v13, v0, 2, 36
	s_mov_b64 s[8:9], 0
	v_mov_b32_e32 v10, v0
.LBB7_125:                              ; =>This Inner Loop Header: Depth=1
	v_add_co_u32_e32 v10, vcc, 1, v10
	v_addc_co_u32_e32 v11, vcc, 0, v11, vcc
	v_cmp_eq_u32_e32 vcc, 1, v10
	v_cndmask_b32_e32 v15, v2, v3, vcc
	v_cmp_lt_u32_e32 vcc, 2, v10
	v_cmp_eq_u32_e64 s[2:3], 2, v10
	v_cndmask_b32_e64 v15, v15, v4, s[2:3]
	s_or_b64 s[8:9], vcc, s[8:9]
	v_cmp_eq_u32_e32 vcc, 3, v10
	ds_read_b32 v14, v13
	v_cndmask_b32_e32 v15, v15, v5, vcc
	v_cmp_eq_u32_e32 vcc, 4, v10
	v_cndmask_b32_e32 v15, v15, v6, vcc
	v_cmp_eq_u32_e32 vcc, 5, v10
	s_waitcnt vmcnt(2)
	v_cndmask_b32_e32 v15, v15, v7, vcc
	v_cmp_eq_u32_e32 vcc, 6, v10
	s_waitcnt vmcnt(1)
	;; [unrolled: 3-line block ×3, first 2 shown]
	v_cndmask_b32_e32 v15, v15, v9, vcc
	v_add_u32_e32 v13, 4, v13
	s_waitcnt lgkmcnt(0)
	v_fmac_f32_e32 v12, v15, v14
	s_andn2_b64 exec, exec, s[8:9]
	s_cbranch_execnz .LBB7_125
; %bb.126:
	s_or_b64 exec, exec, s[8:9]
.LBB7_127:
	s_or_b64 exec, exec, s[6:7]
	v_mov_b32_e32 v6, 0
	ds_read_b32 v6, v6 offset:16
	s_waitcnt lgkmcnt(0)
	v_mul_f32_e32 v6, v12, v6
.LBB7_128:
	s_or_b64 exec, exec, s[4:5]
	v_cmp_gt_u32_e32 vcc, 5, v0
	s_waitcnt vmcnt(2)
	ds_write_b32 v34, v7
	s_waitcnt lgkmcnt(0)
	; wave barrier
	s_and_saveexec_b64 s[4:5], vcc
	s_cbranch_execz .LBB7_138
; %bb.129:
	s_and_b64 vcc, exec, s[0:1]
	s_cbranch_vccnz .LBB7_131
; %bb.130:
	v_cmp_eq_u32_e32 vcc, 1, v0
	v_cndmask_b32_e32 v10, v2, v3, vcc
	v_cmp_eq_u32_e32 vcc, 2, v0
	v_cndmask_b32_e32 v10, v10, v4, vcc
	;; [unrolled: 2-line block ×3, first 2 shown]
	v_cmp_eq_u32_e32 vcc, 4, v0
	ds_read_b32 v11, v34
	v_cndmask_b32_e32 v10, v10, v6, vcc
	v_cmp_eq_u32_e32 vcc, 5, v0
	v_cndmask_b32_e32 v10, v10, v7, vcc
	v_cmp_eq_u32_e32 vcc, 6, v0
	s_waitcnt vmcnt(1)
	v_cndmask_b32_e32 v10, v10, v8, vcc
	v_cmp_eq_u32_e32 vcc, 7, v0
	s_waitcnt vmcnt(0)
	v_cndmask_b32_e32 v10, v10, v9, vcc
	s_waitcnt lgkmcnt(0)
	v_mul_f32_e32 v12, v10, v11
	s_cbranch_execz .LBB7_132
	s_branch .LBB7_133
.LBB7_131:
                                        ; implicit-def: $vgpr12
.LBB7_132:
	ds_read_b32 v12, v34
.LBB7_133:
	v_cmp_ne_u32_e32 vcc, 4, v0
	s_and_saveexec_b64 s[6:7], vcc
	s_cbranch_execz .LBB7_137
; %bb.134:
	v_mov_b32_e32 v11, v1
	v_lshl_add_u32 v13, v0, 2, 36
	s_mov_b64 s[8:9], 0
	v_mov_b32_e32 v10, v0
.LBB7_135:                              ; =>This Inner Loop Header: Depth=1
	v_add_co_u32_e32 v10, vcc, 1, v10
	v_addc_co_u32_e32 v11, vcc, 0, v11, vcc
	v_cmp_eq_u32_e32 vcc, 1, v10
	v_cndmask_b32_e32 v15, v2, v3, vcc
	v_cmp_lt_u32_e32 vcc, 3, v10
	v_cmp_eq_u32_e64 s[2:3], 2, v10
	v_cndmask_b32_e64 v15, v15, v4, s[2:3]
	s_or_b64 s[8:9], vcc, s[8:9]
	v_cmp_eq_u32_e32 vcc, 3, v10
	ds_read_b32 v14, v13
	v_cndmask_b32_e32 v15, v15, v5, vcc
	v_cmp_eq_u32_e32 vcc, 4, v10
	v_cndmask_b32_e32 v15, v15, v6, vcc
	v_cmp_eq_u32_e32 vcc, 5, v10
	;; [unrolled: 2-line block ×3, first 2 shown]
	s_waitcnt vmcnt(1)
	v_cndmask_b32_e32 v15, v15, v8, vcc
	v_cmp_eq_u32_e32 vcc, 7, v10
	s_waitcnt vmcnt(0)
	v_cndmask_b32_e32 v15, v15, v9, vcc
	v_add_u32_e32 v13, 4, v13
	s_waitcnt lgkmcnt(0)
	v_fmac_f32_e32 v12, v15, v14
	s_andn2_b64 exec, exec, s[8:9]
	s_cbranch_execnz .LBB7_135
; %bb.136:
	s_or_b64 exec, exec, s[8:9]
.LBB7_137:
	s_or_b64 exec, exec, s[6:7]
	v_mov_b32_e32 v7, 0
	ds_read_b32 v7, v7 offset:20
	s_waitcnt lgkmcnt(0)
	v_mul_f32_e32 v7, v12, v7
.LBB7_138:
	s_or_b64 exec, exec, s[4:5]
	v_cmp_gt_u32_e64 s[2:3], 6, v0
	s_waitcnt vmcnt(1)
	ds_write_b32 v34, v8
	s_waitcnt lgkmcnt(0)
	; wave barrier
	s_and_saveexec_b64 s[6:7], s[2:3]
	s_cbranch_execz .LBB7_148
; %bb.139:
	s_and_b64 vcc, exec, s[0:1]
	s_cbranch_vccnz .LBB7_141
; %bb.140:
	v_cmp_eq_u32_e32 vcc, 1, v0
	v_cndmask_b32_e32 v10, v2, v3, vcc
	v_cmp_eq_u32_e32 vcc, 2, v0
	v_cndmask_b32_e32 v10, v10, v4, vcc
	v_cmp_eq_u32_e32 vcc, 3, v0
	v_cndmask_b32_e32 v10, v10, v5, vcc
	v_cmp_eq_u32_e32 vcc, 4, v0
	ds_read_b32 v11, v34
	v_cndmask_b32_e32 v10, v10, v6, vcc
	v_cmp_eq_u32_e32 vcc, 5, v0
	v_cndmask_b32_e32 v10, v10, v7, vcc
	v_cmp_eq_u32_e32 vcc, 6, v0
	v_cndmask_b32_e32 v10, v10, v8, vcc
	v_cmp_eq_u32_e32 vcc, 7, v0
	s_waitcnt vmcnt(0)
	v_cndmask_b32_e32 v10, v10, v9, vcc
	s_waitcnt lgkmcnt(0)
	v_mul_f32_e32 v12, v10, v11
	s_cbranch_execz .LBB7_142
	s_branch .LBB7_143
.LBB7_141:
                                        ; implicit-def: $vgpr12
.LBB7_142:
	ds_read_b32 v12, v34
.LBB7_143:
	v_cmp_ne_u32_e32 vcc, 5, v0
	s_and_saveexec_b64 s[8:9], vcc
	s_cbranch_execz .LBB7_147
; %bb.144:
	v_mov_b32_e32 v11, v1
	v_lshl_add_u32 v13, v0, 2, 36
	s_mov_b64 s[10:11], 0
	v_mov_b32_e32 v10, v0
.LBB7_145:                              ; =>This Inner Loop Header: Depth=1
	v_add_co_u32_e32 v10, vcc, 1, v10
	v_addc_co_u32_e32 v11, vcc, 0, v11, vcc
	v_cmp_eq_u32_e32 vcc, 1, v10
	v_cndmask_b32_e32 v15, v2, v3, vcc
	v_cmp_lt_u32_e32 vcc, 4, v10
	v_cmp_eq_u32_e64 s[4:5], 2, v10
	v_cndmask_b32_e64 v15, v15, v4, s[4:5]
	s_or_b64 s[10:11], vcc, s[10:11]
	v_cmp_eq_u32_e32 vcc, 3, v10
	ds_read_b32 v14, v13
	v_cndmask_b32_e32 v15, v15, v5, vcc
	v_cmp_eq_u32_e32 vcc, 4, v10
	v_cndmask_b32_e32 v15, v15, v6, vcc
	v_cmp_eq_u32_e32 vcc, 5, v10
	;; [unrolled: 2-line block ×4, first 2 shown]
	s_waitcnt vmcnt(0)
	v_cndmask_b32_e32 v15, v15, v9, vcc
	v_add_u32_e32 v13, 4, v13
	s_waitcnt lgkmcnt(0)
	v_fmac_f32_e32 v12, v15, v14
	s_andn2_b64 exec, exec, s[10:11]
	s_cbranch_execnz .LBB7_145
; %bb.146:
	s_or_b64 exec, exec, s[10:11]
.LBB7_147:
	s_or_b64 exec, exec, s[8:9]
	v_mov_b32_e32 v8, 0
	ds_read_b32 v8, v8 offset:24
	s_waitcnt lgkmcnt(0)
	v_mul_f32_e32 v8, v12, v8
.LBB7_148:
	s_or_b64 exec, exec, s[6:7]
	v_cmp_ne_u32_e32 vcc, 7, v0
	s_waitcnt vmcnt(0)
	ds_write_b32 v34, v9
	s_waitcnt lgkmcnt(0)
	; wave barrier
	s_and_saveexec_b64 s[4:5], vcc
	s_cbranch_execz .LBB7_158
; %bb.149:
	s_and_b64 vcc, exec, s[0:1]
	s_cbranch_vccnz .LBB7_151
; %bb.150:
	v_cmp_eq_u32_e32 vcc, 1, v0
	v_cndmask_b32_e32 v10, v2, v3, vcc
	v_cmp_eq_u32_e32 vcc, 2, v0
	v_cndmask_b32_e32 v10, v10, v4, vcc
	;; [unrolled: 2-line block ×3, first 2 shown]
	v_cmp_eq_u32_e32 vcc, 4, v0
	ds_read_b32 v11, v34
	v_cndmask_b32_e32 v10, v10, v6, vcc
	v_cmp_eq_u32_e32 vcc, 5, v0
	v_cndmask_b32_e32 v10, v10, v7, vcc
	v_cmp_eq_u32_e32 vcc, 6, v0
	;; [unrolled: 2-line block ×3, first 2 shown]
	v_cndmask_b32_e32 v10, v10, v9, vcc
	s_waitcnt lgkmcnt(0)
	v_mul_f32_e32 v10, v10, v11
	s_cbranch_execz .LBB7_152
	s_branch .LBB7_153
.LBB7_151:
                                        ; implicit-def: $vgpr10
.LBB7_152:
	ds_read_b32 v10, v34
.LBB7_153:
	s_and_saveexec_b64 s[6:7], s[2:3]
	s_cbranch_execz .LBB7_157
; %bb.154:
	v_lshl_add_u32 v11, v0, 2, 36
	s_mov_b64 s[2:3], 0
.LBB7_155:                              ; =>This Inner Loop Header: Depth=1
	v_add_co_u32_e32 v0, vcc, 1, v0
	v_addc_co_u32_e32 v1, vcc, 0, v1, vcc
	v_cmp_eq_u32_e32 vcc, 1, v0
	v_cndmask_b32_e32 v13, v2, v3, vcc
	v_cmp_lt_u32_e32 vcc, 5, v0
	v_cmp_eq_u32_e64 s[0:1], 2, v0
	v_cndmask_b32_e64 v13, v13, v4, s[0:1]
	s_or_b64 s[2:3], vcc, s[2:3]
	v_cmp_eq_u32_e32 vcc, 3, v0
	ds_read_b32 v12, v11
	v_cndmask_b32_e32 v13, v13, v5, vcc
	v_cmp_eq_u32_e32 vcc, 4, v0
	v_cndmask_b32_e32 v13, v13, v6, vcc
	v_cmp_eq_u32_e32 vcc, 5, v0
	;; [unrolled: 2-line block ×4, first 2 shown]
	v_cndmask_b32_e32 v13, v13, v9, vcc
	v_add_u32_e32 v11, 4, v11
	s_waitcnt lgkmcnt(0)
	v_fmac_f32_e32 v10, v13, v12
	s_andn2_b64 exec, exec, s[2:3]
	s_cbranch_execnz .LBB7_155
; %bb.156:
	s_or_b64 exec, exec, s[2:3]
.LBB7_157:
	s_or_b64 exec, exec, s[6:7]
	v_mov_b32_e32 v0, 0
	ds_read_b32 v0, v0 offset:28
	s_waitcnt lgkmcnt(0)
	v_mul_f32_e32 v9, v10, v0
.LBB7_158:
	s_or_b64 exec, exec, s[4:5]
	v_mov_b32_e32 v17, v9
	v_mov_b32_e32 v16, v8
	;; [unrolled: 1-line block ×8, first 2 shown]
.LBB7_159:
	global_store_dword v[18:19], v10, off
	global_store_dword v[32:33], v11, off
	;; [unrolled: 1-line block ×8, first 2 shown]
.LBB7_160:
	s_endpgm
	.section	.rodata,"a",@progbits
	.p2align	6, 0x0
	.amdhsa_kernel _ZN9rocsolver6v33100L18trti2_kernel_smallILi8EfPfEEv13rocblas_fill_17rocblas_diagonal_T1_iil
		.amdhsa_group_segment_fixed_size 64
		.amdhsa_private_segment_fixed_size 0
		.amdhsa_kernarg_size 32
		.amdhsa_user_sgpr_count 6
		.amdhsa_user_sgpr_private_segment_buffer 1
		.amdhsa_user_sgpr_dispatch_ptr 0
		.amdhsa_user_sgpr_queue_ptr 0
		.amdhsa_user_sgpr_kernarg_segment_ptr 1
		.amdhsa_user_sgpr_dispatch_id 0
		.amdhsa_user_sgpr_flat_scratch_init 0
		.amdhsa_user_sgpr_private_segment_size 0
		.amdhsa_uses_dynamic_stack 0
		.amdhsa_system_sgpr_private_segment_wavefront_offset 0
		.amdhsa_system_sgpr_workgroup_id_x 1
		.amdhsa_system_sgpr_workgroup_id_y 0
		.amdhsa_system_sgpr_workgroup_id_z 0
		.amdhsa_system_sgpr_workgroup_info 0
		.amdhsa_system_vgpr_workitem_id 0
		.amdhsa_next_free_vgpr 47
		.amdhsa_next_free_sgpr 24
		.amdhsa_reserve_vcc 1
		.amdhsa_reserve_flat_scratch 0
		.amdhsa_float_round_mode_32 0
		.amdhsa_float_round_mode_16_64 0
		.amdhsa_float_denorm_mode_32 3
		.amdhsa_float_denorm_mode_16_64 3
		.amdhsa_dx10_clamp 1
		.amdhsa_ieee_mode 1
		.amdhsa_fp16_overflow 0
		.amdhsa_exception_fp_ieee_invalid_op 0
		.amdhsa_exception_fp_denorm_src 0
		.amdhsa_exception_fp_ieee_div_zero 0
		.amdhsa_exception_fp_ieee_overflow 0
		.amdhsa_exception_fp_ieee_underflow 0
		.amdhsa_exception_fp_ieee_inexact 0
		.amdhsa_exception_int_div_zero 0
	.end_amdhsa_kernel
	.section	.text._ZN9rocsolver6v33100L18trti2_kernel_smallILi8EfPfEEv13rocblas_fill_17rocblas_diagonal_T1_iil,"axG",@progbits,_ZN9rocsolver6v33100L18trti2_kernel_smallILi8EfPfEEv13rocblas_fill_17rocblas_diagonal_T1_iil,comdat
.Lfunc_end7:
	.size	_ZN9rocsolver6v33100L18trti2_kernel_smallILi8EfPfEEv13rocblas_fill_17rocblas_diagonal_T1_iil, .Lfunc_end7-_ZN9rocsolver6v33100L18trti2_kernel_smallILi8EfPfEEv13rocblas_fill_17rocblas_diagonal_T1_iil
                                        ; -- End function
	.set _ZN9rocsolver6v33100L18trti2_kernel_smallILi8EfPfEEv13rocblas_fill_17rocblas_diagonal_T1_iil.num_vgpr, 47
	.set _ZN9rocsolver6v33100L18trti2_kernel_smallILi8EfPfEEv13rocblas_fill_17rocblas_diagonal_T1_iil.num_agpr, 0
	.set _ZN9rocsolver6v33100L18trti2_kernel_smallILi8EfPfEEv13rocblas_fill_17rocblas_diagonal_T1_iil.numbered_sgpr, 24
	.set _ZN9rocsolver6v33100L18trti2_kernel_smallILi8EfPfEEv13rocblas_fill_17rocblas_diagonal_T1_iil.num_named_barrier, 0
	.set _ZN9rocsolver6v33100L18trti2_kernel_smallILi8EfPfEEv13rocblas_fill_17rocblas_diagonal_T1_iil.private_seg_size, 0
	.set _ZN9rocsolver6v33100L18trti2_kernel_smallILi8EfPfEEv13rocblas_fill_17rocblas_diagonal_T1_iil.uses_vcc, 1
	.set _ZN9rocsolver6v33100L18trti2_kernel_smallILi8EfPfEEv13rocblas_fill_17rocblas_diagonal_T1_iil.uses_flat_scratch, 0
	.set _ZN9rocsolver6v33100L18trti2_kernel_smallILi8EfPfEEv13rocblas_fill_17rocblas_diagonal_T1_iil.has_dyn_sized_stack, 0
	.set _ZN9rocsolver6v33100L18trti2_kernel_smallILi8EfPfEEv13rocblas_fill_17rocblas_diagonal_T1_iil.has_recursion, 0
	.set _ZN9rocsolver6v33100L18trti2_kernel_smallILi8EfPfEEv13rocblas_fill_17rocblas_diagonal_T1_iil.has_indirect_call, 0
	.section	.AMDGPU.csdata,"",@progbits
; Kernel info:
; codeLenInByte = 9008
; TotalNumSgprs: 28
; NumVgprs: 47
; ScratchSize: 0
; MemoryBound: 0
; FloatMode: 240
; IeeeMode: 1
; LDSByteSize: 64 bytes/workgroup (compile time only)
; SGPRBlocks: 3
; VGPRBlocks: 11
; NumSGPRsForWavesPerEU: 28
; NumVGPRsForWavesPerEU: 47
; Occupancy: 5
; WaveLimiterHint : 0
; COMPUTE_PGM_RSRC2:SCRATCH_EN: 0
; COMPUTE_PGM_RSRC2:USER_SGPR: 6
; COMPUTE_PGM_RSRC2:TRAP_HANDLER: 0
; COMPUTE_PGM_RSRC2:TGID_X_EN: 1
; COMPUTE_PGM_RSRC2:TGID_Y_EN: 0
; COMPUTE_PGM_RSRC2:TGID_Z_EN: 0
; COMPUTE_PGM_RSRC2:TIDIG_COMP_CNT: 0
	.section	.text._ZN9rocsolver6v33100L18trti2_kernel_smallILi9EfPfEEv13rocblas_fill_17rocblas_diagonal_T1_iil,"axG",@progbits,_ZN9rocsolver6v33100L18trti2_kernel_smallILi9EfPfEEv13rocblas_fill_17rocblas_diagonal_T1_iil,comdat
	.globl	_ZN9rocsolver6v33100L18trti2_kernel_smallILi9EfPfEEv13rocblas_fill_17rocblas_diagonal_T1_iil ; -- Begin function _ZN9rocsolver6v33100L18trti2_kernel_smallILi9EfPfEEv13rocblas_fill_17rocblas_diagonal_T1_iil
	.p2align	8
	.type	_ZN9rocsolver6v33100L18trti2_kernel_smallILi9EfPfEEv13rocblas_fill_17rocblas_diagonal_T1_iil,@function
_ZN9rocsolver6v33100L18trti2_kernel_smallILi9EfPfEEv13rocblas_fill_17rocblas_diagonal_T1_iil: ; @_ZN9rocsolver6v33100L18trti2_kernel_smallILi9EfPfEEv13rocblas_fill_17rocblas_diagonal_T1_iil
; %bb.0:
	v_cmp_gt_u32_e32 vcc, 9, v0
	s_and_saveexec_b64 s[0:1], vcc
	s_cbranch_execz .LBB8_186
; %bb.1:
	s_load_dwordx8 s[20:27], s[4:5], 0x0
	s_ashr_i32 s2, s6, 31
	v_lshlrev_b32_e32 v11, 2, v0
	v_mov_b32_e32 v12, -1.0
	s_waitcnt lgkmcnt(0)
	s_mul_hi_u32 s3, s26, s6
	s_mul_i32 s2, s26, s2
	s_add_i32 s2, s3, s2
	s_mul_i32 s3, s27, s6
	s_add_i32 s3, s2, s3
	s_mul_i32 s2, s26, s6
	s_ashr_i32 s1, s24, 31
	s_lshl_b64 s[2:3], s[2:3], 2
	s_mov_b32 s0, s24
	s_add_u32 s2, s22, s2
	s_addc_u32 s3, s23, s3
	s_lshl_b64 s[0:1], s[0:1], 2
	s_add_u32 s0, s2, s0
	s_addc_u32 s1, s3, s1
	s_add_i32 s2, s25, s25
	v_add_u32_e32 v1, s2, v0
	v_ashrrev_i32_e32 v2, 31, v1
	v_lshlrev_b64 v[2:3], 2, v[1:2]
	v_add_u32_e32 v1, s25, v1
	v_mov_b32_e32 v4, s1
	v_add_co_u32_e32 v20, vcc, s0, v2
	v_ashrrev_i32_e32 v2, 31, v1
	v_addc_co_u32_e32 v21, vcc, v4, v3, vcc
	v_lshlrev_b64 v[2:3], 2, v[1:2]
	v_add_u32_e32 v1, s25, v1
	v_add_co_u32_e32 v22, vcc, s0, v2
	v_ashrrev_i32_e32 v2, 31, v1
	v_addc_co_u32_e32 v23, vcc, v4, v3, vcc
	v_lshlrev_b64 v[2:3], 2, v[1:2]
	v_add_u32_e32 v1, s25, v1
	;; [unrolled: 5-line block ×5, first 2 shown]
	v_add_co_u32_e32 v30, vcc, s0, v2
	v_ashrrev_i32_e32 v2, 31, v1
	v_lshlrev_b64 v[1:2], 2, v[1:2]
	v_addc_co_u32_e32 v31, vcc, v4, v3, vcc
	v_mov_b32_e32 v3, s1
	v_add_co_u32_e32 v32, vcc, s0, v1
	v_addc_co_u32_e32 v33, vcc, v3, v2, vcc
	v_mov_b32_e32 v1, s1
	v_add_co_u32_e32 v34, vcc, s0, v11
	s_ashr_i32 s3, s25, 31
	s_mov_b32 s2, s25
	v_addc_co_u32_e32 v35, vcc, 0, v1, vcc
	s_lshl_b64 s[2:3], s[2:3], 2
	v_mov_b32_e32 v1, s3
	v_add_co_u32_e32 v36, vcc, s2, v34
	v_addc_co_u32_e32 v37, vcc, v35, v1, vcc
	global_load_dword v2, v11, s[0:1]
	global_load_dword v3, v[36:37], off
	global_load_dword v4, v[20:21], off
	;; [unrolled: 1-line block ×8, first 2 shown]
	s_cmpk_lg_i32 s21, 0x84
	v_mov_b32_e32 v1, 0
	s_cselect_b64 s[18:19], -1, 0
	s_cmpk_eq_i32 s21, 0x84
	v_cmp_eq_u32_e64 s[0:1], 0, v0
	s_cbranch_scc1 .LBB8_3
; %bb.2:
	v_cmp_eq_u32_e64 s[2:3], 1, v0
	s_waitcnt vmcnt(7)
	v_cndmask_b32_e64 v12, v2, v3, s[2:3]
	v_cmp_eq_u32_e64 s[4:5], 2, v0
	s_waitcnt vmcnt(6)
	v_cndmask_b32_e64 v12, v12, v4, s[4:5]
	;; [unrolled: 3-line block ×8, first 2 shown]
	v_div_scale_f32 v13, s[22:23], v12, v12, 1.0
	v_div_scale_f32 v14, vcc, 1.0, v12, 1.0
	v_rcp_f32_e32 v15, v13
	v_fma_f32 v16, -v13, v15, 1.0
	v_fmac_f32_e32 v15, v16, v15
	v_mul_f32_e32 v16, v14, v15
	v_fma_f32 v17, -v13, v16, v14
	v_fmac_f32_e32 v16, v17, v15
	v_fma_f32 v13, -v13, v16, v14
	v_div_fmas_f32 v13, v13, v15, v16
	v_div_fixup_f32 v12, v13, v12, 1.0
	v_cndmask_b32_e64 v10, v10, v12, s[16:17]
	v_cndmask_b32_e64 v9, v9, v12, s[14:15]
	;; [unrolled: 1-line block ×9, first 2 shown]
	v_xor_b32_e32 v12, 0x80000000, v12
.LBB8_3:
	s_cmpk_eq_i32 s20, 0x79
	v_add_u32_e32 v38, 48, v11
	ds_write_b32 v11, v12
	s_cbranch_scc1 .LBB8_7
; %bb.4:
	s_waitcnt vmcnt(0)
	v_mov_b32_e32 v19, v10
	v_mov_b32_e32 v18, v9
	;; [unrolled: 1-line block ×9, first 2 shown]
	v_cmp_eq_u32_e64 s[2:3], 8, v0
	ds_write_b32 v38, v9
	s_waitcnt lgkmcnt(0)
	; wave barrier
	s_and_saveexec_b64 s[0:1], s[2:3]
	s_cbranch_execz .LBB8_11
; %bb.5:
	s_and_b64 vcc, exec, s[18:19]
	s_cbranch_vccz .LBB8_8
; %bb.6:
	v_cmp_eq_u32_e32 vcc, 1, v0
	v_cndmask_b32_e32 v11, v2, v3, vcc
	v_cmp_eq_u32_e32 vcc, 2, v0
	v_cndmask_b32_e32 v11, v11, v4, vcc
	;; [unrolled: 2-line block ×4, first 2 shown]
	v_cmp_eq_u32_e32 vcc, 5, v0
	ds_read_b32 v12, v38
	v_cndmask_b32_e32 v11, v11, v7, vcc
	v_cmp_eq_u32_e32 vcc, 6, v0
	v_cndmask_b32_e32 v11, v11, v8, vcc
	v_cmp_eq_u32_e32 vcc, 7, v0
	;; [unrolled: 2-line block ×3, first 2 shown]
	v_cndmask_b32_e32 v11, v11, v10, vcc
	s_waitcnt lgkmcnt(0)
	v_mul_f32_e32 v11, v11, v12
	s_cbranch_execz .LBB8_9
	s_branch .LBB8_10
.LBB8_7:
                                        ; implicit-def: $vgpr11_vgpr12_vgpr13_vgpr14_vgpr15_vgpr16_vgpr17_vgpr18_vgpr19
	s_cbranch_execnz .LBB8_114
	s_branch .LBB8_185
.LBB8_8:
                                        ; implicit-def: $vgpr11
.LBB8_9:
	ds_read_b32 v11, v38
.LBB8_10:
	v_mov_b32_e32 v12, 0
	ds_read_b32 v12, v12 offset:28
	s_waitcnt lgkmcnt(0)
	v_mul_f32_e32 v39, v11, v12
	v_mov_b32_e32 v19, v10
	v_mov_b32_e32 v18, v9
	;; [unrolled: 1-line block ×10, first 2 shown]
.LBB8_11:
	s_or_b64 exec, exec, s[0:1]
	v_cmp_lt_u32_e64 s[0:1], 6, v0
	ds_write_b32 v38, v17
	s_waitcnt lgkmcnt(0)
	; wave barrier
	s_and_saveexec_b64 s[4:5], s[0:1]
	s_cbranch_execz .LBB8_17
; %bb.12:
	s_andn2_b64 vcc, exec, s[18:19]
	s_cbranch_vccnz .LBB8_14
; %bb.13:
	v_cmp_eq_u32_e32 vcc, 1, v0
	v_cndmask_b32_e32 v39, v11, v12, vcc
	v_cmp_eq_u32_e32 vcc, 2, v0
	v_cndmask_b32_e32 v39, v39, v13, vcc
	;; [unrolled: 2-line block ×6, first 2 shown]
	ds_read_b32 v39, v38
	v_cmp_eq_u32_e32 vcc, 7, v0
	v_cndmask_b32_e32 v17, v17, v18, vcc
	v_cmp_eq_u32_e32 vcc, 8, v0
	v_cndmask_b32_e32 v17, v17, v19, vcc
	s_waitcnt lgkmcnt(0)
	v_mul_f32_e32 v17, v17, v39
	s_cbranch_execz .LBB8_15
	s_branch .LBB8_16
.LBB8_14:
                                        ; implicit-def: $vgpr17
.LBB8_15:
	ds_read_b32 v17, v38
.LBB8_16:
	v_mov_b32_e32 v39, 0
	ds_read2_b32 v[39:40], v39 offset0:6 offset1:19
	s_waitcnt lgkmcnt(0)
	v_fma_f32 v40, v18, v40, v17
	v_cndmask_b32_e64 v17, v17, v40, s[2:3]
	v_mul_f32_e32 v17, v17, v39
.LBB8_17:
	s_or_b64 exec, exec, s[4:5]
	v_cmp_lt_u32_e64 s[2:3], 5, v0
	ds_write_b32 v38, v16
	s_waitcnt lgkmcnt(0)
	; wave barrier
	s_and_saveexec_b64 s[4:5], s[2:3]
	s_cbranch_execz .LBB8_33
; %bb.18:
	s_andn2_b64 vcc, exec, s[18:19]
	s_cbranch_vccnz .LBB8_20
; %bb.19:
	v_cmp_eq_u32_e32 vcc, 1, v0
	v_cndmask_b32_e32 v39, v11, v12, vcc
	v_cmp_eq_u32_e32 vcc, 2, v0
	v_cndmask_b32_e32 v39, v39, v13, vcc
	;; [unrolled: 2-line block ×4, first 2 shown]
	v_cmp_eq_u32_e32 vcc, 5, v0
	ds_read_b32 v40, v38
	v_cndmask_b32_e32 v39, v39, v16, vcc
	v_cmp_eq_u32_e32 vcc, 6, v0
	v_cndmask_b32_e32 v39, v39, v17, vcc
	v_cmp_eq_u32_e32 vcc, 7, v0
	;; [unrolled: 2-line block ×3, first 2 shown]
	v_cndmask_b32_e32 v39, v39, v19, vcc
	s_waitcnt lgkmcnt(0)
	v_mul_f32_e32 v39, v39, v40
	s_cbranch_execz .LBB8_21
	s_branch .LBB8_22
.LBB8_20:
                                        ; implicit-def: $vgpr39
.LBB8_21:
	ds_read_b32 v39, v38
.LBB8_22:
	s_and_saveexec_b64 s[6:7], s[0:1]
	s_cbranch_execz .LBB8_32
; %bb.23:
	v_add_u32_e32 v42, -7, v0
	v_add_u32_e32 v40, -6, v0
	v_mov_b32_e32 v41, 6
	v_cmp_lt_u32_e32 vcc, 6, v42
	s_and_saveexec_b64 s[0:1], vcc
	s_cbranch_execz .LBB8_27
; %bb.24:
	v_and_b32_e32 v41, -8, v40
	v_sub_u32_e32 v42, 0, v41
	s_mov_b64 s[8:9], 13
	s_movk_i32 s12, 0x48
	s_mov_b64 s[10:11], 0
.LBB8_25:                               ; =>This Inner Loop Header: Depth=1
	s_add_i32 s13, s8, -7
	v_mov_b32_e32 v47, s12
	s_set_gpr_idx_on s13, gpr_idx(SRC0)
	v_mov_b32_e32 v41, v11
	s_set_gpr_idx_off
	ds_read2_b64 v[43:46], v47 offset1:1
	s_add_i32 s13, s8, -6
	s_waitcnt lgkmcnt(0)
	v_fmac_f32_e32 v39, v41, v43
	s_set_gpr_idx_on s13, gpr_idx(SRC0)
	v_mov_b32_e32 v41, v11
	s_set_gpr_idx_off
	s_add_i32 s13, s8, -5
	v_fmac_f32_e32 v39, v41, v44
	s_set_gpr_idx_on s13, gpr_idx(SRC0)
	v_mov_b32_e32 v41, v11
	s_set_gpr_idx_off
	s_add_i32 s13, s8, -4
	;; [unrolled: 5-line block ×3, first 2 shown]
	v_fmac_f32_e32 v39, v41, v46
	s_set_gpr_idx_on s13, gpr_idx(SRC0)
	v_mov_b32_e32 v41, v11
	s_set_gpr_idx_off
	ds_read2_b64 v[43:46], v47 offset0:2 offset1:3
	s_add_i32 s13, s8, -2
	s_waitcnt lgkmcnt(0)
	v_fmac_f32_e32 v39, v41, v43
	s_set_gpr_idx_on s13, gpr_idx(SRC0)
	v_mov_b32_e32 v41, v11
	s_set_gpr_idx_off
	s_add_i32 s13, s8, -1
	v_fmac_f32_e32 v39, v41, v44
	s_set_gpr_idx_on s13, gpr_idx(SRC0)
	v_mov_b32_e32 v41, v11
	s_set_gpr_idx_off
	v_fmac_f32_e32 v39, v41, v45
	s_set_gpr_idx_on s8, gpr_idx(SRC0)
	v_mov_b32_e32 v41, v11
	s_set_gpr_idx_off
	s_add_u32 s8, s8, 8
	v_fmac_f32_e32 v39, v41, v46
	v_add_u32_e32 v41, s8, v42
	s_addc_u32 s9, s9, 0
	s_add_i32 s12, s12, 32
	v_cmp_eq_u32_e32 vcc, 13, v41
	s_add_i32 s13, s8, -7
	s_or_b64 s[10:11], vcc, s[10:11]
	v_mov_b32_e32 v41, s13
	s_andn2_b64 exec, exec, s[10:11]
	s_cbranch_execnz .LBB8_25
; %bb.26:
	s_or_b64 exec, exec, s[10:11]
.LBB8_27:
	s_or_b64 exec, exec, s[0:1]
	v_and_b32_e32 v40, 7, v40
	v_cmp_ne_u32_e32 vcc, 0, v40
	s_and_saveexec_b64 s[8:9], vcc
	s_cbranch_execz .LBB8_31
; %bb.28:
	v_lshl_add_u32 v42, v41, 2, 48
	v_mov_b32_e32 v43, 0
	s_mov_b64 s[10:11], 0
.LBB8_29:                               ; =>This Inner Loop Header: Depth=1
	v_cmp_eq_u32_e32 vcc, 1, v41
	v_cndmask_b32_e32 v44, v11, v12, vcc
	v_add_u32_e32 v40, -1, v40
	v_cmp_eq_u32_e32 vcc, 2, v41
	v_cndmask_b32_e32 v44, v44, v13, vcc
	v_cmp_eq_u32_e32 vcc, 0, v40
	v_cmp_eq_u32_e64 s[0:1], 3, v41
	v_cndmask_b32_e64 v44, v44, v14, s[0:1]
	s_or_b64 s[10:11], vcc, s[10:11]
	v_cmp_eq_u32_e32 vcc, 4, v41
	ds_read_b32 v45, v42
	v_cndmask_b32_e32 v44, v44, v15, vcc
	v_cmp_eq_u32_e32 vcc, 5, v41
	v_cndmask_b32_e32 v44, v44, v16, vcc
	v_cmp_eq_u32_e32 vcc, 6, v41
	;; [unrolled: 2-line block ×4, first 2 shown]
	v_add_co_u32_e64 v41, s[0:1], 1, v41
	v_cndmask_b32_e32 v44, v44, v19, vcc
	v_add_u32_e32 v42, 4, v42
	v_addc_co_u32_e64 v43, s[0:1], 0, v43, s[0:1]
	s_waitcnt lgkmcnt(0)
	v_fmac_f32_e32 v39, v44, v45
	s_andn2_b64 exec, exec, s[10:11]
	s_cbranch_execnz .LBB8_29
; %bb.30:
	s_or_b64 exec, exec, s[10:11]
.LBB8_31:
	s_or_b64 exec, exec, s[8:9]
.LBB8_32:
	s_or_b64 exec, exec, s[6:7]
	v_mov_b32_e32 v16, 0
	ds_read_b32 v16, v16 offset:20
	s_waitcnt lgkmcnt(0)
	v_mul_f32_e32 v16, v39, v16
.LBB8_33:
	s_or_b64 exec, exec, s[4:5]
	v_cmp_lt_u32_e64 s[0:1], 4, v0
	ds_write_b32 v38, v15
	s_waitcnt lgkmcnt(0)
	; wave barrier
	s_and_saveexec_b64 s[4:5], s[0:1]
	s_cbranch_execz .LBB8_49
; %bb.34:
	s_andn2_b64 vcc, exec, s[18:19]
	s_cbranch_vccnz .LBB8_36
; %bb.35:
	v_cmp_eq_u32_e32 vcc, 1, v0
	v_cndmask_b32_e32 v39, v11, v12, vcc
	v_cmp_eq_u32_e32 vcc, 2, v0
	v_cndmask_b32_e32 v39, v39, v13, vcc
	;; [unrolled: 2-line block ×4, first 2 shown]
	v_cmp_eq_u32_e32 vcc, 5, v0
	ds_read_b32 v40, v38
	v_cndmask_b32_e32 v39, v39, v16, vcc
	v_cmp_eq_u32_e32 vcc, 6, v0
	v_cndmask_b32_e32 v39, v39, v17, vcc
	v_cmp_eq_u32_e32 vcc, 7, v0
	;; [unrolled: 2-line block ×3, first 2 shown]
	v_cndmask_b32_e32 v39, v39, v19, vcc
	s_waitcnt lgkmcnt(0)
	v_mul_f32_e32 v39, v39, v40
	s_cbranch_execz .LBB8_37
	s_branch .LBB8_38
.LBB8_36:
                                        ; implicit-def: $vgpr39
.LBB8_37:
	ds_read_b32 v39, v38
.LBB8_38:
	s_and_saveexec_b64 s[6:7], s[2:3]
	s_cbranch_execz .LBB8_48
; %bb.39:
	v_add_u32_e32 v41, -6, v0
	v_add_u32_e32 v40, -5, v0
	v_cmp_lt_u32_e32 vcc, 6, v41
	v_mov_b32_e32 v41, 5
	s_and_saveexec_b64 s[2:3], vcc
	s_cbranch_execz .LBB8_43
; %bb.40:
	v_and_b32_e32 v41, -8, v40
	v_sub_u32_e32 v42, 0, v41
	s_mov_b64 s[8:9], 12
	s_movk_i32 s12, 0x44
	s_mov_b64 s[10:11], 0
.LBB8_41:                               ; =>This Inner Loop Header: Depth=1
	s_add_i32 s13, s8, -7
	v_mov_b32_e32 v45, s12
	s_set_gpr_idx_on s13, gpr_idx(SRC0)
	v_mov_b32_e32 v41, v11
	s_set_gpr_idx_off
	ds_read2_b32 v[43:44], v45 offset1:1
	s_add_i32 s13, s8, -6
	s_waitcnt lgkmcnt(0)
	v_fmac_f32_e32 v39, v41, v43
	s_set_gpr_idx_on s13, gpr_idx(SRC0)
	v_mov_b32_e32 v41, v11
	s_set_gpr_idx_off
	s_add_i32 s13, s8, -5
	v_fmac_f32_e32 v39, v41, v44
	s_set_gpr_idx_on s13, gpr_idx(SRC0)
	v_mov_b32_e32 v41, v11
	s_set_gpr_idx_off
	ds_read2_b32 v[43:44], v45 offset0:2 offset1:3
	s_add_i32 s13, s8, -4
	s_waitcnt lgkmcnt(0)
	v_fmac_f32_e32 v39, v41, v43
	s_set_gpr_idx_on s13, gpr_idx(SRC0)
	v_mov_b32_e32 v41, v11
	s_set_gpr_idx_off
	s_add_i32 s13, s8, -3
	v_fmac_f32_e32 v39, v41, v44
	s_set_gpr_idx_on s13, gpr_idx(SRC0)
	v_mov_b32_e32 v41, v11
	s_set_gpr_idx_off
	ds_read2_b32 v[43:44], v45 offset0:4 offset1:5
	;; [unrolled: 12-line block ×3, first 2 shown]
	s_waitcnt lgkmcnt(0)
	v_fmac_f32_e32 v39, v41, v43
	s_set_gpr_idx_on s8, gpr_idx(SRC0)
	v_mov_b32_e32 v41, v11
	s_set_gpr_idx_off
	s_add_u32 s8, s8, 8
	v_fmac_f32_e32 v39, v41, v44
	v_add_u32_e32 v41, s8, v42
	s_addc_u32 s9, s9, 0
	s_add_i32 s12, s12, 32
	v_cmp_eq_u32_e32 vcc, 12, v41
	s_add_i32 s13, s8, -7
	s_or_b64 s[10:11], vcc, s[10:11]
	v_mov_b32_e32 v41, s13
	s_andn2_b64 exec, exec, s[10:11]
	s_cbranch_execnz .LBB8_41
; %bb.42:
	s_or_b64 exec, exec, s[10:11]
.LBB8_43:
	s_or_b64 exec, exec, s[2:3]
	v_and_b32_e32 v40, 7, v40
	v_cmp_ne_u32_e32 vcc, 0, v40
	s_and_saveexec_b64 s[8:9], vcc
	s_cbranch_execz .LBB8_47
; %bb.44:
	v_lshl_add_u32 v42, v41, 2, 48
	v_mov_b32_e32 v43, 0
	s_mov_b64 s[10:11], 0
.LBB8_45:                               ; =>This Inner Loop Header: Depth=1
	v_cmp_eq_u32_e32 vcc, 1, v41
	v_cndmask_b32_e32 v44, v11, v12, vcc
	v_add_u32_e32 v40, -1, v40
	v_cmp_eq_u32_e32 vcc, 2, v41
	v_cndmask_b32_e32 v44, v44, v13, vcc
	v_cmp_eq_u32_e32 vcc, 0, v40
	v_cmp_eq_u32_e64 s[2:3], 3, v41
	v_cndmask_b32_e64 v44, v44, v14, s[2:3]
	s_or_b64 s[10:11], vcc, s[10:11]
	v_cmp_eq_u32_e32 vcc, 4, v41
	ds_read_b32 v45, v42
	v_cndmask_b32_e32 v44, v44, v15, vcc
	v_cmp_eq_u32_e32 vcc, 5, v41
	v_cndmask_b32_e32 v44, v44, v16, vcc
	v_cmp_eq_u32_e32 vcc, 6, v41
	;; [unrolled: 2-line block ×4, first 2 shown]
	v_add_co_u32_e64 v41, s[2:3], 1, v41
	v_cndmask_b32_e32 v44, v44, v19, vcc
	v_add_u32_e32 v42, 4, v42
	v_addc_co_u32_e64 v43, s[2:3], 0, v43, s[2:3]
	s_waitcnt lgkmcnt(0)
	v_fmac_f32_e32 v39, v44, v45
	s_andn2_b64 exec, exec, s[10:11]
	s_cbranch_execnz .LBB8_45
; %bb.46:
	s_or_b64 exec, exec, s[10:11]
.LBB8_47:
	s_or_b64 exec, exec, s[8:9]
.LBB8_48:
	s_or_b64 exec, exec, s[6:7]
	v_mov_b32_e32 v15, 0
	ds_read_b32 v15, v15 offset:16
	s_waitcnt lgkmcnt(0)
	v_mul_f32_e32 v15, v39, v15
.LBB8_49:
	s_or_b64 exec, exec, s[4:5]
	v_cmp_lt_u32_e64 s[2:3], 3, v0
	ds_write_b32 v38, v14
	s_waitcnt lgkmcnt(0)
	; wave barrier
	s_and_saveexec_b64 s[4:5], s[2:3]
	s_cbranch_execz .LBB8_65
; %bb.50:
	s_andn2_b64 vcc, exec, s[18:19]
	s_cbranch_vccnz .LBB8_52
; %bb.51:
	v_cmp_eq_u32_e32 vcc, 1, v0
	v_cndmask_b32_e32 v39, v11, v12, vcc
	v_cmp_eq_u32_e32 vcc, 2, v0
	v_cndmask_b32_e32 v39, v39, v13, vcc
	;; [unrolled: 2-line block ×4, first 2 shown]
	v_cmp_eq_u32_e32 vcc, 5, v0
	ds_read_b32 v40, v38
	v_cndmask_b32_e32 v39, v39, v16, vcc
	v_cmp_eq_u32_e32 vcc, 6, v0
	v_cndmask_b32_e32 v39, v39, v17, vcc
	v_cmp_eq_u32_e32 vcc, 7, v0
	;; [unrolled: 2-line block ×3, first 2 shown]
	v_cndmask_b32_e32 v39, v39, v19, vcc
	s_waitcnt lgkmcnt(0)
	v_mul_f32_e32 v39, v39, v40
	s_cbranch_execz .LBB8_53
	s_branch .LBB8_54
.LBB8_52:
                                        ; implicit-def: $vgpr39
.LBB8_53:
	ds_read_b32 v39, v38
.LBB8_54:
	s_and_saveexec_b64 s[6:7], s[0:1]
	s_cbranch_execz .LBB8_64
; %bb.55:
	v_add_u32_e32 v40, -5, v0
	v_add_u32_e32 v41, -4, v0
	v_cmp_lt_u32_e32 vcc, 6, v40
	v_mov_b32_e32 v40, 4
	s_and_saveexec_b64 s[0:1], vcc
	s_cbranch_execz .LBB8_59
; %bb.56:
	v_and_b32_e32 v40, -8, v41
	v_sub_u32_e32 v42, 0, v40
	s_mov_b64 s[8:9], 5
	s_mov_b32 s12, 64
	s_mov_b64 s[10:11], 0
.LBB8_57:                               ; =>This Inner Loop Header: Depth=1
	s_add_i32 s13, s8, -1
	v_mov_b32_e32 v40, s12
	s_set_gpr_idx_on s13, gpr_idx(SRC0)
	v_mov_b32_e32 v51, v11
	s_set_gpr_idx_off
	s_add_i32 s14, s8, 1
	ds_read_b128 v[43:46], v40
	ds_read_b128 v[47:50], v40 offset:16
	s_set_gpr_idx_on s8, gpr_idx(SRC0)
	v_mov_b32_e32 v52, v11
	s_set_gpr_idx_off
	s_add_i32 s15, s8, 2
	s_set_gpr_idx_on s14, gpr_idx(SRC0)
	v_mov_b32_e32 v53, v11
	s_set_gpr_idx_off
	s_add_i32 s16, s8, 3
	;; [unrolled: 4-line block ×4, first 2 shown]
	s_waitcnt lgkmcnt(1)
	v_fmac_f32_e32 v39, v51, v43
	s_set_gpr_idx_on s17, gpr_idx(SRC0)
	v_mov_b32_e32 v43, v11
	s_set_gpr_idx_off
	s_add_i32 s21, s8, 6
	v_fmac_f32_e32 v39, v52, v44
	s_set_gpr_idx_on s20, gpr_idx(SRC0)
	v_mov_b32_e32 v44, v11
	s_set_gpr_idx_off
	v_fmac_f32_e32 v39, v53, v45
	s_set_gpr_idx_on s21, gpr_idx(SRC0)
	v_mov_b32_e32 v45, v11
	s_set_gpr_idx_off
	v_fmac_f32_e32 v39, v54, v46
	s_add_u32 s8, s8, 8
	s_waitcnt lgkmcnt(0)
	v_fmac_f32_e32 v39, v55, v47
	v_add_u32_e32 v40, s8, v42
	v_fmac_f32_e32 v39, v43, v48
	s_addc_u32 s9, s9, 0
	s_add_i32 s12, s12, 32
	s_add_i32 s13, s8, -1
	v_cmp_eq_u32_e32 vcc, 5, v40
	v_fmac_f32_e32 v39, v44, v49
	v_mov_b32_e32 v40, s13
	s_or_b64 s[10:11], vcc, s[10:11]
	v_fmac_f32_e32 v39, v45, v50
	s_andn2_b64 exec, exec, s[10:11]
	s_cbranch_execnz .LBB8_57
; %bb.58:
	s_or_b64 exec, exec, s[10:11]
.LBB8_59:
	s_or_b64 exec, exec, s[0:1]
	v_and_b32_e32 v41, 7, v41
	v_cmp_ne_u32_e32 vcc, 0, v41
	s_and_saveexec_b64 s[8:9], vcc
	s_cbranch_execz .LBB8_63
; %bb.60:
	v_lshl_add_u32 v42, v40, 2, 48
	v_mov_b32_e32 v43, 0
	s_mov_b64 s[10:11], 0
.LBB8_61:                               ; =>This Inner Loop Header: Depth=1
	v_cmp_eq_u32_e32 vcc, 1, v40
	v_cndmask_b32_e32 v44, v11, v12, vcc
	v_add_u32_e32 v41, -1, v41
	v_cmp_eq_u32_e32 vcc, 2, v40
	v_cndmask_b32_e32 v44, v44, v13, vcc
	v_cmp_eq_u32_e32 vcc, 0, v41
	v_cmp_eq_u32_e64 s[0:1], 3, v40
	v_cndmask_b32_e64 v44, v44, v14, s[0:1]
	s_or_b64 s[10:11], vcc, s[10:11]
	v_cmp_eq_u32_e32 vcc, 4, v40
	ds_read_b32 v45, v42
	v_cndmask_b32_e32 v44, v44, v15, vcc
	v_cmp_eq_u32_e32 vcc, 5, v40
	v_cndmask_b32_e32 v44, v44, v16, vcc
	v_cmp_eq_u32_e32 vcc, 6, v40
	v_cndmask_b32_e32 v44, v44, v17, vcc
	v_cmp_eq_u32_e32 vcc, 7, v40
	v_cndmask_b32_e32 v44, v44, v18, vcc
	v_cmp_eq_u32_e32 vcc, 8, v40
	v_add_co_u32_e64 v40, s[0:1], 1, v40
	v_cndmask_b32_e32 v44, v44, v19, vcc
	v_add_u32_e32 v42, 4, v42
	v_addc_co_u32_e64 v43, s[0:1], 0, v43, s[0:1]
	s_waitcnt lgkmcnt(0)
	v_fmac_f32_e32 v39, v44, v45
	s_andn2_b64 exec, exec, s[10:11]
	s_cbranch_execnz .LBB8_61
; %bb.62:
	s_or_b64 exec, exec, s[10:11]
.LBB8_63:
	s_or_b64 exec, exec, s[8:9]
.LBB8_64:
	s_or_b64 exec, exec, s[6:7]
	v_mov_b32_e32 v14, 0
	ds_read_b32 v14, v14 offset:12
	s_waitcnt lgkmcnt(0)
	v_mul_f32_e32 v14, v39, v14
.LBB8_65:
	s_or_b64 exec, exec, s[4:5]
	v_cmp_lt_u32_e64 s[0:1], 2, v0
	ds_write_b32 v38, v13
	s_waitcnt lgkmcnt(0)
	; wave barrier
	s_and_saveexec_b64 s[4:5], s[0:1]
	s_cbranch_execz .LBB8_81
; %bb.66:
	s_andn2_b64 vcc, exec, s[18:19]
	s_cbranch_vccnz .LBB8_68
; %bb.67:
	v_cmp_eq_u32_e32 vcc, 1, v0
	v_cndmask_b32_e32 v39, v11, v12, vcc
	v_cmp_eq_u32_e32 vcc, 2, v0
	v_cndmask_b32_e32 v39, v39, v13, vcc
	;; [unrolled: 2-line block ×4, first 2 shown]
	v_cmp_eq_u32_e32 vcc, 5, v0
	ds_read_b32 v40, v38
	v_cndmask_b32_e32 v39, v39, v16, vcc
	v_cmp_eq_u32_e32 vcc, 6, v0
	v_cndmask_b32_e32 v39, v39, v17, vcc
	v_cmp_eq_u32_e32 vcc, 7, v0
	;; [unrolled: 2-line block ×3, first 2 shown]
	v_cndmask_b32_e32 v39, v39, v19, vcc
	s_waitcnt lgkmcnt(0)
	v_mul_f32_e32 v39, v39, v40
	s_cbranch_execz .LBB8_69
	s_branch .LBB8_70
.LBB8_68:
                                        ; implicit-def: $vgpr39
.LBB8_69:
	ds_read_b32 v39, v38
.LBB8_70:
	s_and_saveexec_b64 s[6:7], s[2:3]
	s_cbranch_execz .LBB8_80
; %bb.71:
	v_add_u32_e32 v41, -4, v0
	v_add_u32_e32 v40, -3, v0
	v_cmp_lt_u32_e32 vcc, 6, v41
	v_mov_b32_e32 v41, 3
	s_and_saveexec_b64 s[2:3], vcc
	s_cbranch_execz .LBB8_75
; %bb.72:
	v_and_b32_e32 v41, -8, v40
	v_sub_u32_e32 v42, 0, v41
	s_mov_b64 s[8:9], 10
	s_mov_b32 s12, 60
	s_mov_b64 s[10:11], 0
.LBB8_73:                               ; =>This Inner Loop Header: Depth=1
	s_add_i32 s13, s8, -7
	v_mov_b32_e32 v41, s12
	s_add_i32 s14, s8, -6
	s_set_gpr_idx_on s13, gpr_idx(SRC0)
	v_mov_b32_e32 v49, v11
	s_set_gpr_idx_off
	ds_read2_b32 v[43:44], v41 offset1:1
	s_add_i32 s15, s8, -5
	s_set_gpr_idx_on s14, gpr_idx(SRC0)
	v_mov_b32_e32 v50, v11
	s_set_gpr_idx_off
	s_add_i32 s16, s8, -4
	s_set_gpr_idx_on s15, gpr_idx(SRC0)
	v_mov_b32_e32 v51, v11
	s_set_gpr_idx_off
	ds_read2_b32 v[45:46], v41 offset0:2 offset1:3
	s_add_i32 s17, s8, -3
	s_set_gpr_idx_on s16, gpr_idx(SRC0)
	v_mov_b32_e32 v52, v11
	s_set_gpr_idx_off
	s_add_i32 s20, s8, -2
	s_set_gpr_idx_on s17, gpr_idx(SRC0)
	v_mov_b32_e32 v53, v11
	s_set_gpr_idx_off
	ds_read2_b32 v[47:48], v41 offset0:4 offset1:5
	s_add_i32 s21, s8, -1
	s_waitcnt lgkmcnt(2)
	v_fmac_f32_e32 v39, v49, v43
	s_set_gpr_idx_on s20, gpr_idx(SRC0)
	v_mov_b32_e32 v49, v11
	s_set_gpr_idx_off
	v_fmac_f32_e32 v39, v50, v44
	s_set_gpr_idx_on s21, gpr_idx(SRC0)
	v_mov_b32_e32 v50, v11
	s_set_gpr_idx_off
	ds_read2_b32 v[43:44], v41 offset0:6 offset1:7
	s_waitcnt lgkmcnt(2)
	v_fmac_f32_e32 v39, v51, v45
	s_set_gpr_idx_on s8, gpr_idx(SRC0)
	v_mov_b32_e32 v45, v11
	s_set_gpr_idx_off
	v_fmac_f32_e32 v39, v52, v46
	s_add_u32 s8, s8, 8
	s_waitcnt lgkmcnt(1)
	v_fmac_f32_e32 v39, v53, v47
	v_add_u32_e32 v41, s8, v42
	v_fmac_f32_e32 v39, v49, v48
	s_addc_u32 s9, s9, 0
	s_add_i32 s12, s12, 32
	s_add_i32 s13, s8, -7
	v_cmp_eq_u32_e32 vcc, 10, v41
	s_waitcnt lgkmcnt(0)
	v_fmac_f32_e32 v39, v50, v43
	v_mov_b32_e32 v41, s13
	s_or_b64 s[10:11], vcc, s[10:11]
	v_fmac_f32_e32 v39, v45, v44
	s_andn2_b64 exec, exec, s[10:11]
	s_cbranch_execnz .LBB8_73
; %bb.74:
	s_or_b64 exec, exec, s[10:11]
.LBB8_75:
	s_or_b64 exec, exec, s[2:3]
	v_and_b32_e32 v40, 7, v40
	v_cmp_ne_u32_e32 vcc, 0, v40
	s_and_saveexec_b64 s[8:9], vcc
	s_cbranch_execz .LBB8_79
; %bb.76:
	v_lshl_add_u32 v42, v41, 2, 48
	v_mov_b32_e32 v43, 0
	s_mov_b64 s[10:11], 0
.LBB8_77:                               ; =>This Inner Loop Header: Depth=1
	v_cmp_eq_u32_e32 vcc, 1, v41
	v_cndmask_b32_e32 v44, v11, v12, vcc
	v_add_u32_e32 v40, -1, v40
	v_cmp_eq_u32_e32 vcc, 2, v41
	v_cndmask_b32_e32 v44, v44, v13, vcc
	v_cmp_eq_u32_e32 vcc, 0, v40
	v_cmp_eq_u32_e64 s[2:3], 3, v41
	v_cndmask_b32_e64 v44, v44, v14, s[2:3]
	s_or_b64 s[10:11], vcc, s[10:11]
	v_cmp_eq_u32_e32 vcc, 4, v41
	ds_read_b32 v45, v42
	v_cndmask_b32_e32 v44, v44, v15, vcc
	v_cmp_eq_u32_e32 vcc, 5, v41
	v_cndmask_b32_e32 v44, v44, v16, vcc
	v_cmp_eq_u32_e32 vcc, 6, v41
	;; [unrolled: 2-line block ×4, first 2 shown]
	v_add_co_u32_e64 v41, s[2:3], 1, v41
	v_cndmask_b32_e32 v44, v44, v19, vcc
	v_add_u32_e32 v42, 4, v42
	v_addc_co_u32_e64 v43, s[2:3], 0, v43, s[2:3]
	s_waitcnt lgkmcnt(0)
	v_fmac_f32_e32 v39, v44, v45
	s_andn2_b64 exec, exec, s[10:11]
	s_cbranch_execnz .LBB8_77
; %bb.78:
	s_or_b64 exec, exec, s[10:11]
.LBB8_79:
	s_or_b64 exec, exec, s[8:9]
.LBB8_80:
	s_or_b64 exec, exec, s[6:7]
	v_mov_b32_e32 v13, 0
	ds_read_b32 v13, v13 offset:8
	s_waitcnt lgkmcnt(0)
	v_mul_f32_e32 v13, v39, v13
.LBB8_81:
	s_or_b64 exec, exec, s[4:5]
	v_cmp_lt_u32_e64 s[2:3], 1, v0
	ds_write_b32 v38, v12
	s_waitcnt lgkmcnt(0)
	; wave barrier
	s_and_saveexec_b64 s[4:5], s[2:3]
	s_cbranch_execz .LBB8_97
; %bb.82:
	s_andn2_b64 vcc, exec, s[18:19]
	s_cbranch_vccnz .LBB8_84
; %bb.83:
	v_cmp_eq_u32_e32 vcc, 1, v0
	v_cndmask_b32_e32 v39, v11, v12, vcc
	v_cmp_eq_u32_e32 vcc, 2, v0
	v_cndmask_b32_e32 v39, v39, v13, vcc
	;; [unrolled: 2-line block ×4, first 2 shown]
	v_cmp_eq_u32_e32 vcc, 5, v0
	ds_read_b32 v40, v38
	v_cndmask_b32_e32 v39, v39, v16, vcc
	v_cmp_eq_u32_e32 vcc, 6, v0
	v_cndmask_b32_e32 v39, v39, v17, vcc
	v_cmp_eq_u32_e32 vcc, 7, v0
	;; [unrolled: 2-line block ×3, first 2 shown]
	v_cndmask_b32_e32 v39, v39, v19, vcc
	s_waitcnt lgkmcnt(0)
	v_mul_f32_e32 v39, v39, v40
	s_cbranch_execz .LBB8_85
	s_branch .LBB8_86
.LBB8_84:
                                        ; implicit-def: $vgpr39
.LBB8_85:
	ds_read_b32 v39, v38
.LBB8_86:
	s_and_saveexec_b64 s[6:7], s[0:1]
	s_cbranch_execz .LBB8_96
; %bb.87:
	v_add_u32_e32 v40, -3, v0
	v_add_u32_e32 v41, -2, v0
	v_cmp_lt_u32_e32 vcc, 6, v40
	v_mov_b32_e32 v40, 2
	s_and_saveexec_b64 s[0:1], vcc
	s_cbranch_execz .LBB8_91
; %bb.88:
	v_and_b32_e32 v40, -8, v41
	v_sub_u32_e32 v42, 0, v40
	s_mov_b64 s[8:9], 9
	s_mov_b32 s12, 56
	s_mov_b64 s[10:11], 0
.LBB8_89:                               ; =>This Inner Loop Header: Depth=1
	s_add_i32 s13, s8, -7
	v_mov_b32_e32 v40, s12
	s_add_i32 s14, s8, -6
	s_set_gpr_idx_on s13, gpr_idx(SRC0)
	v_mov_b32_e32 v51, v11
	s_set_gpr_idx_off
	ds_read2_b64 v[43:46], v40 offset1:1
	s_add_i32 s15, s8, -5
	s_set_gpr_idx_on s14, gpr_idx(SRC0)
	v_mov_b32_e32 v52, v11
	s_set_gpr_idx_off
	s_add_i32 s16, s8, -4
	s_set_gpr_idx_on s15, gpr_idx(SRC0)
	v_mov_b32_e32 v53, v11
	s_set_gpr_idx_off
	;; [unrolled: 4-line block ×4, first 2 shown]
	ds_read2_b64 v[47:50], v40 offset0:2 offset1:3
	s_add_i32 s21, s8, -1
	s_waitcnt lgkmcnt(1)
	v_fmac_f32_e32 v39, v51, v43
	s_set_gpr_idx_on s20, gpr_idx(SRC0)
	v_mov_b32_e32 v43, v11
	s_set_gpr_idx_off
	v_fmac_f32_e32 v39, v52, v44
	s_set_gpr_idx_on s21, gpr_idx(SRC0)
	v_mov_b32_e32 v44, v11
	s_set_gpr_idx_off
	;; [unrolled: 4-line block ×3, first 2 shown]
	v_fmac_f32_e32 v39, v54, v46
	s_add_u32 s8, s8, 8
	s_waitcnt lgkmcnt(0)
	v_fmac_f32_e32 v39, v55, v47
	v_add_u32_e32 v40, s8, v42
	v_fmac_f32_e32 v39, v43, v48
	s_addc_u32 s9, s9, 0
	s_add_i32 s12, s12, 32
	s_add_i32 s13, s8, -7
	v_cmp_eq_u32_e32 vcc, 9, v40
	v_fmac_f32_e32 v39, v44, v49
	v_mov_b32_e32 v40, s13
	s_or_b64 s[10:11], vcc, s[10:11]
	v_fmac_f32_e32 v39, v45, v50
	s_andn2_b64 exec, exec, s[10:11]
	s_cbranch_execnz .LBB8_89
; %bb.90:
	s_or_b64 exec, exec, s[10:11]
.LBB8_91:
	s_or_b64 exec, exec, s[0:1]
	v_and_b32_e32 v41, 7, v41
	v_cmp_ne_u32_e32 vcc, 0, v41
	s_and_saveexec_b64 s[8:9], vcc
	s_cbranch_execz .LBB8_95
; %bb.92:
	v_lshl_add_u32 v42, v40, 2, 48
	v_mov_b32_e32 v43, 0
	s_mov_b64 s[10:11], 0
.LBB8_93:                               ; =>This Inner Loop Header: Depth=1
	v_cmp_eq_u32_e32 vcc, 1, v40
	v_cndmask_b32_e32 v44, v11, v12, vcc
	v_add_u32_e32 v41, -1, v41
	v_cmp_eq_u32_e32 vcc, 2, v40
	v_cndmask_b32_e32 v44, v44, v13, vcc
	v_cmp_eq_u32_e32 vcc, 0, v41
	v_cmp_eq_u32_e64 s[0:1], 3, v40
	v_cndmask_b32_e64 v44, v44, v14, s[0:1]
	s_or_b64 s[10:11], vcc, s[10:11]
	v_cmp_eq_u32_e32 vcc, 4, v40
	ds_read_b32 v45, v42
	v_cndmask_b32_e32 v44, v44, v15, vcc
	v_cmp_eq_u32_e32 vcc, 5, v40
	v_cndmask_b32_e32 v44, v44, v16, vcc
	v_cmp_eq_u32_e32 vcc, 6, v40
	;; [unrolled: 2-line block ×4, first 2 shown]
	v_add_co_u32_e64 v40, s[0:1], 1, v40
	v_cndmask_b32_e32 v44, v44, v19, vcc
	v_add_u32_e32 v42, 4, v42
	v_addc_co_u32_e64 v43, s[0:1], 0, v43, s[0:1]
	s_waitcnt lgkmcnt(0)
	v_fmac_f32_e32 v39, v44, v45
	s_andn2_b64 exec, exec, s[10:11]
	s_cbranch_execnz .LBB8_93
; %bb.94:
	s_or_b64 exec, exec, s[10:11]
.LBB8_95:
	s_or_b64 exec, exec, s[8:9]
.LBB8_96:
	s_or_b64 exec, exec, s[6:7]
	v_mov_b32_e32 v12, 0
	ds_read_b32 v12, v12 offset:4
	s_waitcnt lgkmcnt(0)
	v_mul_f32_e32 v12, v39, v12
.LBB8_97:
	s_or_b64 exec, exec, s[4:5]
	v_cmp_ne_u32_e32 vcc, 0, v0
	ds_write_b32 v38, v11
	s_waitcnt lgkmcnt(0)
	; wave barrier
	s_and_saveexec_b64 s[4:5], vcc
	s_cbranch_execz .LBB8_113
; %bb.98:
	s_andn2_b64 vcc, exec, s[18:19]
	s_cbranch_vccnz .LBB8_100
; %bb.99:
	v_cmp_eq_u32_e32 vcc, 1, v0
	v_cndmask_b32_e32 v39, v11, v12, vcc
	v_cmp_eq_u32_e32 vcc, 2, v0
	v_cndmask_b32_e32 v39, v39, v13, vcc
	v_cmp_eq_u32_e32 vcc, 3, v0
	v_cndmask_b32_e32 v39, v39, v14, vcc
	v_cmp_eq_u32_e32 vcc, 4, v0
	v_cndmask_b32_e32 v39, v39, v15, vcc
	v_cmp_eq_u32_e32 vcc, 5, v0
	ds_read_b32 v40, v38
	v_cndmask_b32_e32 v39, v39, v16, vcc
	v_cmp_eq_u32_e32 vcc, 6, v0
	v_cndmask_b32_e32 v39, v39, v17, vcc
	v_cmp_eq_u32_e32 vcc, 7, v0
	v_cndmask_b32_e32 v39, v39, v18, vcc
	v_cmp_eq_u32_e32 vcc, 8, v0
	v_cndmask_b32_e32 v39, v39, v19, vcc
	s_waitcnt lgkmcnt(0)
	v_mul_f32_e32 v39, v39, v40
	s_cbranch_execz .LBB8_101
	s_branch .LBB8_102
.LBB8_100:
                                        ; implicit-def: $vgpr39
.LBB8_101:
	ds_read_b32 v39, v38
.LBB8_102:
	s_and_saveexec_b64 s[6:7], s[2:3]
	s_cbranch_execz .LBB8_112
; %bb.103:
	v_add_u32_e32 v41, -2, v0
	v_add_u32_e32 v40, -1, v0
	v_cmp_lt_u32_e32 vcc, 6, v41
	v_mov_b32_e32 v41, 1
	s_and_saveexec_b64 s[0:1], vcc
	s_cbranch_execz .LBB8_107
; %bb.104:
	v_and_b32_e32 v41, -8, v40
	v_sub_u32_e32 v42, 0, v41
	s_mov_b64 s[2:3], 8
	s_mov_b32 s10, 52
	s_mov_b64 s[8:9], 0
.LBB8_105:                              ; =>This Inner Loop Header: Depth=1
	s_add_i32 s11, s2, -7
	v_mov_b32_e32 v41, s10
	s_add_i32 s12, s2, -6
	s_set_gpr_idx_on s11, gpr_idx(SRC0)
	v_mov_b32_e32 v49, v11
	s_set_gpr_idx_off
	ds_read2_b32 v[43:44], v41 offset1:1
	s_add_i32 s13, s2, -5
	s_set_gpr_idx_on s12, gpr_idx(SRC0)
	v_mov_b32_e32 v50, v11
	s_set_gpr_idx_off
	s_add_i32 s14, s2, -4
	s_set_gpr_idx_on s13, gpr_idx(SRC0)
	v_mov_b32_e32 v51, v11
	s_set_gpr_idx_off
	ds_read2_b32 v[45:46], v41 offset0:2 offset1:3
	s_add_i32 s15, s2, -3
	s_set_gpr_idx_on s14, gpr_idx(SRC0)
	v_mov_b32_e32 v52, v11
	s_set_gpr_idx_off
	s_add_i32 s16, s2, -2
	s_set_gpr_idx_on s15, gpr_idx(SRC0)
	v_mov_b32_e32 v53, v11
	s_set_gpr_idx_off
	ds_read2_b32 v[47:48], v41 offset0:4 offset1:5
	s_add_i32 s17, s2, -1
	s_waitcnt lgkmcnt(2)
	v_fmac_f32_e32 v39, v49, v43
	s_set_gpr_idx_on s16, gpr_idx(SRC0)
	v_mov_b32_e32 v49, v11
	s_set_gpr_idx_off
	v_fmac_f32_e32 v39, v50, v44
	s_set_gpr_idx_on s17, gpr_idx(SRC0)
	v_mov_b32_e32 v50, v11
	s_set_gpr_idx_off
	ds_read2_b32 v[43:44], v41 offset0:6 offset1:7
	s_waitcnt lgkmcnt(2)
	v_fmac_f32_e32 v39, v51, v45
	s_set_gpr_idx_on s2, gpr_idx(SRC0)
	v_mov_b32_e32 v45, v11
	s_set_gpr_idx_off
	v_fmac_f32_e32 v39, v52, v46
	s_add_u32 s2, s2, 8
	s_waitcnt lgkmcnt(1)
	v_fmac_f32_e32 v39, v53, v47
	v_add_u32_e32 v41, s2, v42
	v_fmac_f32_e32 v39, v49, v48
	s_addc_u32 s3, s3, 0
	s_add_i32 s10, s10, 32
	s_add_i32 s11, s2, -7
	v_cmp_eq_u32_e32 vcc, 8, v41
	s_waitcnt lgkmcnt(0)
	v_fmac_f32_e32 v39, v50, v43
	v_mov_b32_e32 v41, s11
	s_or_b64 s[8:9], vcc, s[8:9]
	v_fmac_f32_e32 v39, v45, v44
	s_andn2_b64 exec, exec, s[8:9]
	s_cbranch_execnz .LBB8_105
; %bb.106:
	s_or_b64 exec, exec, s[8:9]
.LBB8_107:
	s_or_b64 exec, exec, s[0:1]
	v_and_b32_e32 v40, 7, v40
	v_cmp_ne_u32_e32 vcc, 0, v40
	s_and_saveexec_b64 s[2:3], vcc
	s_cbranch_execz .LBB8_111
; %bb.108:
	v_lshl_add_u32 v42, v41, 2, 48
	v_mov_b32_e32 v43, 0
	s_mov_b64 s[8:9], 0
.LBB8_109:                              ; =>This Inner Loop Header: Depth=1
	v_cmp_eq_u32_e32 vcc, 1, v41
	v_cndmask_b32_e32 v44, v11, v12, vcc
	v_add_u32_e32 v40, -1, v40
	v_cmp_eq_u32_e32 vcc, 2, v41
	v_cndmask_b32_e32 v44, v44, v13, vcc
	v_cmp_eq_u32_e32 vcc, 0, v40
	v_cmp_eq_u32_e64 s[0:1], 3, v41
	v_cndmask_b32_e64 v44, v44, v14, s[0:1]
	s_or_b64 s[8:9], vcc, s[8:9]
	v_cmp_eq_u32_e32 vcc, 4, v41
	ds_read_b32 v45, v42
	v_cndmask_b32_e32 v44, v44, v15, vcc
	v_cmp_eq_u32_e32 vcc, 5, v41
	v_cndmask_b32_e32 v44, v44, v16, vcc
	v_cmp_eq_u32_e32 vcc, 6, v41
	;; [unrolled: 2-line block ×4, first 2 shown]
	v_add_co_u32_e64 v41, s[0:1], 1, v41
	v_cndmask_b32_e32 v44, v44, v19, vcc
	v_add_u32_e32 v42, 4, v42
	v_addc_co_u32_e64 v43, s[0:1], 0, v43, s[0:1]
	s_waitcnt lgkmcnt(0)
	v_fmac_f32_e32 v39, v44, v45
	s_andn2_b64 exec, exec, s[8:9]
	s_cbranch_execnz .LBB8_109
; %bb.110:
	s_or_b64 exec, exec, s[8:9]
.LBB8_111:
	s_or_b64 exec, exec, s[2:3]
.LBB8_112:
	s_or_b64 exec, exec, s[6:7]
	v_mov_b32_e32 v11, 0
	ds_read_b32 v11, v11
	s_waitcnt lgkmcnt(0)
	v_mul_f32_e32 v11, v39, v11
.LBB8_113:
	s_or_b64 exec, exec, s[4:5]
	s_branch .LBB8_185
.LBB8_114:
	v_cmp_eq_u32_e64 s[2:3], 0, v0
	s_waitcnt vmcnt(7)
	ds_write_b32 v38, v3
	s_waitcnt lgkmcnt(0)
	; wave barrier
	s_and_saveexec_b64 s[0:1], s[2:3]
	s_cbranch_execz .LBB8_120
; %bb.115:
	s_and_b64 vcc, exec, s[18:19]
	s_cbranch_vccz .LBB8_117
; %bb.116:
	v_cmp_eq_u32_e32 vcc, 1, v0
	v_cndmask_b32_e32 v3, v2, v3, vcc
	v_cmp_eq_u32_e32 vcc, 2, v0
	s_waitcnt vmcnt(6)
	v_cndmask_b32_e32 v3, v3, v4, vcc
	v_cmp_eq_u32_e32 vcc, 3, v0
	s_waitcnt vmcnt(5)
	;; [unrolled: 3-line block ×3, first 2 shown]
	v_cndmask_b32_e32 v3, v3, v6, vcc
	v_cmp_eq_u32_e32 vcc, 5, v0
	ds_read_b32 v11, v38
	s_waitcnt vmcnt(3)
	v_cndmask_b32_e32 v3, v3, v7, vcc
	v_cmp_eq_u32_e32 vcc, 6, v0
	s_waitcnt vmcnt(2)
	v_cndmask_b32_e32 v3, v3, v8, vcc
	v_cmp_eq_u32_e32 vcc, 7, v0
	;; [unrolled: 3-line block ×3, first 2 shown]
	s_waitcnt vmcnt(0)
	v_cndmask_b32_e32 v3, v3, v10, vcc
	s_waitcnt lgkmcnt(0)
	v_mul_f32_e32 v3, v3, v11
	s_cbranch_execz .LBB8_118
	s_branch .LBB8_119
.LBB8_117:
                                        ; implicit-def: $vgpr3
.LBB8_118:
	ds_read_b32 v3, v38
.LBB8_119:
	v_mov_b32_e32 v11, 0
	ds_read_b32 v11, v11 offset:4
	s_waitcnt lgkmcnt(0)
	v_mul_f32_e32 v3, v3, v11
.LBB8_120:
	s_or_b64 exec, exec, s[0:1]
	v_cndmask_b32_e64 v11, 0, 1, s[18:19]
	v_cmp_gt_u32_e32 vcc, 2, v0
	v_cmp_ne_u32_e64 s[0:1], 1, v11
	s_waitcnt vmcnt(6)
	ds_write_b32 v38, v4
	s_waitcnt lgkmcnt(0)
	; wave barrier
	s_and_saveexec_b64 s[4:5], vcc
	s_cbranch_execz .LBB8_126
; %bb.121:
	s_and_b64 vcc, exec, s[0:1]
	s_cbranch_vccnz .LBB8_123
; %bb.122:
	v_cmp_eq_u32_e32 vcc, 1, v0
	v_cndmask_b32_e32 v11, v2, v3, vcc
	v_cmp_eq_u32_e32 vcc, 2, v0
	v_cndmask_b32_e32 v4, v11, v4, vcc
	v_cmp_eq_u32_e32 vcc, 3, v0
	s_waitcnt vmcnt(5)
	v_cndmask_b32_e32 v4, v4, v5, vcc
	v_cmp_eq_u32_e32 vcc, 4, v0
	s_waitcnt vmcnt(4)
	v_cndmask_b32_e32 v4, v4, v6, vcc
	v_cmp_eq_u32_e32 vcc, 5, v0
	ds_read_b32 v11, v38
	s_waitcnt vmcnt(3)
	v_cndmask_b32_e32 v4, v4, v7, vcc
	v_cmp_eq_u32_e32 vcc, 6, v0
	s_waitcnt vmcnt(2)
	v_cndmask_b32_e32 v4, v4, v8, vcc
	v_cmp_eq_u32_e32 vcc, 7, v0
	;; [unrolled: 3-line block ×3, first 2 shown]
	s_waitcnt vmcnt(0)
	v_cndmask_b32_e32 v4, v4, v10, vcc
	s_waitcnt lgkmcnt(0)
	v_mul_f32_e32 v4, v4, v11
	s_cbranch_execz .LBB8_124
	s_branch .LBB8_125
.LBB8_123:
                                        ; implicit-def: $vgpr4
.LBB8_124:
	ds_read_b32 v4, v38
.LBB8_125:
	v_mov_b32_e32 v11, 0
	ds_read2_b32 v[11:12], v11 offset0:2 offset1:13
	s_waitcnt lgkmcnt(0)
	v_fma_f32 v12, v3, v12, v4
	v_cndmask_b32_e64 v4, v4, v12, s[2:3]
	v_mul_f32_e32 v4, v4, v11
.LBB8_126:
	s_or_b64 exec, exec, s[4:5]
	v_cmp_gt_u32_e32 vcc, 3, v0
	s_waitcnt vmcnt(5)
	ds_write_b32 v38, v5
	s_waitcnt lgkmcnt(0)
	; wave barrier
	s_and_saveexec_b64 s[4:5], vcc
	s_cbranch_execz .LBB8_134
; %bb.127:
	s_and_b64 vcc, exec, s[0:1]
	s_cbranch_vccnz .LBB8_129
; %bb.128:
	v_cmp_eq_u32_e32 vcc, 1, v0
	v_cndmask_b32_e32 v11, v2, v3, vcc
	v_cmp_eq_u32_e32 vcc, 2, v0
	v_cndmask_b32_e32 v11, v11, v4, vcc
	;; [unrolled: 2-line block ×3, first 2 shown]
	v_cmp_eq_u32_e32 vcc, 4, v0
	s_waitcnt vmcnt(4)
	v_cndmask_b32_e32 v11, v11, v6, vcc
	v_cmp_eq_u32_e32 vcc, 5, v0
	ds_read_b32 v12, v38
	s_waitcnt vmcnt(3)
	v_cndmask_b32_e32 v11, v11, v7, vcc
	v_cmp_eq_u32_e32 vcc, 6, v0
	s_waitcnt vmcnt(2)
	v_cndmask_b32_e32 v11, v11, v8, vcc
	v_cmp_eq_u32_e32 vcc, 7, v0
	;; [unrolled: 3-line block ×3, first 2 shown]
	s_waitcnt vmcnt(0)
	v_cndmask_b32_e32 v11, v11, v10, vcc
	s_waitcnt lgkmcnt(0)
	v_mul_f32_e32 v11, v11, v12
	s_cbranch_execz .LBB8_130
	s_branch .LBB8_131
.LBB8_129:
                                        ; implicit-def: $vgpr11
.LBB8_130:
	ds_read_b32 v11, v38
.LBB8_131:
	v_cmp_ne_u32_e32 vcc, 2, v0
	s_and_saveexec_b64 s[6:7], vcc
	s_cbranch_execz .LBB8_133
; %bb.132:
	v_add_u32_e32 v12, 1, v0
	v_cmp_eq_u32_e32 vcc, 1, v12
	v_cndmask_b32_e32 v13, v2, v3, vcc
	v_cmp_eq_u32_e32 vcc, 2, v12
	v_cndmask_b32_e32 v13, v13, v4, vcc
	;; [unrolled: 2-line block ×3, first 2 shown]
	v_cmp_eq_u32_e32 vcc, 4, v12
	s_waitcnt vmcnt(4)
	v_cndmask_b32_e32 v5, v5, v6, vcc
	v_cmp_eq_u32_e32 vcc, 5, v12
	v_mov_b32_e32 v13, 0
	s_waitcnt vmcnt(3)
	v_cndmask_b32_e32 v5, v5, v7, vcc
	v_cmp_eq_u32_e32 vcc, 6, v12
	ds_read_b32 v14, v38 offset:4
	ds_read_b32 v13, v13 offset:56
	s_waitcnt vmcnt(2)
	v_cndmask_b32_e32 v5, v5, v8, vcc
	v_cmp_eq_u32_e32 vcc, 7, v12
	s_waitcnt vmcnt(1)
	v_cndmask_b32_e32 v5, v5, v9, vcc
	v_cmp_eq_u32_e32 vcc, 8, v12
	s_waitcnt vmcnt(0)
	v_cndmask_b32_e32 v5, v5, v10, vcc
	s_waitcnt lgkmcnt(1)
	v_fmac_f32_e32 v11, v5, v14
	s_waitcnt lgkmcnt(0)
	v_fma_f32 v5, v4, v13, v11
	v_cndmask_b32_e64 v11, v11, v5, s[2:3]
.LBB8_133:
	s_or_b64 exec, exec, s[6:7]
	v_mov_b32_e32 v5, 0
	ds_read_b32 v5, v5 offset:12
	s_waitcnt lgkmcnt(0)
	v_mul_f32_e32 v5, v11, v5
.LBB8_134:
	s_or_b64 exec, exec, s[4:5]
	v_cmp_gt_u32_e32 vcc, 4, v0
	s_waitcnt vmcnt(4)
	ds_write_b32 v38, v6
	s_waitcnt lgkmcnt(0)
	; wave barrier
	s_and_saveexec_b64 s[4:5], vcc
	s_cbranch_execz .LBB8_144
; %bb.135:
	s_and_b64 vcc, exec, s[0:1]
	s_cbranch_vccnz .LBB8_137
; %bb.136:
	v_cmp_eq_u32_e32 vcc, 1, v0
	v_cndmask_b32_e32 v11, v2, v3, vcc
	v_cmp_eq_u32_e32 vcc, 2, v0
	v_cndmask_b32_e32 v11, v11, v4, vcc
	;; [unrolled: 2-line block ×4, first 2 shown]
	v_cmp_eq_u32_e32 vcc, 5, v0
	ds_read_b32 v12, v38
	s_waitcnt vmcnt(3)
	v_cndmask_b32_e32 v11, v11, v7, vcc
	v_cmp_eq_u32_e32 vcc, 6, v0
	s_waitcnt vmcnt(2)
	v_cndmask_b32_e32 v11, v11, v8, vcc
	v_cmp_eq_u32_e32 vcc, 7, v0
	;; [unrolled: 3-line block ×3, first 2 shown]
	s_waitcnt vmcnt(0)
	v_cndmask_b32_e32 v11, v11, v10, vcc
	s_waitcnt lgkmcnt(0)
	v_mul_f32_e32 v13, v11, v12
	s_cbranch_execz .LBB8_138
	s_branch .LBB8_139
.LBB8_137:
                                        ; implicit-def: $vgpr13
.LBB8_138:
	ds_read_b32 v13, v38
.LBB8_139:
	v_cmp_ne_u32_e32 vcc, 3, v0
	s_and_saveexec_b64 s[6:7], vcc
	s_cbranch_execz .LBB8_143
; %bb.140:
	v_mov_b32_e32 v12, v1
	v_lshl_add_u32 v14, v0, 2, 52
	s_mov_b64 s[8:9], 0
	v_mov_b32_e32 v11, v0
.LBB8_141:                              ; =>This Inner Loop Header: Depth=1
	v_add_co_u32_e32 v11, vcc, 1, v11
	v_addc_co_u32_e32 v12, vcc, 0, v12, vcc
	v_cmp_eq_u32_e32 vcc, 1, v11
	v_cndmask_b32_e32 v16, v2, v3, vcc
	v_cmp_lt_u32_e32 vcc, 2, v11
	v_cmp_eq_u32_e64 s[2:3], 2, v11
	v_cndmask_b32_e64 v16, v16, v4, s[2:3]
	s_or_b64 s[8:9], vcc, s[8:9]
	v_cmp_eq_u32_e32 vcc, 3, v11
	v_cndmask_b32_e32 v16, v16, v5, vcc
	v_cmp_eq_u32_e32 vcc, 4, v11
	ds_read_b32 v15, v14
	v_cndmask_b32_e32 v16, v16, v6, vcc
	v_cmp_eq_u32_e32 vcc, 5, v11
	s_waitcnt vmcnt(3)
	v_cndmask_b32_e32 v16, v16, v7, vcc
	v_cmp_eq_u32_e32 vcc, 6, v11
	s_waitcnt vmcnt(2)
	;; [unrolled: 3-line block ×4, first 2 shown]
	v_cndmask_b32_e32 v16, v16, v10, vcc
	v_add_u32_e32 v14, 4, v14
	s_waitcnt lgkmcnt(0)
	v_fmac_f32_e32 v13, v16, v15
	s_andn2_b64 exec, exec, s[8:9]
	s_cbranch_execnz .LBB8_141
; %bb.142:
	s_or_b64 exec, exec, s[8:9]
.LBB8_143:
	s_or_b64 exec, exec, s[6:7]
	v_mov_b32_e32 v6, 0
	ds_read_b32 v6, v6 offset:16
	s_waitcnt lgkmcnt(0)
	v_mul_f32_e32 v6, v13, v6
.LBB8_144:
	s_or_b64 exec, exec, s[4:5]
	v_cmp_gt_u32_e32 vcc, 5, v0
	s_waitcnt vmcnt(3)
	ds_write_b32 v38, v7
	s_waitcnt lgkmcnt(0)
	; wave barrier
	s_and_saveexec_b64 s[4:5], vcc
	s_cbranch_execz .LBB8_154
; %bb.145:
	s_and_b64 vcc, exec, s[0:1]
	s_cbranch_vccnz .LBB8_147
; %bb.146:
	v_cmp_eq_u32_e32 vcc, 1, v0
	v_cndmask_b32_e32 v11, v2, v3, vcc
	v_cmp_eq_u32_e32 vcc, 2, v0
	v_cndmask_b32_e32 v11, v11, v4, vcc
	;; [unrolled: 2-line block ×4, first 2 shown]
	v_cmp_eq_u32_e32 vcc, 5, v0
	ds_read_b32 v12, v38
	v_cndmask_b32_e32 v11, v11, v7, vcc
	v_cmp_eq_u32_e32 vcc, 6, v0
	s_waitcnt vmcnt(2)
	v_cndmask_b32_e32 v11, v11, v8, vcc
	v_cmp_eq_u32_e32 vcc, 7, v0
	s_waitcnt vmcnt(1)
	;; [unrolled: 3-line block ×3, first 2 shown]
	v_cndmask_b32_e32 v11, v11, v10, vcc
	s_waitcnt lgkmcnt(0)
	v_mul_f32_e32 v13, v11, v12
	s_cbranch_execz .LBB8_148
	s_branch .LBB8_149
.LBB8_147:
                                        ; implicit-def: $vgpr13
.LBB8_148:
	ds_read_b32 v13, v38
.LBB8_149:
	v_cmp_ne_u32_e32 vcc, 4, v0
	s_and_saveexec_b64 s[6:7], vcc
	s_cbranch_execz .LBB8_153
; %bb.150:
	v_mov_b32_e32 v12, v1
	v_lshl_add_u32 v14, v0, 2, 52
	s_mov_b64 s[8:9], 0
	v_mov_b32_e32 v11, v0
.LBB8_151:                              ; =>This Inner Loop Header: Depth=1
	v_add_co_u32_e32 v11, vcc, 1, v11
	v_addc_co_u32_e32 v12, vcc, 0, v12, vcc
	v_cmp_eq_u32_e32 vcc, 1, v11
	v_cndmask_b32_e32 v16, v2, v3, vcc
	v_cmp_lt_u32_e32 vcc, 3, v11
	v_cmp_eq_u32_e64 s[2:3], 2, v11
	v_cndmask_b32_e64 v16, v16, v4, s[2:3]
	s_or_b64 s[8:9], vcc, s[8:9]
	v_cmp_eq_u32_e32 vcc, 3, v11
	v_cndmask_b32_e32 v16, v16, v5, vcc
	v_cmp_eq_u32_e32 vcc, 4, v11
	ds_read_b32 v15, v14
	v_cndmask_b32_e32 v16, v16, v6, vcc
	v_cmp_eq_u32_e32 vcc, 5, v11
	v_cndmask_b32_e32 v16, v16, v7, vcc
	v_cmp_eq_u32_e32 vcc, 6, v11
	s_waitcnt vmcnt(2)
	v_cndmask_b32_e32 v16, v16, v8, vcc
	v_cmp_eq_u32_e32 vcc, 7, v11
	s_waitcnt vmcnt(1)
	;; [unrolled: 3-line block ×3, first 2 shown]
	v_cndmask_b32_e32 v16, v16, v10, vcc
	v_add_u32_e32 v14, 4, v14
	s_waitcnt lgkmcnt(0)
	v_fmac_f32_e32 v13, v16, v15
	s_andn2_b64 exec, exec, s[8:9]
	s_cbranch_execnz .LBB8_151
; %bb.152:
	s_or_b64 exec, exec, s[8:9]
.LBB8_153:
	s_or_b64 exec, exec, s[6:7]
	v_mov_b32_e32 v7, 0
	ds_read_b32 v7, v7 offset:20
	s_waitcnt lgkmcnt(0)
	v_mul_f32_e32 v7, v13, v7
.LBB8_154:
	s_or_b64 exec, exec, s[4:5]
	v_cmp_gt_u32_e32 vcc, 6, v0
	s_waitcnt vmcnt(2)
	ds_write_b32 v38, v8
	s_waitcnt lgkmcnt(0)
	; wave barrier
	s_and_saveexec_b64 s[4:5], vcc
	s_cbranch_execz .LBB8_164
; %bb.155:
	s_and_b64 vcc, exec, s[0:1]
	s_cbranch_vccnz .LBB8_157
; %bb.156:
	v_cmp_eq_u32_e32 vcc, 1, v0
	v_cndmask_b32_e32 v11, v2, v3, vcc
	v_cmp_eq_u32_e32 vcc, 2, v0
	v_cndmask_b32_e32 v11, v11, v4, vcc
	;; [unrolled: 2-line block ×4, first 2 shown]
	v_cmp_eq_u32_e32 vcc, 5, v0
	ds_read_b32 v12, v38
	v_cndmask_b32_e32 v11, v11, v7, vcc
	v_cmp_eq_u32_e32 vcc, 6, v0
	v_cndmask_b32_e32 v11, v11, v8, vcc
	v_cmp_eq_u32_e32 vcc, 7, v0
	s_waitcnt vmcnt(1)
	v_cndmask_b32_e32 v11, v11, v9, vcc
	v_cmp_eq_u32_e32 vcc, 8, v0
	s_waitcnt vmcnt(0)
	v_cndmask_b32_e32 v11, v11, v10, vcc
	s_waitcnt lgkmcnt(0)
	v_mul_f32_e32 v13, v11, v12
	s_cbranch_execz .LBB8_158
	s_branch .LBB8_159
.LBB8_157:
                                        ; implicit-def: $vgpr13
.LBB8_158:
	ds_read_b32 v13, v38
.LBB8_159:
	v_cmp_ne_u32_e32 vcc, 5, v0
	s_and_saveexec_b64 s[6:7], vcc
	s_cbranch_execz .LBB8_163
; %bb.160:
	v_mov_b32_e32 v12, v1
	v_lshl_add_u32 v14, v0, 2, 52
	s_mov_b64 s[8:9], 0
	v_mov_b32_e32 v11, v0
.LBB8_161:                              ; =>This Inner Loop Header: Depth=1
	v_add_co_u32_e32 v11, vcc, 1, v11
	v_addc_co_u32_e32 v12, vcc, 0, v12, vcc
	v_cmp_eq_u32_e32 vcc, 1, v11
	v_cndmask_b32_e32 v16, v2, v3, vcc
	v_cmp_lt_u32_e32 vcc, 4, v11
	v_cmp_eq_u32_e64 s[2:3], 2, v11
	v_cndmask_b32_e64 v16, v16, v4, s[2:3]
	s_or_b64 s[8:9], vcc, s[8:9]
	v_cmp_eq_u32_e32 vcc, 3, v11
	v_cndmask_b32_e32 v16, v16, v5, vcc
	v_cmp_eq_u32_e32 vcc, 4, v11
	ds_read_b32 v15, v14
	v_cndmask_b32_e32 v16, v16, v6, vcc
	v_cmp_eq_u32_e32 vcc, 5, v11
	v_cndmask_b32_e32 v16, v16, v7, vcc
	v_cmp_eq_u32_e32 vcc, 6, v11
	;; [unrolled: 2-line block ×3, first 2 shown]
	s_waitcnt vmcnt(1)
	v_cndmask_b32_e32 v16, v16, v9, vcc
	v_cmp_eq_u32_e32 vcc, 8, v11
	s_waitcnt vmcnt(0)
	v_cndmask_b32_e32 v16, v16, v10, vcc
	v_add_u32_e32 v14, 4, v14
	s_waitcnt lgkmcnt(0)
	v_fmac_f32_e32 v13, v16, v15
	s_andn2_b64 exec, exec, s[8:9]
	s_cbranch_execnz .LBB8_161
; %bb.162:
	s_or_b64 exec, exec, s[8:9]
.LBB8_163:
	s_or_b64 exec, exec, s[6:7]
	v_mov_b32_e32 v8, 0
	ds_read_b32 v8, v8 offset:24
	s_waitcnt lgkmcnt(0)
	v_mul_f32_e32 v8, v13, v8
.LBB8_164:
	s_or_b64 exec, exec, s[4:5]
	v_cmp_gt_u32_e64 s[2:3], 7, v0
	s_waitcnt vmcnt(1)
	ds_write_b32 v38, v9
	s_waitcnt lgkmcnt(0)
	; wave barrier
	s_and_saveexec_b64 s[6:7], s[2:3]
	s_cbranch_execz .LBB8_174
; %bb.165:
	s_and_b64 vcc, exec, s[0:1]
	s_cbranch_vccnz .LBB8_167
; %bb.166:
	v_cmp_eq_u32_e32 vcc, 1, v0
	v_cndmask_b32_e32 v11, v2, v3, vcc
	v_cmp_eq_u32_e32 vcc, 2, v0
	v_cndmask_b32_e32 v11, v11, v4, vcc
	;; [unrolled: 2-line block ×4, first 2 shown]
	v_cmp_eq_u32_e32 vcc, 5, v0
	ds_read_b32 v12, v38
	v_cndmask_b32_e32 v11, v11, v7, vcc
	v_cmp_eq_u32_e32 vcc, 6, v0
	v_cndmask_b32_e32 v11, v11, v8, vcc
	v_cmp_eq_u32_e32 vcc, 7, v0
	;; [unrolled: 2-line block ×3, first 2 shown]
	s_waitcnt vmcnt(0)
	v_cndmask_b32_e32 v11, v11, v10, vcc
	s_waitcnt lgkmcnt(0)
	v_mul_f32_e32 v13, v11, v12
	s_cbranch_execz .LBB8_168
	s_branch .LBB8_169
.LBB8_167:
                                        ; implicit-def: $vgpr13
.LBB8_168:
	ds_read_b32 v13, v38
.LBB8_169:
	v_cmp_ne_u32_e32 vcc, 6, v0
	s_and_saveexec_b64 s[8:9], vcc
	s_cbranch_execz .LBB8_173
; %bb.170:
	v_mov_b32_e32 v12, v1
	v_lshl_add_u32 v14, v0, 2, 52
	s_mov_b64 s[10:11], 0
	v_mov_b32_e32 v11, v0
.LBB8_171:                              ; =>This Inner Loop Header: Depth=1
	v_add_co_u32_e32 v11, vcc, 1, v11
	v_addc_co_u32_e32 v12, vcc, 0, v12, vcc
	v_cmp_eq_u32_e32 vcc, 1, v11
	v_cndmask_b32_e32 v16, v2, v3, vcc
	v_cmp_lt_u32_e32 vcc, 5, v11
	v_cmp_eq_u32_e64 s[4:5], 2, v11
	v_cndmask_b32_e64 v16, v16, v4, s[4:5]
	s_or_b64 s[10:11], vcc, s[10:11]
	v_cmp_eq_u32_e32 vcc, 3, v11
	v_cndmask_b32_e32 v16, v16, v5, vcc
	v_cmp_eq_u32_e32 vcc, 4, v11
	ds_read_b32 v15, v14
	v_cndmask_b32_e32 v16, v16, v6, vcc
	v_cmp_eq_u32_e32 vcc, 5, v11
	v_cndmask_b32_e32 v16, v16, v7, vcc
	v_cmp_eq_u32_e32 vcc, 6, v11
	;; [unrolled: 2-line block ×4, first 2 shown]
	s_waitcnt vmcnt(0)
	v_cndmask_b32_e32 v16, v16, v10, vcc
	v_add_u32_e32 v14, 4, v14
	s_waitcnt lgkmcnt(0)
	v_fmac_f32_e32 v13, v16, v15
	s_andn2_b64 exec, exec, s[10:11]
	s_cbranch_execnz .LBB8_171
; %bb.172:
	s_or_b64 exec, exec, s[10:11]
.LBB8_173:
	s_or_b64 exec, exec, s[8:9]
	v_mov_b32_e32 v9, 0
	ds_read_b32 v9, v9 offset:28
	s_waitcnt lgkmcnt(0)
	v_mul_f32_e32 v9, v13, v9
.LBB8_174:
	s_or_b64 exec, exec, s[6:7]
	v_cmp_ne_u32_e32 vcc, 8, v0
	s_waitcnt vmcnt(0)
	ds_write_b32 v38, v10
	s_waitcnt lgkmcnt(0)
	; wave barrier
	s_and_saveexec_b64 s[4:5], vcc
	s_cbranch_execz .LBB8_184
; %bb.175:
	s_and_b64 vcc, exec, s[0:1]
	s_cbranch_vccnz .LBB8_177
; %bb.176:
	v_cmp_eq_u32_e32 vcc, 1, v0
	v_cndmask_b32_e32 v11, v2, v3, vcc
	v_cmp_eq_u32_e32 vcc, 2, v0
	v_cndmask_b32_e32 v11, v11, v4, vcc
	;; [unrolled: 2-line block ×4, first 2 shown]
	v_cmp_eq_u32_e32 vcc, 5, v0
	ds_read_b32 v12, v38
	v_cndmask_b32_e32 v11, v11, v7, vcc
	v_cmp_eq_u32_e32 vcc, 6, v0
	v_cndmask_b32_e32 v11, v11, v8, vcc
	v_cmp_eq_u32_e32 vcc, 7, v0
	;; [unrolled: 2-line block ×3, first 2 shown]
	v_cndmask_b32_e32 v11, v11, v10, vcc
	s_waitcnt lgkmcnt(0)
	v_mul_f32_e32 v11, v11, v12
	s_cbranch_execz .LBB8_178
	s_branch .LBB8_179
.LBB8_177:
                                        ; implicit-def: $vgpr11
.LBB8_178:
	ds_read_b32 v11, v38
.LBB8_179:
	s_and_saveexec_b64 s[6:7], s[2:3]
	s_cbranch_execz .LBB8_183
; %bb.180:
	v_lshl_add_u32 v12, v0, 2, 52
	s_mov_b64 s[2:3], 0
.LBB8_181:                              ; =>This Inner Loop Header: Depth=1
	v_add_co_u32_e32 v0, vcc, 1, v0
	v_addc_co_u32_e32 v1, vcc, 0, v1, vcc
	v_cmp_eq_u32_e32 vcc, 1, v0
	v_cndmask_b32_e32 v14, v2, v3, vcc
	v_cmp_lt_u32_e32 vcc, 6, v0
	v_cmp_eq_u32_e64 s[0:1], 2, v0
	v_cndmask_b32_e64 v14, v14, v4, s[0:1]
	s_or_b64 s[2:3], vcc, s[2:3]
	v_cmp_eq_u32_e32 vcc, 3, v0
	v_cndmask_b32_e32 v14, v14, v5, vcc
	v_cmp_eq_u32_e32 vcc, 4, v0
	ds_read_b32 v13, v12
	v_cndmask_b32_e32 v14, v14, v6, vcc
	v_cmp_eq_u32_e32 vcc, 5, v0
	v_cndmask_b32_e32 v14, v14, v7, vcc
	v_cmp_eq_u32_e32 vcc, 6, v0
	;; [unrolled: 2-line block ×4, first 2 shown]
	v_cndmask_b32_e32 v14, v14, v10, vcc
	v_add_u32_e32 v12, 4, v12
	s_waitcnt lgkmcnt(0)
	v_fmac_f32_e32 v11, v14, v13
	s_andn2_b64 exec, exec, s[2:3]
	s_cbranch_execnz .LBB8_181
; %bb.182:
	s_or_b64 exec, exec, s[2:3]
.LBB8_183:
	s_or_b64 exec, exec, s[6:7]
	v_mov_b32_e32 v0, 0
	ds_read_b32 v0, v0 offset:32
	s_waitcnt lgkmcnt(0)
	v_mul_f32_e32 v10, v11, v0
.LBB8_184:
	s_or_b64 exec, exec, s[4:5]
	v_mov_b32_e32 v19, v10
	v_mov_b32_e32 v18, v9
	;; [unrolled: 1-line block ×9, first 2 shown]
.LBB8_185:
	global_store_dword v[34:35], v11, off
	global_store_dword v[36:37], v12, off
	;; [unrolled: 1-line block ×9, first 2 shown]
.LBB8_186:
	s_endpgm
	.section	.rodata,"a",@progbits
	.p2align	6, 0x0
	.amdhsa_kernel _ZN9rocsolver6v33100L18trti2_kernel_smallILi9EfPfEEv13rocblas_fill_17rocblas_diagonal_T1_iil
		.amdhsa_group_segment_fixed_size 84
		.amdhsa_private_segment_fixed_size 0
		.amdhsa_kernarg_size 32
		.amdhsa_user_sgpr_count 6
		.amdhsa_user_sgpr_private_segment_buffer 1
		.amdhsa_user_sgpr_dispatch_ptr 0
		.amdhsa_user_sgpr_queue_ptr 0
		.amdhsa_user_sgpr_kernarg_segment_ptr 1
		.amdhsa_user_sgpr_dispatch_id 0
		.amdhsa_user_sgpr_flat_scratch_init 0
		.amdhsa_user_sgpr_private_segment_size 0
		.amdhsa_uses_dynamic_stack 0
		.amdhsa_system_sgpr_private_segment_wavefront_offset 0
		.amdhsa_system_sgpr_workgroup_id_x 1
		.amdhsa_system_sgpr_workgroup_id_y 0
		.amdhsa_system_sgpr_workgroup_id_z 0
		.amdhsa_system_sgpr_workgroup_info 0
		.amdhsa_system_vgpr_workitem_id 0
		.amdhsa_next_free_vgpr 56
		.amdhsa_next_free_sgpr 28
		.amdhsa_reserve_vcc 1
		.amdhsa_reserve_flat_scratch 0
		.amdhsa_float_round_mode_32 0
		.amdhsa_float_round_mode_16_64 0
		.amdhsa_float_denorm_mode_32 3
		.amdhsa_float_denorm_mode_16_64 3
		.amdhsa_dx10_clamp 1
		.amdhsa_ieee_mode 1
		.amdhsa_fp16_overflow 0
		.amdhsa_exception_fp_ieee_invalid_op 0
		.amdhsa_exception_fp_denorm_src 0
		.amdhsa_exception_fp_ieee_div_zero 0
		.amdhsa_exception_fp_ieee_overflow 0
		.amdhsa_exception_fp_ieee_underflow 0
		.amdhsa_exception_fp_ieee_inexact 0
		.amdhsa_exception_int_div_zero 0
	.end_amdhsa_kernel
	.section	.text._ZN9rocsolver6v33100L18trti2_kernel_smallILi9EfPfEEv13rocblas_fill_17rocblas_diagonal_T1_iil,"axG",@progbits,_ZN9rocsolver6v33100L18trti2_kernel_smallILi9EfPfEEv13rocblas_fill_17rocblas_diagonal_T1_iil,comdat
.Lfunc_end8:
	.size	_ZN9rocsolver6v33100L18trti2_kernel_smallILi9EfPfEEv13rocblas_fill_17rocblas_diagonal_T1_iil, .Lfunc_end8-_ZN9rocsolver6v33100L18trti2_kernel_smallILi9EfPfEEv13rocblas_fill_17rocblas_diagonal_T1_iil
                                        ; -- End function
	.set _ZN9rocsolver6v33100L18trti2_kernel_smallILi9EfPfEEv13rocblas_fill_17rocblas_diagonal_T1_iil.num_vgpr, 56
	.set _ZN9rocsolver6v33100L18trti2_kernel_smallILi9EfPfEEv13rocblas_fill_17rocblas_diagonal_T1_iil.num_agpr, 0
	.set _ZN9rocsolver6v33100L18trti2_kernel_smallILi9EfPfEEv13rocblas_fill_17rocblas_diagonal_T1_iil.numbered_sgpr, 28
	.set _ZN9rocsolver6v33100L18trti2_kernel_smallILi9EfPfEEv13rocblas_fill_17rocblas_diagonal_T1_iil.num_named_barrier, 0
	.set _ZN9rocsolver6v33100L18trti2_kernel_smallILi9EfPfEEv13rocblas_fill_17rocblas_diagonal_T1_iil.private_seg_size, 0
	.set _ZN9rocsolver6v33100L18trti2_kernel_smallILi9EfPfEEv13rocblas_fill_17rocblas_diagonal_T1_iil.uses_vcc, 1
	.set _ZN9rocsolver6v33100L18trti2_kernel_smallILi9EfPfEEv13rocblas_fill_17rocblas_diagonal_T1_iil.uses_flat_scratch, 0
	.set _ZN9rocsolver6v33100L18trti2_kernel_smallILi9EfPfEEv13rocblas_fill_17rocblas_diagonal_T1_iil.has_dyn_sized_stack, 0
	.set _ZN9rocsolver6v33100L18trti2_kernel_smallILi9EfPfEEv13rocblas_fill_17rocblas_diagonal_T1_iil.has_recursion, 0
	.set _ZN9rocsolver6v33100L18trti2_kernel_smallILi9EfPfEEv13rocblas_fill_17rocblas_diagonal_T1_iil.has_indirect_call, 0
	.section	.AMDGPU.csdata,"",@progbits
; Kernel info:
; codeLenInByte = 7372
; TotalNumSgprs: 32
; NumVgprs: 56
; ScratchSize: 0
; MemoryBound: 0
; FloatMode: 240
; IeeeMode: 1
; LDSByteSize: 84 bytes/workgroup (compile time only)
; SGPRBlocks: 3
; VGPRBlocks: 13
; NumSGPRsForWavesPerEU: 32
; NumVGPRsForWavesPerEU: 56
; Occupancy: 4
; WaveLimiterHint : 0
; COMPUTE_PGM_RSRC2:SCRATCH_EN: 0
; COMPUTE_PGM_RSRC2:USER_SGPR: 6
; COMPUTE_PGM_RSRC2:TRAP_HANDLER: 0
; COMPUTE_PGM_RSRC2:TGID_X_EN: 1
; COMPUTE_PGM_RSRC2:TGID_Y_EN: 0
; COMPUTE_PGM_RSRC2:TGID_Z_EN: 0
; COMPUTE_PGM_RSRC2:TIDIG_COMP_CNT: 0
	.section	.text._ZN9rocsolver6v33100L18trti2_kernel_smallILi10EfPfEEv13rocblas_fill_17rocblas_diagonal_T1_iil,"axG",@progbits,_ZN9rocsolver6v33100L18trti2_kernel_smallILi10EfPfEEv13rocblas_fill_17rocblas_diagonal_T1_iil,comdat
	.globl	_ZN9rocsolver6v33100L18trti2_kernel_smallILi10EfPfEEv13rocblas_fill_17rocblas_diagonal_T1_iil ; -- Begin function _ZN9rocsolver6v33100L18trti2_kernel_smallILi10EfPfEEv13rocblas_fill_17rocblas_diagonal_T1_iil
	.p2align	8
	.type	_ZN9rocsolver6v33100L18trti2_kernel_smallILi10EfPfEEv13rocblas_fill_17rocblas_diagonal_T1_iil,@function
_ZN9rocsolver6v33100L18trti2_kernel_smallILi10EfPfEEv13rocblas_fill_17rocblas_diagonal_T1_iil: ; @_ZN9rocsolver6v33100L18trti2_kernel_smallILi10EfPfEEv13rocblas_fill_17rocblas_diagonal_T1_iil
; %bb.0:
	v_cmp_gt_u32_e32 vcc, 10, v0
	s_and_saveexec_b64 s[0:1], vcc
	s_cbranch_execz .LBB9_224
; %bb.1:
	s_load_dwordx8 s[20:27], s[4:5], 0x0
	s_ashr_i32 s2, s6, 31
	v_lshlrev_b32_e32 v12, 2, v0
	v_mov_b32_e32 v13, -1.0
	s_waitcnt lgkmcnt(0)
	s_mul_hi_u32 s3, s26, s6
	s_mul_i32 s2, s26, s2
	s_add_i32 s2, s3, s2
	s_mul_i32 s3, s27, s6
	s_add_i32 s3, s2, s3
	s_mul_i32 s2, s26, s6
	s_ashr_i32 s1, s24, 31
	s_lshl_b64 s[2:3], s[2:3], 2
	s_mov_b32 s0, s24
	s_add_u32 s2, s22, s2
	s_addc_u32 s3, s23, s3
	s_lshl_b64 s[0:1], s[0:1], 2
	s_add_u32 s0, s2, s0
	s_addc_u32 s1, s3, s1
	s_add_i32 s2, s25, s25
	v_add_u32_e32 v1, s2, v0
	v_ashrrev_i32_e32 v2, 31, v1
	v_lshlrev_b64 v[2:3], 2, v[1:2]
	v_add_u32_e32 v1, s25, v1
	v_mov_b32_e32 v4, s1
	v_add_co_u32_e32 v22, vcc, s0, v2
	v_ashrrev_i32_e32 v2, 31, v1
	v_addc_co_u32_e32 v23, vcc, v4, v3, vcc
	v_lshlrev_b64 v[2:3], 2, v[1:2]
	v_add_u32_e32 v1, s25, v1
	v_add_co_u32_e32 v24, vcc, s0, v2
	v_ashrrev_i32_e32 v2, 31, v1
	v_addc_co_u32_e32 v25, vcc, v4, v3, vcc
	v_lshlrev_b64 v[2:3], 2, v[1:2]
	v_add_u32_e32 v1, s25, v1
	;; [unrolled: 5-line block ×6, first 2 shown]
	v_add_co_u32_e32 v34, vcc, s0, v2
	v_ashrrev_i32_e32 v2, 31, v1
	v_lshlrev_b64 v[1:2], 2, v[1:2]
	v_addc_co_u32_e32 v35, vcc, v4, v3, vcc
	v_mov_b32_e32 v3, s1
	v_add_co_u32_e32 v36, vcc, s0, v1
	v_addc_co_u32_e32 v37, vcc, v3, v2, vcc
	v_mov_b32_e32 v1, s1
	v_add_co_u32_e32 v38, vcc, s0, v12
	s_ashr_i32 s3, s25, 31
	s_mov_b32 s2, s25
	v_addc_co_u32_e32 v39, vcc, 0, v1, vcc
	s_lshl_b64 s[2:3], s[2:3], 2
	v_mov_b32_e32 v1, s3
	v_add_co_u32_e32 v40, vcc, s2, v38
	v_addc_co_u32_e32 v41, vcc, v39, v1, vcc
	global_load_dword v3, v[40:41], off
	global_load_dword v4, v[22:23], off
	;; [unrolled: 1-line block ×8, first 2 shown]
	global_load_dword v2, v12, s[0:1]
	global_load_dword v11, v[36:37], off
	s_cmpk_lg_i32 s21, 0x84
	v_mov_b32_e32 v1, 0
	s_cselect_b64 s[22:23], -1, 0
	s_cmpk_eq_i32 s21, 0x84
	v_cmp_eq_u32_e64 s[0:1], 0, v0
	s_cbranch_scc1 .LBB9_3
; %bb.2:
	v_cmp_eq_u32_e64 s[2:3], 1, v0
	s_waitcnt vmcnt(1)
	v_cndmask_b32_e64 v13, v2, v3, s[2:3]
	v_cmp_eq_u32_e64 s[4:5], 2, v0
	v_cndmask_b32_e64 v13, v13, v4, s[4:5]
	v_cmp_eq_u32_e64 s[6:7], 3, v0
	;; [unrolled: 2-line block ×8, first 2 shown]
	s_waitcnt vmcnt(0)
	v_cndmask_b32_e64 v13, v13, v11, s[18:19]
	v_div_scale_f32 v14, s[24:25], v13, v13, 1.0
	v_div_scale_f32 v15, vcc, 1.0, v13, 1.0
	v_rcp_f32_e32 v16, v14
	v_fma_f32 v17, -v14, v16, 1.0
	v_fmac_f32_e32 v16, v17, v16
	v_mul_f32_e32 v17, v15, v16
	v_fma_f32 v18, -v14, v17, v15
	v_fmac_f32_e32 v17, v18, v16
	v_fma_f32 v14, -v14, v17, v15
	v_div_fmas_f32 v14, v14, v16, v17
	v_div_fixup_f32 v13, v14, v13, 1.0
	v_cndmask_b32_e64 v11, v11, v13, s[18:19]
	v_cndmask_b32_e64 v10, v10, v13, s[16:17]
	;; [unrolled: 1-line block ×10, first 2 shown]
	v_xor_b32_e32 v13, 0x80000000, v13
.LBB9_3:
	s_cmpk_eq_i32 s20, 0x79
	v_add_u32_e32 v42, 48, v12
	ds_write_b32 v12, v13
	s_cbranch_scc1 .LBB9_7
; %bb.4:
	s_waitcnt vmcnt(0)
	v_mov_b32_e32 v21, v11
	v_mov_b32_e32 v20, v10
	;; [unrolled: 1-line block ×10, first 2 shown]
	v_cmp_eq_u32_e64 s[0:1], 9, v0
	ds_write_b32 v42, v10
	s_waitcnt lgkmcnt(0)
	; wave barrier
	s_and_saveexec_b64 s[2:3], s[0:1]
	s_cbranch_execz .LBB9_11
; %bb.5:
	s_and_b64 vcc, exec, s[22:23]
	s_cbranch_vccz .LBB9_8
; %bb.6:
	v_cmp_eq_u32_e32 vcc, 1, v0
	v_cndmask_b32_e32 v12, v2, v3, vcc
	v_cmp_eq_u32_e32 vcc, 2, v0
	v_cndmask_b32_e32 v12, v12, v4, vcc
	;; [unrolled: 2-line block ×5, first 2 shown]
	v_cmp_eq_u32_e32 vcc, 6, v0
	ds_read_b32 v13, v42
	v_cndmask_b32_e32 v12, v12, v8, vcc
	v_cmp_eq_u32_e32 vcc, 7, v0
	v_cndmask_b32_e32 v12, v12, v9, vcc
	v_cmp_eq_u32_e32 vcc, 8, v0
	;; [unrolled: 2-line block ×3, first 2 shown]
	v_cndmask_b32_e32 v12, v12, v11, vcc
	s_waitcnt lgkmcnt(0)
	v_mul_f32_e32 v12, v12, v13
	s_cbranch_execz .LBB9_9
	s_branch .LBB9_10
.LBB9_7:
                                        ; implicit-def: $vgpr12_vgpr13_vgpr14_vgpr15_vgpr16_vgpr17_vgpr18_vgpr19_vgpr20_vgpr21
	s_cbranch_execnz .LBB9_130
	s_branch .LBB9_223
.LBB9_8:
                                        ; implicit-def: $vgpr12
.LBB9_9:
	ds_read_b32 v12, v42
.LBB9_10:
	v_mov_b32_e32 v13, 0
	ds_read_b32 v13, v13 offset:32
	s_waitcnt lgkmcnt(0)
	v_mul_f32_e32 v43, v12, v13
	v_mov_b32_e32 v21, v11
	v_mov_b32_e32 v20, v10
	;; [unrolled: 1-line block ×11, first 2 shown]
.LBB9_11:
	s_or_b64 exec, exec, s[2:3]
	v_cmp_lt_u32_e64 s[2:3], 7, v0
	ds_write_b32 v42, v19
	s_waitcnt lgkmcnt(0)
	; wave barrier
	s_and_saveexec_b64 s[4:5], s[2:3]
	s_cbranch_execz .LBB9_17
; %bb.12:
	s_andn2_b64 vcc, exec, s[22:23]
	s_cbranch_vccnz .LBB9_14
; %bb.13:
	v_cmp_eq_u32_e32 vcc, 1, v0
	v_cndmask_b32_e32 v43, v12, v13, vcc
	v_cmp_eq_u32_e32 vcc, 2, v0
	v_cndmask_b32_e32 v43, v43, v14, vcc
	;; [unrolled: 2-line block ×7, first 2 shown]
	ds_read_b32 v43, v42
	v_cmp_eq_u32_e32 vcc, 8, v0
	v_cndmask_b32_e32 v19, v19, v20, vcc
	v_cmp_eq_u32_e32 vcc, 9, v0
	v_cndmask_b32_e32 v19, v19, v21, vcc
	s_waitcnt lgkmcnt(0)
	v_mul_f32_e32 v19, v19, v43
	s_cbranch_execz .LBB9_15
	s_branch .LBB9_16
.LBB9_14:
                                        ; implicit-def: $vgpr19
.LBB9_15:
	ds_read_b32 v19, v42
.LBB9_16:
	v_mov_b32_e32 v43, 0
	ds_read2_b32 v[43:44], v43 offset0:7 offset1:20
	s_waitcnt lgkmcnt(0)
	v_fma_f32 v44, v20, v44, v19
	v_cndmask_b32_e64 v19, v19, v44, s[0:1]
	v_mul_f32_e32 v19, v19, v43
.LBB9_17:
	s_or_b64 exec, exec, s[4:5]
	v_cmp_lt_u32_e64 s[0:1], 6, v0
	ds_write_b32 v42, v18
	s_waitcnt lgkmcnt(0)
	; wave barrier
	s_and_saveexec_b64 s[4:5], s[0:1]
	s_cbranch_execz .LBB9_33
; %bb.18:
	s_andn2_b64 vcc, exec, s[22:23]
	s_cbranch_vccnz .LBB9_20
; %bb.19:
	v_cmp_eq_u32_e32 vcc, 1, v0
	v_cndmask_b32_e32 v43, v12, v13, vcc
	v_cmp_eq_u32_e32 vcc, 2, v0
	v_cndmask_b32_e32 v43, v43, v14, vcc
	;; [unrolled: 2-line block ×5, first 2 shown]
	v_cmp_eq_u32_e32 vcc, 6, v0
	ds_read_b32 v44, v42
	v_cndmask_b32_e32 v43, v43, v18, vcc
	v_cmp_eq_u32_e32 vcc, 7, v0
	v_cndmask_b32_e32 v43, v43, v19, vcc
	v_cmp_eq_u32_e32 vcc, 8, v0
	;; [unrolled: 2-line block ×3, first 2 shown]
	v_cndmask_b32_e32 v43, v43, v21, vcc
	s_waitcnt lgkmcnt(0)
	v_mul_f32_e32 v43, v43, v44
	s_cbranch_execz .LBB9_21
	s_branch .LBB9_22
.LBB9_20:
                                        ; implicit-def: $vgpr43
.LBB9_21:
	ds_read_b32 v43, v42
.LBB9_22:
	s_and_saveexec_b64 s[6:7], s[2:3]
	s_cbranch_execz .LBB9_32
; %bb.23:
	v_add_u32_e32 v44, -8, v0
	v_add_u32_e32 v45, -7, v0
	v_cmp_lt_u32_e32 vcc, 6, v44
	v_mov_b32_e32 v44, 7
	s_and_saveexec_b64 s[2:3], vcc
	s_cbranch_execz .LBB9_27
; %bb.24:
	v_and_b32_e32 v44, -8, v45
	v_sub_u32_e32 v46, 0, v44
	s_mov_b64 s[8:9], 14
	s_movk_i32 s12, 0x4c
	s_mov_b64 s[10:11], 0
.LBB9_25:                               ; =>This Inner Loop Header: Depth=1
	s_add_i32 s13, s8, -7
	v_mov_b32_e32 v44, s12
	s_add_i32 s14, s8, -6
	s_set_gpr_idx_on s13, gpr_idx(SRC0)
	v_mov_b32_e32 v53, v12
	s_set_gpr_idx_off
	ds_read2_b32 v[47:48], v44 offset1:1
	s_add_i32 s15, s8, -5
	s_set_gpr_idx_on s14, gpr_idx(SRC0)
	v_mov_b32_e32 v54, v12
	s_set_gpr_idx_off
	s_add_i32 s16, s8, -4
	s_set_gpr_idx_on s15, gpr_idx(SRC0)
	v_mov_b32_e32 v55, v12
	s_set_gpr_idx_off
	ds_read2_b32 v[49:50], v44 offset0:2 offset1:3
	s_add_i32 s17, s8, -3
	s_set_gpr_idx_on s16, gpr_idx(SRC0)
	v_mov_b32_e32 v56, v12
	s_set_gpr_idx_off
	s_add_i32 s18, s8, -2
	s_set_gpr_idx_on s17, gpr_idx(SRC0)
	v_mov_b32_e32 v57, v12
	s_set_gpr_idx_off
	ds_read2_b32 v[51:52], v44 offset0:4 offset1:5
	s_add_i32 s19, s8, -1
	s_waitcnt lgkmcnt(2)
	v_fmac_f32_e32 v43, v53, v47
	s_set_gpr_idx_on s18, gpr_idx(SRC0)
	v_mov_b32_e32 v53, v12
	s_set_gpr_idx_off
	v_fmac_f32_e32 v43, v54, v48
	s_set_gpr_idx_on s19, gpr_idx(SRC0)
	v_mov_b32_e32 v54, v12
	s_set_gpr_idx_off
	ds_read2_b32 v[47:48], v44 offset0:6 offset1:7
	s_waitcnt lgkmcnt(2)
	v_fmac_f32_e32 v43, v55, v49
	s_set_gpr_idx_on s8, gpr_idx(SRC0)
	v_mov_b32_e32 v49, v12
	s_set_gpr_idx_off
	v_fmac_f32_e32 v43, v56, v50
	s_add_u32 s8, s8, 8
	s_waitcnt lgkmcnt(1)
	v_fmac_f32_e32 v43, v57, v51
	v_add_u32_e32 v44, s8, v46
	v_fmac_f32_e32 v43, v53, v52
	s_addc_u32 s9, s9, 0
	s_add_i32 s12, s12, 32
	s_add_i32 s13, s8, -7
	v_cmp_eq_u32_e32 vcc, 14, v44
	s_waitcnt lgkmcnt(0)
	v_fmac_f32_e32 v43, v54, v47
	v_mov_b32_e32 v44, s13
	s_or_b64 s[10:11], vcc, s[10:11]
	v_fmac_f32_e32 v43, v49, v48
	s_andn2_b64 exec, exec, s[10:11]
	s_cbranch_execnz .LBB9_25
; %bb.26:
	s_or_b64 exec, exec, s[10:11]
.LBB9_27:
	s_or_b64 exec, exec, s[2:3]
	v_and_b32_e32 v45, 7, v45
	v_cmp_ne_u32_e32 vcc, 0, v45
	s_and_saveexec_b64 s[8:9], vcc
	s_cbranch_execz .LBB9_31
; %bb.28:
	v_lshl_add_u32 v46, v44, 2, 48
	v_mov_b32_e32 v47, 0
	s_mov_b64 s[10:11], 0
.LBB9_29:                               ; =>This Inner Loop Header: Depth=1
	v_cmp_eq_u32_e32 vcc, 1, v44
	v_cndmask_b32_e32 v48, v12, v13, vcc
	v_add_u32_e32 v45, -1, v45
	v_cmp_eq_u32_e32 vcc, 2, v44
	v_cndmask_b32_e32 v48, v48, v14, vcc
	v_cmp_eq_u32_e32 vcc, 0, v45
	v_cmp_eq_u32_e64 s[2:3], 3, v44
	v_cndmask_b32_e64 v48, v48, v15, s[2:3]
	s_or_b64 s[10:11], vcc, s[10:11]
	v_cmp_eq_u32_e32 vcc, 4, v44
	v_cndmask_b32_e32 v48, v48, v16, vcc
	v_cmp_eq_u32_e32 vcc, 5, v44
	ds_read_b32 v49, v46
	v_cndmask_b32_e32 v48, v48, v17, vcc
	v_cmp_eq_u32_e32 vcc, 6, v44
	v_cndmask_b32_e32 v48, v48, v18, vcc
	v_cmp_eq_u32_e32 vcc, 7, v44
	;; [unrolled: 2-line block ×4, first 2 shown]
	v_add_co_u32_e64 v44, s[2:3], 1, v44
	v_cndmask_b32_e32 v48, v48, v21, vcc
	v_add_u32_e32 v46, 4, v46
	v_addc_co_u32_e64 v47, s[2:3], 0, v47, s[2:3]
	s_waitcnt lgkmcnt(0)
	v_fmac_f32_e32 v43, v48, v49
	s_andn2_b64 exec, exec, s[10:11]
	s_cbranch_execnz .LBB9_29
; %bb.30:
	s_or_b64 exec, exec, s[10:11]
.LBB9_31:
	s_or_b64 exec, exec, s[8:9]
.LBB9_32:
	s_or_b64 exec, exec, s[6:7]
	v_mov_b32_e32 v18, 0
	ds_read_b32 v18, v18 offset:24
	s_waitcnt lgkmcnt(0)
	v_mul_f32_e32 v18, v43, v18
.LBB9_33:
	s_or_b64 exec, exec, s[4:5]
	v_cmp_lt_u32_e64 s[2:3], 5, v0
	ds_write_b32 v42, v17
	s_waitcnt lgkmcnt(0)
	; wave barrier
	s_and_saveexec_b64 s[4:5], s[2:3]
	s_cbranch_execz .LBB9_49
; %bb.34:
	s_andn2_b64 vcc, exec, s[22:23]
	s_cbranch_vccnz .LBB9_36
; %bb.35:
	v_cmp_eq_u32_e32 vcc, 1, v0
	v_cndmask_b32_e32 v43, v12, v13, vcc
	v_cmp_eq_u32_e32 vcc, 2, v0
	v_cndmask_b32_e32 v43, v43, v14, vcc
	;; [unrolled: 2-line block ×5, first 2 shown]
	v_cmp_eq_u32_e32 vcc, 6, v0
	ds_read_b32 v44, v42
	v_cndmask_b32_e32 v43, v43, v18, vcc
	v_cmp_eq_u32_e32 vcc, 7, v0
	v_cndmask_b32_e32 v43, v43, v19, vcc
	v_cmp_eq_u32_e32 vcc, 8, v0
	;; [unrolled: 2-line block ×3, first 2 shown]
	v_cndmask_b32_e32 v43, v43, v21, vcc
	s_waitcnt lgkmcnt(0)
	v_mul_f32_e32 v43, v43, v44
	s_cbranch_execz .LBB9_37
	s_branch .LBB9_38
.LBB9_36:
                                        ; implicit-def: $vgpr43
.LBB9_37:
	ds_read_b32 v43, v42
.LBB9_38:
	s_and_saveexec_b64 s[6:7], s[0:1]
	s_cbranch_execz .LBB9_48
; %bb.39:
	v_add_u32_e32 v46, -7, v0
	v_add_u32_e32 v45, -6, v0
	v_mov_b32_e32 v44, 6
	v_cmp_lt_u32_e32 vcc, 6, v46
	s_and_saveexec_b64 s[0:1], vcc
	s_cbranch_execz .LBB9_43
; %bb.40:
	v_and_b32_e32 v44, -8, v45
	v_sub_u32_e32 v46, 0, v44
	s_mov_b64 s[8:9], 13
	s_movk_i32 s12, 0x48
	s_mov_b64 s[10:11], 0
.LBB9_41:                               ; =>This Inner Loop Header: Depth=1
	s_add_i32 s13, s8, -7
	v_mov_b32_e32 v44, s12
	s_add_i32 s14, s8, -6
	s_set_gpr_idx_on s13, gpr_idx(SRC0)
	v_mov_b32_e32 v55, v12
	s_set_gpr_idx_off
	ds_read2_b64 v[47:50], v44 offset1:1
	s_add_i32 s15, s8, -5
	s_set_gpr_idx_on s14, gpr_idx(SRC0)
	v_mov_b32_e32 v56, v12
	s_set_gpr_idx_off
	s_add_i32 s16, s8, -4
	s_set_gpr_idx_on s15, gpr_idx(SRC0)
	v_mov_b32_e32 v57, v12
	s_set_gpr_idx_off
	;; [unrolled: 4-line block ×4, first 2 shown]
	ds_read2_b64 v[51:54], v44 offset0:2 offset1:3
	s_add_i32 s19, s8, -1
	s_waitcnt lgkmcnt(1)
	v_fmac_f32_e32 v43, v55, v47
	s_set_gpr_idx_on s18, gpr_idx(SRC0)
	v_mov_b32_e32 v47, v12
	s_set_gpr_idx_off
	v_fmac_f32_e32 v43, v56, v48
	s_set_gpr_idx_on s19, gpr_idx(SRC0)
	v_mov_b32_e32 v48, v12
	s_set_gpr_idx_off
	;; [unrolled: 4-line block ×3, first 2 shown]
	v_fmac_f32_e32 v43, v58, v50
	s_add_u32 s8, s8, 8
	s_waitcnt lgkmcnt(0)
	v_fmac_f32_e32 v43, v59, v51
	v_add_u32_e32 v44, s8, v46
	v_fmac_f32_e32 v43, v47, v52
	s_addc_u32 s9, s9, 0
	s_add_i32 s12, s12, 32
	s_add_i32 s13, s8, -7
	v_cmp_eq_u32_e32 vcc, 13, v44
	v_fmac_f32_e32 v43, v48, v53
	v_mov_b32_e32 v44, s13
	s_or_b64 s[10:11], vcc, s[10:11]
	v_fmac_f32_e32 v43, v49, v54
	s_andn2_b64 exec, exec, s[10:11]
	s_cbranch_execnz .LBB9_41
; %bb.42:
	s_or_b64 exec, exec, s[10:11]
.LBB9_43:
	s_or_b64 exec, exec, s[0:1]
	v_and_b32_e32 v45, 7, v45
	v_cmp_ne_u32_e32 vcc, 0, v45
	s_and_saveexec_b64 s[8:9], vcc
	s_cbranch_execz .LBB9_47
; %bb.44:
	v_lshl_add_u32 v46, v44, 2, 48
	v_mov_b32_e32 v47, 0
	s_mov_b64 s[10:11], 0
.LBB9_45:                               ; =>This Inner Loop Header: Depth=1
	v_cmp_eq_u32_e32 vcc, 1, v44
	v_cndmask_b32_e32 v48, v12, v13, vcc
	v_add_u32_e32 v45, -1, v45
	v_cmp_eq_u32_e32 vcc, 2, v44
	v_cndmask_b32_e32 v48, v48, v14, vcc
	v_cmp_eq_u32_e32 vcc, 0, v45
	v_cmp_eq_u32_e64 s[0:1], 3, v44
	v_cndmask_b32_e64 v48, v48, v15, s[0:1]
	s_or_b64 s[10:11], vcc, s[10:11]
	v_cmp_eq_u32_e32 vcc, 4, v44
	v_cndmask_b32_e32 v48, v48, v16, vcc
	v_cmp_eq_u32_e32 vcc, 5, v44
	ds_read_b32 v49, v46
	v_cndmask_b32_e32 v48, v48, v17, vcc
	v_cmp_eq_u32_e32 vcc, 6, v44
	v_cndmask_b32_e32 v48, v48, v18, vcc
	v_cmp_eq_u32_e32 vcc, 7, v44
	;; [unrolled: 2-line block ×4, first 2 shown]
	v_add_co_u32_e64 v44, s[0:1], 1, v44
	v_cndmask_b32_e32 v48, v48, v21, vcc
	v_add_u32_e32 v46, 4, v46
	v_addc_co_u32_e64 v47, s[0:1], 0, v47, s[0:1]
	s_waitcnt lgkmcnt(0)
	v_fmac_f32_e32 v43, v48, v49
	s_andn2_b64 exec, exec, s[10:11]
	s_cbranch_execnz .LBB9_45
; %bb.46:
	s_or_b64 exec, exec, s[10:11]
.LBB9_47:
	s_or_b64 exec, exec, s[8:9]
.LBB9_48:
	s_or_b64 exec, exec, s[6:7]
	v_mov_b32_e32 v17, 0
	ds_read_b32 v17, v17 offset:20
	s_waitcnt lgkmcnt(0)
	v_mul_f32_e32 v17, v43, v17
.LBB9_49:
	s_or_b64 exec, exec, s[4:5]
	v_cmp_lt_u32_e64 s[0:1], 4, v0
	ds_write_b32 v42, v16
	s_waitcnt lgkmcnt(0)
	; wave barrier
	s_and_saveexec_b64 s[4:5], s[0:1]
	s_cbranch_execz .LBB9_65
; %bb.50:
	s_andn2_b64 vcc, exec, s[22:23]
	s_cbranch_vccnz .LBB9_52
; %bb.51:
	v_cmp_eq_u32_e32 vcc, 1, v0
	v_cndmask_b32_e32 v43, v12, v13, vcc
	v_cmp_eq_u32_e32 vcc, 2, v0
	v_cndmask_b32_e32 v43, v43, v14, vcc
	v_cmp_eq_u32_e32 vcc, 3, v0
	v_cndmask_b32_e32 v43, v43, v15, vcc
	v_cmp_eq_u32_e32 vcc, 4, v0
	v_cndmask_b32_e32 v43, v43, v16, vcc
	v_cmp_eq_u32_e32 vcc, 5, v0
	v_cndmask_b32_e32 v43, v43, v17, vcc
	v_cmp_eq_u32_e32 vcc, 6, v0
	ds_read_b32 v44, v42
	v_cndmask_b32_e32 v43, v43, v18, vcc
	v_cmp_eq_u32_e32 vcc, 7, v0
	v_cndmask_b32_e32 v43, v43, v19, vcc
	v_cmp_eq_u32_e32 vcc, 8, v0
	;; [unrolled: 2-line block ×3, first 2 shown]
	v_cndmask_b32_e32 v43, v43, v21, vcc
	s_waitcnt lgkmcnt(0)
	v_mul_f32_e32 v43, v43, v44
	s_cbranch_execz .LBB9_53
	s_branch .LBB9_54
.LBB9_52:
                                        ; implicit-def: $vgpr43
.LBB9_53:
	ds_read_b32 v43, v42
.LBB9_54:
	s_and_saveexec_b64 s[6:7], s[2:3]
	s_cbranch_execz .LBB9_64
; %bb.55:
	v_add_u32_e32 v44, -6, v0
	v_add_u32_e32 v45, -5, v0
	v_cmp_lt_u32_e32 vcc, 6, v44
	v_mov_b32_e32 v44, 5
	s_and_saveexec_b64 s[2:3], vcc
	s_cbranch_execz .LBB9_59
; %bb.56:
	v_and_b32_e32 v44, -8, v45
	v_sub_u32_e32 v46, 0, v44
	s_mov_b64 s[8:9], 12
	s_movk_i32 s12, 0x44
	s_mov_b64 s[10:11], 0
.LBB9_57:                               ; =>This Inner Loop Header: Depth=1
	s_add_i32 s13, s8, -7
	v_mov_b32_e32 v44, s12
	s_add_i32 s14, s8, -6
	s_set_gpr_idx_on s13, gpr_idx(SRC0)
	v_mov_b32_e32 v53, v12
	s_set_gpr_idx_off
	ds_read2_b32 v[47:48], v44 offset1:1
	s_add_i32 s15, s8, -5
	s_set_gpr_idx_on s14, gpr_idx(SRC0)
	v_mov_b32_e32 v54, v12
	s_set_gpr_idx_off
	s_add_i32 s16, s8, -4
	s_set_gpr_idx_on s15, gpr_idx(SRC0)
	v_mov_b32_e32 v55, v12
	s_set_gpr_idx_off
	ds_read2_b32 v[49:50], v44 offset0:2 offset1:3
	s_add_i32 s17, s8, -3
	s_set_gpr_idx_on s16, gpr_idx(SRC0)
	v_mov_b32_e32 v56, v12
	s_set_gpr_idx_off
	s_add_i32 s18, s8, -2
	s_set_gpr_idx_on s17, gpr_idx(SRC0)
	v_mov_b32_e32 v57, v12
	s_set_gpr_idx_off
	ds_read2_b32 v[51:52], v44 offset0:4 offset1:5
	s_add_i32 s19, s8, -1
	s_waitcnt lgkmcnt(2)
	v_fmac_f32_e32 v43, v53, v47
	s_set_gpr_idx_on s18, gpr_idx(SRC0)
	v_mov_b32_e32 v53, v12
	s_set_gpr_idx_off
	v_fmac_f32_e32 v43, v54, v48
	s_set_gpr_idx_on s19, gpr_idx(SRC0)
	v_mov_b32_e32 v54, v12
	s_set_gpr_idx_off
	ds_read2_b32 v[47:48], v44 offset0:6 offset1:7
	s_waitcnt lgkmcnt(2)
	v_fmac_f32_e32 v43, v55, v49
	s_set_gpr_idx_on s8, gpr_idx(SRC0)
	v_mov_b32_e32 v49, v12
	s_set_gpr_idx_off
	v_fmac_f32_e32 v43, v56, v50
	s_add_u32 s8, s8, 8
	s_waitcnt lgkmcnt(1)
	v_fmac_f32_e32 v43, v57, v51
	v_add_u32_e32 v44, s8, v46
	v_fmac_f32_e32 v43, v53, v52
	s_addc_u32 s9, s9, 0
	s_add_i32 s12, s12, 32
	s_add_i32 s13, s8, -7
	v_cmp_eq_u32_e32 vcc, 12, v44
	s_waitcnt lgkmcnt(0)
	v_fmac_f32_e32 v43, v54, v47
	v_mov_b32_e32 v44, s13
	s_or_b64 s[10:11], vcc, s[10:11]
	v_fmac_f32_e32 v43, v49, v48
	s_andn2_b64 exec, exec, s[10:11]
	s_cbranch_execnz .LBB9_57
; %bb.58:
	s_or_b64 exec, exec, s[10:11]
.LBB9_59:
	s_or_b64 exec, exec, s[2:3]
	v_and_b32_e32 v45, 7, v45
	v_cmp_ne_u32_e32 vcc, 0, v45
	s_and_saveexec_b64 s[8:9], vcc
	s_cbranch_execz .LBB9_63
; %bb.60:
	v_lshl_add_u32 v46, v44, 2, 48
	v_mov_b32_e32 v47, 0
	s_mov_b64 s[10:11], 0
.LBB9_61:                               ; =>This Inner Loop Header: Depth=1
	v_cmp_eq_u32_e32 vcc, 1, v44
	v_cndmask_b32_e32 v48, v12, v13, vcc
	v_add_u32_e32 v45, -1, v45
	v_cmp_eq_u32_e32 vcc, 2, v44
	v_cndmask_b32_e32 v48, v48, v14, vcc
	v_cmp_eq_u32_e32 vcc, 0, v45
	v_cmp_eq_u32_e64 s[2:3], 3, v44
	v_cndmask_b32_e64 v48, v48, v15, s[2:3]
	s_or_b64 s[10:11], vcc, s[10:11]
	v_cmp_eq_u32_e32 vcc, 4, v44
	v_cndmask_b32_e32 v48, v48, v16, vcc
	v_cmp_eq_u32_e32 vcc, 5, v44
	ds_read_b32 v49, v46
	v_cndmask_b32_e32 v48, v48, v17, vcc
	v_cmp_eq_u32_e32 vcc, 6, v44
	v_cndmask_b32_e32 v48, v48, v18, vcc
	v_cmp_eq_u32_e32 vcc, 7, v44
	;; [unrolled: 2-line block ×4, first 2 shown]
	v_add_co_u32_e64 v44, s[2:3], 1, v44
	v_cndmask_b32_e32 v48, v48, v21, vcc
	v_add_u32_e32 v46, 4, v46
	v_addc_co_u32_e64 v47, s[2:3], 0, v47, s[2:3]
	s_waitcnt lgkmcnt(0)
	v_fmac_f32_e32 v43, v48, v49
	s_andn2_b64 exec, exec, s[10:11]
	s_cbranch_execnz .LBB9_61
; %bb.62:
	s_or_b64 exec, exec, s[10:11]
.LBB9_63:
	s_or_b64 exec, exec, s[8:9]
.LBB9_64:
	s_or_b64 exec, exec, s[6:7]
	v_mov_b32_e32 v16, 0
	ds_read_b32 v16, v16 offset:16
	s_waitcnt lgkmcnt(0)
	v_mul_f32_e32 v16, v43, v16
.LBB9_65:
	s_or_b64 exec, exec, s[4:5]
	v_cmp_lt_u32_e64 s[2:3], 3, v0
	ds_write_b32 v42, v15
	s_waitcnt lgkmcnt(0)
	; wave barrier
	s_and_saveexec_b64 s[4:5], s[2:3]
	s_cbranch_execz .LBB9_81
; %bb.66:
	s_andn2_b64 vcc, exec, s[22:23]
	s_cbranch_vccnz .LBB9_68
; %bb.67:
	v_cmp_eq_u32_e32 vcc, 1, v0
	v_cndmask_b32_e32 v43, v12, v13, vcc
	v_cmp_eq_u32_e32 vcc, 2, v0
	v_cndmask_b32_e32 v43, v43, v14, vcc
	;; [unrolled: 2-line block ×5, first 2 shown]
	v_cmp_eq_u32_e32 vcc, 6, v0
	ds_read_b32 v44, v42
	v_cndmask_b32_e32 v43, v43, v18, vcc
	v_cmp_eq_u32_e32 vcc, 7, v0
	v_cndmask_b32_e32 v43, v43, v19, vcc
	v_cmp_eq_u32_e32 vcc, 8, v0
	;; [unrolled: 2-line block ×3, first 2 shown]
	v_cndmask_b32_e32 v43, v43, v21, vcc
	s_waitcnt lgkmcnt(0)
	v_mul_f32_e32 v43, v43, v44
	s_cbranch_execz .LBB9_69
	s_branch .LBB9_70
.LBB9_68:
                                        ; implicit-def: $vgpr43
.LBB9_69:
	ds_read_b32 v43, v42
.LBB9_70:
	s_and_saveexec_b64 s[6:7], s[0:1]
	s_cbranch_execz .LBB9_80
; %bb.71:
	v_add_u32_e32 v44, -5, v0
	v_add_u32_e32 v45, -4, v0
	v_cmp_lt_u32_e32 vcc, 6, v44
	v_mov_b32_e32 v44, 4
	s_and_saveexec_b64 s[0:1], vcc
	s_cbranch_execz .LBB9_75
; %bb.72:
	v_and_b32_e32 v44, -8, v45
	v_sub_u32_e32 v46, 0, v44
	s_mov_b64 s[8:9], 5
	s_mov_b32 s12, 64
	s_mov_b64 s[10:11], 0
.LBB9_73:                               ; =>This Inner Loop Header: Depth=1
	s_add_i32 s13, s8, -1
	v_mov_b32_e32 v44, s12
	s_set_gpr_idx_on s13, gpr_idx(SRC0)
	v_mov_b32_e32 v55, v12
	s_set_gpr_idx_off
	s_add_i32 s14, s8, 1
	ds_read_b128 v[47:50], v44
	ds_read_b128 v[51:54], v44 offset:16
	s_set_gpr_idx_on s8, gpr_idx(SRC0)
	v_mov_b32_e32 v56, v12
	s_set_gpr_idx_off
	s_add_i32 s15, s8, 2
	s_set_gpr_idx_on s14, gpr_idx(SRC0)
	v_mov_b32_e32 v57, v12
	s_set_gpr_idx_off
	s_add_i32 s16, s8, 3
	;; [unrolled: 4-line block ×4, first 2 shown]
	s_waitcnt lgkmcnt(1)
	v_fmac_f32_e32 v43, v55, v47
	s_set_gpr_idx_on s17, gpr_idx(SRC0)
	v_mov_b32_e32 v47, v12
	s_set_gpr_idx_off
	s_add_i32 s19, s8, 6
	v_fmac_f32_e32 v43, v56, v48
	s_set_gpr_idx_on s18, gpr_idx(SRC0)
	v_mov_b32_e32 v48, v12
	s_set_gpr_idx_off
	v_fmac_f32_e32 v43, v57, v49
	s_set_gpr_idx_on s19, gpr_idx(SRC0)
	v_mov_b32_e32 v49, v12
	s_set_gpr_idx_off
	v_fmac_f32_e32 v43, v58, v50
	s_add_u32 s8, s8, 8
	s_waitcnt lgkmcnt(0)
	v_fmac_f32_e32 v43, v59, v51
	v_add_u32_e32 v44, s8, v46
	v_fmac_f32_e32 v43, v47, v52
	s_addc_u32 s9, s9, 0
	s_add_i32 s12, s12, 32
	s_add_i32 s13, s8, -1
	v_cmp_eq_u32_e32 vcc, 5, v44
	v_fmac_f32_e32 v43, v48, v53
	v_mov_b32_e32 v44, s13
	s_or_b64 s[10:11], vcc, s[10:11]
	v_fmac_f32_e32 v43, v49, v54
	s_andn2_b64 exec, exec, s[10:11]
	s_cbranch_execnz .LBB9_73
; %bb.74:
	s_or_b64 exec, exec, s[10:11]
.LBB9_75:
	s_or_b64 exec, exec, s[0:1]
	v_and_b32_e32 v45, 7, v45
	v_cmp_ne_u32_e32 vcc, 0, v45
	s_and_saveexec_b64 s[8:9], vcc
	s_cbranch_execz .LBB9_79
; %bb.76:
	v_lshl_add_u32 v46, v44, 2, 48
	v_mov_b32_e32 v47, 0
	s_mov_b64 s[10:11], 0
.LBB9_77:                               ; =>This Inner Loop Header: Depth=1
	v_cmp_eq_u32_e32 vcc, 1, v44
	v_cndmask_b32_e32 v48, v12, v13, vcc
	v_add_u32_e32 v45, -1, v45
	v_cmp_eq_u32_e32 vcc, 2, v44
	v_cndmask_b32_e32 v48, v48, v14, vcc
	v_cmp_eq_u32_e32 vcc, 0, v45
	v_cmp_eq_u32_e64 s[0:1], 3, v44
	v_cndmask_b32_e64 v48, v48, v15, s[0:1]
	s_or_b64 s[10:11], vcc, s[10:11]
	v_cmp_eq_u32_e32 vcc, 4, v44
	v_cndmask_b32_e32 v48, v48, v16, vcc
	v_cmp_eq_u32_e32 vcc, 5, v44
	ds_read_b32 v49, v46
	v_cndmask_b32_e32 v48, v48, v17, vcc
	v_cmp_eq_u32_e32 vcc, 6, v44
	v_cndmask_b32_e32 v48, v48, v18, vcc
	v_cmp_eq_u32_e32 vcc, 7, v44
	;; [unrolled: 2-line block ×4, first 2 shown]
	v_add_co_u32_e64 v44, s[0:1], 1, v44
	v_cndmask_b32_e32 v48, v48, v21, vcc
	v_add_u32_e32 v46, 4, v46
	v_addc_co_u32_e64 v47, s[0:1], 0, v47, s[0:1]
	s_waitcnt lgkmcnt(0)
	v_fmac_f32_e32 v43, v48, v49
	s_andn2_b64 exec, exec, s[10:11]
	s_cbranch_execnz .LBB9_77
; %bb.78:
	s_or_b64 exec, exec, s[10:11]
.LBB9_79:
	s_or_b64 exec, exec, s[8:9]
.LBB9_80:
	s_or_b64 exec, exec, s[6:7]
	v_mov_b32_e32 v15, 0
	ds_read_b32 v15, v15 offset:12
	s_waitcnt lgkmcnt(0)
	v_mul_f32_e32 v15, v43, v15
.LBB9_81:
	s_or_b64 exec, exec, s[4:5]
	v_cmp_lt_u32_e64 s[0:1], 2, v0
	ds_write_b32 v42, v14
	s_waitcnt lgkmcnt(0)
	; wave barrier
	s_and_saveexec_b64 s[4:5], s[0:1]
	s_cbranch_execz .LBB9_97
; %bb.82:
	s_andn2_b64 vcc, exec, s[22:23]
	s_cbranch_vccnz .LBB9_84
; %bb.83:
	v_cmp_eq_u32_e32 vcc, 1, v0
	v_cndmask_b32_e32 v43, v12, v13, vcc
	v_cmp_eq_u32_e32 vcc, 2, v0
	v_cndmask_b32_e32 v43, v43, v14, vcc
	;; [unrolled: 2-line block ×5, first 2 shown]
	v_cmp_eq_u32_e32 vcc, 6, v0
	ds_read_b32 v44, v42
	v_cndmask_b32_e32 v43, v43, v18, vcc
	v_cmp_eq_u32_e32 vcc, 7, v0
	v_cndmask_b32_e32 v43, v43, v19, vcc
	v_cmp_eq_u32_e32 vcc, 8, v0
	;; [unrolled: 2-line block ×3, first 2 shown]
	v_cndmask_b32_e32 v43, v43, v21, vcc
	s_waitcnt lgkmcnt(0)
	v_mul_f32_e32 v43, v43, v44
	s_cbranch_execz .LBB9_85
	s_branch .LBB9_86
.LBB9_84:
                                        ; implicit-def: $vgpr43
.LBB9_85:
	ds_read_b32 v43, v42
.LBB9_86:
	s_and_saveexec_b64 s[6:7], s[2:3]
	s_cbranch_execz .LBB9_96
; %bb.87:
	v_add_u32_e32 v44, -4, v0
	v_add_u32_e32 v45, -3, v0
	v_cmp_lt_u32_e32 vcc, 6, v44
	v_mov_b32_e32 v44, 3
	s_and_saveexec_b64 s[2:3], vcc
	s_cbranch_execz .LBB9_91
; %bb.88:
	v_and_b32_e32 v44, -8, v45
	v_sub_u32_e32 v46, 0, v44
	s_mov_b64 s[8:9], 10
	s_mov_b32 s12, 60
	s_mov_b64 s[10:11], 0
.LBB9_89:                               ; =>This Inner Loop Header: Depth=1
	s_add_i32 s13, s8, -7
	v_mov_b32_e32 v44, s12
	s_add_i32 s14, s8, -6
	s_set_gpr_idx_on s13, gpr_idx(SRC0)
	v_mov_b32_e32 v53, v12
	s_set_gpr_idx_off
	ds_read2_b32 v[47:48], v44 offset1:1
	s_add_i32 s15, s8, -5
	s_set_gpr_idx_on s14, gpr_idx(SRC0)
	v_mov_b32_e32 v54, v12
	s_set_gpr_idx_off
	s_add_i32 s16, s8, -4
	s_set_gpr_idx_on s15, gpr_idx(SRC0)
	v_mov_b32_e32 v55, v12
	s_set_gpr_idx_off
	ds_read2_b32 v[49:50], v44 offset0:2 offset1:3
	s_add_i32 s17, s8, -3
	s_set_gpr_idx_on s16, gpr_idx(SRC0)
	v_mov_b32_e32 v56, v12
	s_set_gpr_idx_off
	s_add_i32 s18, s8, -2
	s_set_gpr_idx_on s17, gpr_idx(SRC0)
	v_mov_b32_e32 v57, v12
	s_set_gpr_idx_off
	ds_read2_b32 v[51:52], v44 offset0:4 offset1:5
	s_add_i32 s19, s8, -1
	s_waitcnt lgkmcnt(2)
	v_fmac_f32_e32 v43, v53, v47
	s_set_gpr_idx_on s18, gpr_idx(SRC0)
	v_mov_b32_e32 v53, v12
	s_set_gpr_idx_off
	v_fmac_f32_e32 v43, v54, v48
	s_set_gpr_idx_on s19, gpr_idx(SRC0)
	v_mov_b32_e32 v54, v12
	s_set_gpr_idx_off
	ds_read2_b32 v[47:48], v44 offset0:6 offset1:7
	s_waitcnt lgkmcnt(2)
	v_fmac_f32_e32 v43, v55, v49
	s_set_gpr_idx_on s8, gpr_idx(SRC0)
	v_mov_b32_e32 v49, v12
	s_set_gpr_idx_off
	v_fmac_f32_e32 v43, v56, v50
	s_add_u32 s8, s8, 8
	s_waitcnt lgkmcnt(1)
	v_fmac_f32_e32 v43, v57, v51
	v_add_u32_e32 v44, s8, v46
	v_fmac_f32_e32 v43, v53, v52
	s_addc_u32 s9, s9, 0
	s_add_i32 s12, s12, 32
	s_add_i32 s13, s8, -7
	v_cmp_eq_u32_e32 vcc, 10, v44
	s_waitcnt lgkmcnt(0)
	v_fmac_f32_e32 v43, v54, v47
	v_mov_b32_e32 v44, s13
	s_or_b64 s[10:11], vcc, s[10:11]
	v_fmac_f32_e32 v43, v49, v48
	s_andn2_b64 exec, exec, s[10:11]
	s_cbranch_execnz .LBB9_89
; %bb.90:
	s_or_b64 exec, exec, s[10:11]
.LBB9_91:
	s_or_b64 exec, exec, s[2:3]
	v_and_b32_e32 v45, 7, v45
	v_cmp_ne_u32_e32 vcc, 0, v45
	s_and_saveexec_b64 s[8:9], vcc
	s_cbranch_execz .LBB9_95
; %bb.92:
	v_lshl_add_u32 v46, v44, 2, 48
	v_mov_b32_e32 v47, 0
	s_mov_b64 s[10:11], 0
.LBB9_93:                               ; =>This Inner Loop Header: Depth=1
	v_cmp_eq_u32_e32 vcc, 1, v44
	v_cndmask_b32_e32 v48, v12, v13, vcc
	v_add_u32_e32 v45, -1, v45
	v_cmp_eq_u32_e32 vcc, 2, v44
	v_cndmask_b32_e32 v48, v48, v14, vcc
	v_cmp_eq_u32_e32 vcc, 0, v45
	v_cmp_eq_u32_e64 s[2:3], 3, v44
	v_cndmask_b32_e64 v48, v48, v15, s[2:3]
	s_or_b64 s[10:11], vcc, s[10:11]
	v_cmp_eq_u32_e32 vcc, 4, v44
	v_cndmask_b32_e32 v48, v48, v16, vcc
	v_cmp_eq_u32_e32 vcc, 5, v44
	ds_read_b32 v49, v46
	v_cndmask_b32_e32 v48, v48, v17, vcc
	v_cmp_eq_u32_e32 vcc, 6, v44
	v_cndmask_b32_e32 v48, v48, v18, vcc
	v_cmp_eq_u32_e32 vcc, 7, v44
	v_cndmask_b32_e32 v48, v48, v19, vcc
	v_cmp_eq_u32_e32 vcc, 8, v44
	v_cndmask_b32_e32 v48, v48, v20, vcc
	v_cmp_eq_u32_e32 vcc, 9, v44
	v_add_co_u32_e64 v44, s[2:3], 1, v44
	v_cndmask_b32_e32 v48, v48, v21, vcc
	v_add_u32_e32 v46, 4, v46
	v_addc_co_u32_e64 v47, s[2:3], 0, v47, s[2:3]
	s_waitcnt lgkmcnt(0)
	v_fmac_f32_e32 v43, v48, v49
	s_andn2_b64 exec, exec, s[10:11]
	s_cbranch_execnz .LBB9_93
; %bb.94:
	s_or_b64 exec, exec, s[10:11]
.LBB9_95:
	s_or_b64 exec, exec, s[8:9]
.LBB9_96:
	s_or_b64 exec, exec, s[6:7]
	v_mov_b32_e32 v14, 0
	ds_read_b32 v14, v14 offset:8
	s_waitcnt lgkmcnt(0)
	v_mul_f32_e32 v14, v43, v14
.LBB9_97:
	s_or_b64 exec, exec, s[4:5]
	v_cmp_lt_u32_e64 s[2:3], 1, v0
	ds_write_b32 v42, v13
	s_waitcnt lgkmcnt(0)
	; wave barrier
	s_and_saveexec_b64 s[4:5], s[2:3]
	s_cbranch_execz .LBB9_113
; %bb.98:
	s_andn2_b64 vcc, exec, s[22:23]
	s_cbranch_vccnz .LBB9_100
; %bb.99:
	v_cmp_eq_u32_e32 vcc, 1, v0
	v_cndmask_b32_e32 v43, v12, v13, vcc
	v_cmp_eq_u32_e32 vcc, 2, v0
	v_cndmask_b32_e32 v43, v43, v14, vcc
	;; [unrolled: 2-line block ×5, first 2 shown]
	v_cmp_eq_u32_e32 vcc, 6, v0
	ds_read_b32 v44, v42
	v_cndmask_b32_e32 v43, v43, v18, vcc
	v_cmp_eq_u32_e32 vcc, 7, v0
	v_cndmask_b32_e32 v43, v43, v19, vcc
	v_cmp_eq_u32_e32 vcc, 8, v0
	;; [unrolled: 2-line block ×3, first 2 shown]
	v_cndmask_b32_e32 v43, v43, v21, vcc
	s_waitcnt lgkmcnt(0)
	v_mul_f32_e32 v43, v43, v44
	s_cbranch_execz .LBB9_101
	s_branch .LBB9_102
.LBB9_100:
                                        ; implicit-def: $vgpr43
.LBB9_101:
	ds_read_b32 v43, v42
.LBB9_102:
	s_and_saveexec_b64 s[6:7], s[0:1]
	s_cbranch_execz .LBB9_112
; %bb.103:
	v_add_u32_e32 v44, -3, v0
	v_add_u32_e32 v45, -2, v0
	v_cmp_lt_u32_e32 vcc, 6, v44
	v_mov_b32_e32 v44, 2
	s_and_saveexec_b64 s[0:1], vcc
	s_cbranch_execz .LBB9_107
; %bb.104:
	v_and_b32_e32 v44, -8, v45
	v_sub_u32_e32 v46, 0, v44
	s_mov_b64 s[8:9], 9
	s_mov_b32 s12, 56
	s_mov_b64 s[10:11], 0
.LBB9_105:                              ; =>This Inner Loop Header: Depth=1
	s_add_i32 s13, s8, -7
	v_mov_b32_e32 v44, s12
	s_add_i32 s14, s8, -6
	s_set_gpr_idx_on s13, gpr_idx(SRC0)
	v_mov_b32_e32 v55, v12
	s_set_gpr_idx_off
	ds_read2_b64 v[47:50], v44 offset1:1
	s_add_i32 s15, s8, -5
	s_set_gpr_idx_on s14, gpr_idx(SRC0)
	v_mov_b32_e32 v56, v12
	s_set_gpr_idx_off
	s_add_i32 s16, s8, -4
	s_set_gpr_idx_on s15, gpr_idx(SRC0)
	v_mov_b32_e32 v57, v12
	s_set_gpr_idx_off
	;; [unrolled: 4-line block ×4, first 2 shown]
	ds_read2_b64 v[51:54], v44 offset0:2 offset1:3
	s_add_i32 s19, s8, -1
	s_waitcnt lgkmcnt(1)
	v_fmac_f32_e32 v43, v55, v47
	s_set_gpr_idx_on s18, gpr_idx(SRC0)
	v_mov_b32_e32 v47, v12
	s_set_gpr_idx_off
	v_fmac_f32_e32 v43, v56, v48
	s_set_gpr_idx_on s19, gpr_idx(SRC0)
	v_mov_b32_e32 v48, v12
	s_set_gpr_idx_off
	v_fmac_f32_e32 v43, v57, v49
	s_set_gpr_idx_on s8, gpr_idx(SRC0)
	v_mov_b32_e32 v49, v12
	s_set_gpr_idx_off
	v_fmac_f32_e32 v43, v58, v50
	s_add_u32 s8, s8, 8
	s_waitcnt lgkmcnt(0)
	v_fmac_f32_e32 v43, v59, v51
	v_add_u32_e32 v44, s8, v46
	v_fmac_f32_e32 v43, v47, v52
	s_addc_u32 s9, s9, 0
	s_add_i32 s12, s12, 32
	s_add_i32 s13, s8, -7
	v_cmp_eq_u32_e32 vcc, 9, v44
	v_fmac_f32_e32 v43, v48, v53
	v_mov_b32_e32 v44, s13
	s_or_b64 s[10:11], vcc, s[10:11]
	v_fmac_f32_e32 v43, v49, v54
	s_andn2_b64 exec, exec, s[10:11]
	s_cbranch_execnz .LBB9_105
; %bb.106:
	s_or_b64 exec, exec, s[10:11]
.LBB9_107:
	s_or_b64 exec, exec, s[0:1]
	v_and_b32_e32 v45, 7, v45
	v_cmp_ne_u32_e32 vcc, 0, v45
	s_and_saveexec_b64 s[8:9], vcc
	s_cbranch_execz .LBB9_111
; %bb.108:
	v_lshl_add_u32 v46, v44, 2, 48
	v_mov_b32_e32 v47, 0
	s_mov_b64 s[10:11], 0
.LBB9_109:                              ; =>This Inner Loop Header: Depth=1
	v_cmp_eq_u32_e32 vcc, 1, v44
	v_cndmask_b32_e32 v48, v12, v13, vcc
	v_add_u32_e32 v45, -1, v45
	v_cmp_eq_u32_e32 vcc, 2, v44
	v_cndmask_b32_e32 v48, v48, v14, vcc
	v_cmp_eq_u32_e32 vcc, 0, v45
	v_cmp_eq_u32_e64 s[0:1], 3, v44
	v_cndmask_b32_e64 v48, v48, v15, s[0:1]
	s_or_b64 s[10:11], vcc, s[10:11]
	v_cmp_eq_u32_e32 vcc, 4, v44
	v_cndmask_b32_e32 v48, v48, v16, vcc
	v_cmp_eq_u32_e32 vcc, 5, v44
	ds_read_b32 v49, v46
	v_cndmask_b32_e32 v48, v48, v17, vcc
	v_cmp_eq_u32_e32 vcc, 6, v44
	v_cndmask_b32_e32 v48, v48, v18, vcc
	v_cmp_eq_u32_e32 vcc, 7, v44
	;; [unrolled: 2-line block ×4, first 2 shown]
	v_add_co_u32_e64 v44, s[0:1], 1, v44
	v_cndmask_b32_e32 v48, v48, v21, vcc
	v_add_u32_e32 v46, 4, v46
	v_addc_co_u32_e64 v47, s[0:1], 0, v47, s[0:1]
	s_waitcnt lgkmcnt(0)
	v_fmac_f32_e32 v43, v48, v49
	s_andn2_b64 exec, exec, s[10:11]
	s_cbranch_execnz .LBB9_109
; %bb.110:
	s_or_b64 exec, exec, s[10:11]
.LBB9_111:
	s_or_b64 exec, exec, s[8:9]
.LBB9_112:
	s_or_b64 exec, exec, s[6:7]
	v_mov_b32_e32 v13, 0
	ds_read_b32 v13, v13 offset:4
	s_waitcnt lgkmcnt(0)
	v_mul_f32_e32 v13, v43, v13
.LBB9_113:
	s_or_b64 exec, exec, s[4:5]
	v_cmp_ne_u32_e32 vcc, 0, v0
	ds_write_b32 v42, v12
	s_waitcnt lgkmcnt(0)
	; wave barrier
	s_and_saveexec_b64 s[4:5], vcc
	s_cbranch_execz .LBB9_129
; %bb.114:
	s_andn2_b64 vcc, exec, s[22:23]
	s_cbranch_vccnz .LBB9_116
; %bb.115:
	v_cmp_eq_u32_e32 vcc, 1, v0
	v_cndmask_b32_e32 v43, v12, v13, vcc
	v_cmp_eq_u32_e32 vcc, 2, v0
	v_cndmask_b32_e32 v43, v43, v14, vcc
	;; [unrolled: 2-line block ×5, first 2 shown]
	v_cmp_eq_u32_e32 vcc, 6, v0
	ds_read_b32 v44, v42
	v_cndmask_b32_e32 v43, v43, v18, vcc
	v_cmp_eq_u32_e32 vcc, 7, v0
	v_cndmask_b32_e32 v43, v43, v19, vcc
	v_cmp_eq_u32_e32 vcc, 8, v0
	;; [unrolled: 2-line block ×3, first 2 shown]
	v_cndmask_b32_e32 v43, v43, v21, vcc
	s_waitcnt lgkmcnt(0)
	v_mul_f32_e32 v43, v43, v44
	s_cbranch_execz .LBB9_117
	s_branch .LBB9_118
.LBB9_116:
                                        ; implicit-def: $vgpr43
.LBB9_117:
	ds_read_b32 v43, v42
.LBB9_118:
	s_and_saveexec_b64 s[6:7], s[2:3]
	s_cbranch_execz .LBB9_128
; %bb.119:
	v_add_u32_e32 v44, -2, v0
	v_add_u32_e32 v45, -1, v0
	v_cmp_lt_u32_e32 vcc, 6, v44
	v_mov_b32_e32 v44, 1
	s_and_saveexec_b64 s[0:1], vcc
	s_cbranch_execz .LBB9_123
; %bb.120:
	v_and_b32_e32 v44, -8, v45
	v_sub_u32_e32 v46, 0, v44
	s_mov_b64 s[2:3], 8
	s_mov_b32 s10, 52
	s_mov_b64 s[8:9], 0
.LBB9_121:                              ; =>This Inner Loop Header: Depth=1
	s_add_i32 s11, s2, -7
	v_mov_b32_e32 v44, s10
	s_add_i32 s12, s2, -6
	s_set_gpr_idx_on s11, gpr_idx(SRC0)
	v_mov_b32_e32 v53, v12
	s_set_gpr_idx_off
	ds_read2_b32 v[47:48], v44 offset1:1
	s_add_i32 s13, s2, -5
	s_set_gpr_idx_on s12, gpr_idx(SRC0)
	v_mov_b32_e32 v54, v12
	s_set_gpr_idx_off
	s_add_i32 s14, s2, -4
	s_set_gpr_idx_on s13, gpr_idx(SRC0)
	v_mov_b32_e32 v55, v12
	s_set_gpr_idx_off
	ds_read2_b32 v[49:50], v44 offset0:2 offset1:3
	s_add_i32 s15, s2, -3
	s_set_gpr_idx_on s14, gpr_idx(SRC0)
	v_mov_b32_e32 v56, v12
	s_set_gpr_idx_off
	s_add_i32 s16, s2, -2
	s_set_gpr_idx_on s15, gpr_idx(SRC0)
	v_mov_b32_e32 v57, v12
	s_set_gpr_idx_off
	ds_read2_b32 v[51:52], v44 offset0:4 offset1:5
	s_add_i32 s17, s2, -1
	s_waitcnt lgkmcnt(2)
	v_fmac_f32_e32 v43, v53, v47
	s_set_gpr_idx_on s16, gpr_idx(SRC0)
	v_mov_b32_e32 v53, v12
	s_set_gpr_idx_off
	v_fmac_f32_e32 v43, v54, v48
	s_set_gpr_idx_on s17, gpr_idx(SRC0)
	v_mov_b32_e32 v54, v12
	s_set_gpr_idx_off
	ds_read2_b32 v[47:48], v44 offset0:6 offset1:7
	s_waitcnt lgkmcnt(2)
	v_fmac_f32_e32 v43, v55, v49
	s_set_gpr_idx_on s2, gpr_idx(SRC0)
	v_mov_b32_e32 v49, v12
	s_set_gpr_idx_off
	v_fmac_f32_e32 v43, v56, v50
	s_add_u32 s2, s2, 8
	s_waitcnt lgkmcnt(1)
	v_fmac_f32_e32 v43, v57, v51
	v_add_u32_e32 v44, s2, v46
	v_fmac_f32_e32 v43, v53, v52
	s_addc_u32 s3, s3, 0
	s_add_i32 s10, s10, 32
	s_add_i32 s11, s2, -7
	v_cmp_eq_u32_e32 vcc, 8, v44
	s_waitcnt lgkmcnt(0)
	v_fmac_f32_e32 v43, v54, v47
	v_mov_b32_e32 v44, s11
	s_or_b64 s[8:9], vcc, s[8:9]
	v_fmac_f32_e32 v43, v49, v48
	s_andn2_b64 exec, exec, s[8:9]
	s_cbranch_execnz .LBB9_121
; %bb.122:
	s_or_b64 exec, exec, s[8:9]
.LBB9_123:
	s_or_b64 exec, exec, s[0:1]
	v_and_b32_e32 v45, 7, v45
	v_cmp_ne_u32_e32 vcc, 0, v45
	s_and_saveexec_b64 s[2:3], vcc
	s_cbranch_execz .LBB9_127
; %bb.124:
	v_lshl_add_u32 v46, v44, 2, 48
	v_mov_b32_e32 v47, 0
	s_mov_b64 s[8:9], 0
.LBB9_125:                              ; =>This Inner Loop Header: Depth=1
	v_cmp_eq_u32_e32 vcc, 1, v44
	v_cndmask_b32_e32 v48, v12, v13, vcc
	v_add_u32_e32 v45, -1, v45
	v_cmp_eq_u32_e32 vcc, 2, v44
	v_cndmask_b32_e32 v48, v48, v14, vcc
	v_cmp_eq_u32_e32 vcc, 0, v45
	v_cmp_eq_u32_e64 s[0:1], 3, v44
	v_cndmask_b32_e64 v48, v48, v15, s[0:1]
	s_or_b64 s[8:9], vcc, s[8:9]
	v_cmp_eq_u32_e32 vcc, 4, v44
	v_cndmask_b32_e32 v48, v48, v16, vcc
	v_cmp_eq_u32_e32 vcc, 5, v44
	ds_read_b32 v49, v46
	v_cndmask_b32_e32 v48, v48, v17, vcc
	v_cmp_eq_u32_e32 vcc, 6, v44
	v_cndmask_b32_e32 v48, v48, v18, vcc
	v_cmp_eq_u32_e32 vcc, 7, v44
	;; [unrolled: 2-line block ×4, first 2 shown]
	v_add_co_u32_e64 v44, s[0:1], 1, v44
	v_cndmask_b32_e32 v48, v48, v21, vcc
	v_add_u32_e32 v46, 4, v46
	v_addc_co_u32_e64 v47, s[0:1], 0, v47, s[0:1]
	s_waitcnt lgkmcnt(0)
	v_fmac_f32_e32 v43, v48, v49
	s_andn2_b64 exec, exec, s[8:9]
	s_cbranch_execnz .LBB9_125
; %bb.126:
	s_or_b64 exec, exec, s[8:9]
.LBB9_127:
	s_or_b64 exec, exec, s[2:3]
.LBB9_128:
	s_or_b64 exec, exec, s[6:7]
	v_mov_b32_e32 v12, 0
	ds_read_b32 v12, v12
	s_waitcnt lgkmcnt(0)
	v_mul_f32_e32 v12, v43, v12
.LBB9_129:
	s_or_b64 exec, exec, s[4:5]
	s_branch .LBB9_223
.LBB9_130:
	v_cmp_eq_u32_e64 s[0:1], 0, v0
	s_waitcnt vmcnt(9)
	ds_write_b32 v42, v3
	s_waitcnt lgkmcnt(0)
	; wave barrier
	s_and_saveexec_b64 s[2:3], s[0:1]
	s_cbranch_execz .LBB9_136
; %bb.131:
	s_and_b64 vcc, exec, s[22:23]
	s_cbranch_vccz .LBB9_133
; %bb.132:
	v_cmp_eq_u32_e32 vcc, 1, v0
	s_waitcnt vmcnt(1)
	v_cndmask_b32_e32 v3, v2, v3, vcc
	v_cmp_eq_u32_e32 vcc, 2, v0
	v_cndmask_b32_e32 v3, v3, v4, vcc
	v_cmp_eq_u32_e32 vcc, 3, v0
	v_cndmask_b32_e32 v3, v3, v5, vcc
	v_cmp_eq_u32_e32 vcc, 4, v0
	v_cndmask_b32_e32 v3, v3, v6, vcc
	v_cmp_eq_u32_e32 vcc, 5, v0
	v_cndmask_b32_e32 v3, v3, v7, vcc
	v_cmp_eq_u32_e32 vcc, 6, v0
	ds_read_b32 v12, v42
	v_cndmask_b32_e32 v3, v3, v8, vcc
	v_cmp_eq_u32_e32 vcc, 7, v0
	v_cndmask_b32_e32 v3, v3, v9, vcc
	v_cmp_eq_u32_e32 vcc, 8, v0
	;; [unrolled: 2-line block ×3, first 2 shown]
	s_waitcnt vmcnt(0)
	v_cndmask_b32_e32 v3, v3, v11, vcc
	s_waitcnt lgkmcnt(0)
	v_mul_f32_e32 v3, v3, v12
	s_cbranch_execz .LBB9_134
	s_branch .LBB9_135
.LBB9_133:
                                        ; implicit-def: $vgpr3
.LBB9_134:
	ds_read_b32 v3, v42
.LBB9_135:
	v_mov_b32_e32 v12, 0
	ds_read_b32 v12, v12 offset:4
	s_waitcnt lgkmcnt(0)
	v_mul_f32_e32 v3, v3, v12
.LBB9_136:
	s_or_b64 exec, exec, s[2:3]
	v_cndmask_b32_e64 v12, 0, 1, s[22:23]
	v_cmp_gt_u32_e64 s[2:3], 2, v0
	v_cmp_ne_u32_e64 s[4:5], 1, v12
	s_waitcnt vmcnt(8)
	ds_write_b32 v42, v4
	s_waitcnt lgkmcnt(0)
	; wave barrier
	s_and_saveexec_b64 s[6:7], s[2:3]
	s_cbranch_execz .LBB9_142
; %bb.137:
	s_and_b64 vcc, exec, s[4:5]
	s_cbranch_vccnz .LBB9_139
; %bb.138:
	v_cmp_eq_u32_e32 vcc, 1, v0
	s_waitcnt vmcnt(1)
	v_cndmask_b32_e32 v12, v2, v3, vcc
	v_cmp_eq_u32_e32 vcc, 2, v0
	v_cndmask_b32_e32 v4, v12, v4, vcc
	v_cmp_eq_u32_e32 vcc, 3, v0
	;; [unrolled: 2-line block ×5, first 2 shown]
	ds_read_b32 v12, v42
	v_cndmask_b32_e32 v4, v4, v8, vcc
	v_cmp_eq_u32_e32 vcc, 7, v0
	v_cndmask_b32_e32 v4, v4, v9, vcc
	v_cmp_eq_u32_e32 vcc, 8, v0
	;; [unrolled: 2-line block ×3, first 2 shown]
	s_waitcnt vmcnt(0)
	v_cndmask_b32_e32 v4, v4, v11, vcc
	s_waitcnt lgkmcnt(0)
	v_mul_f32_e32 v4, v4, v12
	s_cbranch_execz .LBB9_140
	s_branch .LBB9_141
.LBB9_139:
                                        ; implicit-def: $vgpr4
.LBB9_140:
	ds_read_b32 v4, v42
.LBB9_141:
	v_mov_b32_e32 v12, 0
	ds_read2_b32 v[12:13], v12 offset0:2 offset1:13
	s_waitcnt lgkmcnt(0)
	v_fma_f32 v13, v3, v13, v4
	v_cndmask_b32_e64 v4, v4, v13, s[0:1]
	v_mul_f32_e32 v4, v4, v12
.LBB9_142:
	s_or_b64 exec, exec, s[6:7]
	v_add_u32_e32 v14, 1, v0
	v_cmp_gt_u32_e32 vcc, 3, v0
	s_waitcnt vmcnt(7)
	ds_write_b32 v42, v5
	s_waitcnt lgkmcnt(0)
	; wave barrier
	s_and_saveexec_b64 s[6:7], vcc
	s_cbranch_execz .LBB9_150
; %bb.143:
	s_and_b64 vcc, exec, s[4:5]
	s_cbranch_vccnz .LBB9_145
; %bb.144:
	v_cmp_eq_u32_e32 vcc, 1, v0
	s_waitcnt vmcnt(1)
	v_cndmask_b32_e32 v12, v2, v3, vcc
	v_cmp_eq_u32_e32 vcc, 2, v0
	v_cndmask_b32_e32 v12, v12, v4, vcc
	v_cmp_eq_u32_e32 vcc, 3, v0
	;; [unrolled: 2-line block ×5, first 2 shown]
	ds_read_b32 v13, v42
	v_cndmask_b32_e32 v12, v12, v8, vcc
	v_cmp_eq_u32_e32 vcc, 7, v0
	v_cndmask_b32_e32 v12, v12, v9, vcc
	v_cmp_eq_u32_e32 vcc, 8, v0
	;; [unrolled: 2-line block ×3, first 2 shown]
	s_waitcnt vmcnt(0)
	v_cndmask_b32_e32 v12, v12, v11, vcc
	s_waitcnt lgkmcnt(0)
	v_mul_f32_e32 v12, v12, v13
	s_cbranch_execz .LBB9_146
	s_branch .LBB9_147
.LBB9_145:
                                        ; implicit-def: $vgpr12
.LBB9_146:
	ds_read_b32 v12, v42
.LBB9_147:
	v_cmp_ne_u32_e32 vcc, 2, v0
	s_and_saveexec_b64 s[8:9], vcc
	s_cbranch_execz .LBB9_149
; %bb.148:
	v_cmp_eq_u32_e32 vcc, 1, v14
	s_waitcnt vmcnt(1)
	v_cndmask_b32_e32 v13, v2, v3, vcc
	v_cmp_eq_u32_e32 vcc, 2, v14
	v_cndmask_b32_e32 v13, v13, v4, vcc
	v_cmp_eq_u32_e32 vcc, 3, v14
	;; [unrolled: 2-line block ×5, first 2 shown]
	v_mov_b32_e32 v13, 0
	v_cndmask_b32_e32 v5, v5, v8, vcc
	v_cmp_eq_u32_e32 vcc, 7, v14
	ds_read_b32 v15, v42 offset:4
	ds_read_b32 v13, v13 offset:56
	v_cndmask_b32_e32 v5, v5, v9, vcc
	v_cmp_eq_u32_e32 vcc, 8, v14
	v_cndmask_b32_e32 v5, v5, v10, vcc
	v_cmp_eq_u32_e32 vcc, 9, v14
	s_waitcnt vmcnt(0)
	v_cndmask_b32_e32 v5, v5, v11, vcc
	s_waitcnt lgkmcnt(1)
	v_fmac_f32_e32 v12, v5, v15
	s_waitcnt lgkmcnt(0)
	v_fma_f32 v5, v4, v13, v12
	v_cndmask_b32_e64 v12, v12, v5, s[0:1]
.LBB9_149:
	s_or_b64 exec, exec, s[8:9]
	v_mov_b32_e32 v5, 0
	ds_read_b32 v5, v5 offset:12
	s_waitcnt lgkmcnt(0)
	v_mul_f32_e32 v5, v12, v5
.LBB9_150:
	s_or_b64 exec, exec, s[6:7]
	v_cmp_gt_u32_e64 s[6:7], 4, v0
	s_waitcnt vmcnt(6)
	ds_write_b32 v42, v6
	s_waitcnt lgkmcnt(0)
	; wave barrier
	s_and_saveexec_b64 s[10:11], s[6:7]
	s_cbranch_execz .LBB9_160
; %bb.151:
	s_and_b64 vcc, exec, s[4:5]
	s_cbranch_vccnz .LBB9_153
; %bb.152:
	v_cmp_eq_u32_e32 vcc, 1, v0
	s_waitcnt vmcnt(1)
	v_cndmask_b32_e32 v12, v2, v3, vcc
	v_cmp_eq_u32_e32 vcc, 2, v0
	v_cndmask_b32_e32 v12, v12, v4, vcc
	v_cmp_eq_u32_e32 vcc, 3, v0
	;; [unrolled: 2-line block ×5, first 2 shown]
	ds_read_b32 v13, v42
	v_cndmask_b32_e32 v12, v12, v8, vcc
	v_cmp_eq_u32_e32 vcc, 7, v0
	v_cndmask_b32_e32 v12, v12, v9, vcc
	v_cmp_eq_u32_e32 vcc, 8, v0
	;; [unrolled: 2-line block ×3, first 2 shown]
	s_waitcnt vmcnt(0)
	v_cndmask_b32_e32 v12, v12, v11, vcc
	s_waitcnt lgkmcnt(0)
	v_mul_f32_e32 v15, v12, v13
	s_cbranch_execz .LBB9_154
	s_branch .LBB9_155
.LBB9_153:
                                        ; implicit-def: $vgpr15
.LBB9_154:
	ds_read_b32 v15, v42
.LBB9_155:
	v_cmp_ne_u32_e32 vcc, 3, v0
	s_and_saveexec_b64 s[12:13], vcc
	s_cbranch_execz .LBB9_159
; %bb.156:
	v_mov_b32_e32 v13, v1
	v_lshl_add_u32 v16, v0, 2, 52
	s_mov_b64 s[14:15], 0
	v_mov_b32_e32 v12, v0
.LBB9_157:                              ; =>This Inner Loop Header: Depth=1
	v_add_co_u32_e32 v12, vcc, 1, v12
	v_addc_co_u32_e32 v13, vcc, 0, v13, vcc
	v_cmp_eq_u32_e32 vcc, 1, v12
	s_waitcnt vmcnt(1)
	v_cndmask_b32_e32 v18, v2, v3, vcc
	v_cmp_lt_u32_e32 vcc, 2, v12
	v_cmp_eq_u32_e64 s[8:9], 2, v12
	v_cndmask_b32_e64 v18, v18, v4, s[8:9]
	s_or_b64 s[14:15], vcc, s[14:15]
	v_cmp_eq_u32_e32 vcc, 3, v12
	v_cndmask_b32_e32 v18, v18, v5, vcc
	v_cmp_eq_u32_e32 vcc, 4, v12
	v_cndmask_b32_e32 v18, v18, v6, vcc
	v_cmp_eq_u32_e32 vcc, 5, v12
	ds_read_b32 v17, v16
	v_cndmask_b32_e32 v18, v18, v7, vcc
	v_cmp_eq_u32_e32 vcc, 6, v12
	v_cndmask_b32_e32 v18, v18, v8, vcc
	v_cmp_eq_u32_e32 vcc, 7, v12
	;; [unrolled: 2-line block ×4, first 2 shown]
	s_waitcnt vmcnt(0)
	v_cndmask_b32_e32 v18, v18, v11, vcc
	v_add_u32_e32 v16, 4, v16
	s_waitcnt lgkmcnt(0)
	v_fmac_f32_e32 v15, v18, v17
	s_andn2_b64 exec, exec, s[14:15]
	s_cbranch_execnz .LBB9_157
; %bb.158:
	s_or_b64 exec, exec, s[14:15]
.LBB9_159:
	s_or_b64 exec, exec, s[12:13]
	v_mov_b32_e32 v6, 0
	ds_read_b32 v6, v6 offset:16
	s_waitcnt lgkmcnt(0)
	v_mul_f32_e32 v6, v15, v6
.LBB9_160:
	s_or_b64 exec, exec, s[10:11]
	v_cmp_gt_u32_e32 vcc, 5, v0
	s_waitcnt vmcnt(5)
	ds_write_b32 v42, v7
	s_waitcnt lgkmcnt(0)
	; wave barrier
	s_and_saveexec_b64 s[10:11], vcc
	s_cbranch_execz .LBB9_170
; %bb.161:
	s_and_b64 vcc, exec, s[4:5]
	s_cbranch_vccnz .LBB9_163
; %bb.162:
	v_cmp_eq_u32_e32 vcc, 1, v0
	s_waitcnt vmcnt(1)
	v_cndmask_b32_e32 v12, v2, v3, vcc
	v_cmp_eq_u32_e32 vcc, 2, v0
	v_cndmask_b32_e32 v12, v12, v4, vcc
	v_cmp_eq_u32_e32 vcc, 3, v0
	;; [unrolled: 2-line block ×5, first 2 shown]
	ds_read_b32 v13, v42
	v_cndmask_b32_e32 v12, v12, v8, vcc
	v_cmp_eq_u32_e32 vcc, 7, v0
	v_cndmask_b32_e32 v12, v12, v9, vcc
	v_cmp_eq_u32_e32 vcc, 8, v0
	;; [unrolled: 2-line block ×3, first 2 shown]
	s_waitcnt vmcnt(0)
	v_cndmask_b32_e32 v12, v12, v11, vcc
	s_waitcnt lgkmcnt(0)
	v_mul_f32_e32 v15, v12, v13
	s_cbranch_execz .LBB9_164
	s_branch .LBB9_165
.LBB9_163:
                                        ; implicit-def: $vgpr15
.LBB9_164:
	ds_read_b32 v15, v42
.LBB9_165:
	v_cmp_ne_u32_e32 vcc, 4, v0
	s_and_saveexec_b64 s[12:13], vcc
	s_cbranch_execz .LBB9_169
; %bb.166:
	v_mov_b32_e32 v13, v1
	v_lshl_add_u32 v16, v0, 2, 52
	s_mov_b64 s[14:15], 0
	v_mov_b32_e32 v12, v0
.LBB9_167:                              ; =>This Inner Loop Header: Depth=1
	v_add_co_u32_e32 v12, vcc, 1, v12
	v_addc_co_u32_e32 v13, vcc, 0, v13, vcc
	v_cmp_eq_u32_e32 vcc, 1, v12
	s_waitcnt vmcnt(1)
	v_cndmask_b32_e32 v18, v2, v3, vcc
	v_cmp_lt_u32_e32 vcc, 3, v12
	v_cmp_eq_u32_e64 s[8:9], 2, v12
	v_cndmask_b32_e64 v18, v18, v4, s[8:9]
	s_or_b64 s[14:15], vcc, s[14:15]
	v_cmp_eq_u32_e32 vcc, 3, v12
	v_cndmask_b32_e32 v18, v18, v5, vcc
	v_cmp_eq_u32_e32 vcc, 4, v12
	v_cndmask_b32_e32 v18, v18, v6, vcc
	v_cmp_eq_u32_e32 vcc, 5, v12
	ds_read_b32 v17, v16
	v_cndmask_b32_e32 v18, v18, v7, vcc
	v_cmp_eq_u32_e32 vcc, 6, v12
	v_cndmask_b32_e32 v18, v18, v8, vcc
	v_cmp_eq_u32_e32 vcc, 7, v12
	;; [unrolled: 2-line block ×4, first 2 shown]
	s_waitcnt vmcnt(0)
	v_cndmask_b32_e32 v18, v18, v11, vcc
	v_add_u32_e32 v16, 4, v16
	s_waitcnt lgkmcnt(0)
	v_fmac_f32_e32 v15, v18, v17
	s_andn2_b64 exec, exec, s[14:15]
	s_cbranch_execnz .LBB9_167
; %bb.168:
	s_or_b64 exec, exec, s[14:15]
.LBB9_169:
	s_or_b64 exec, exec, s[12:13]
	v_mov_b32_e32 v7, 0
	ds_read_b32 v7, v7 offset:20
	s_waitcnt lgkmcnt(0)
	v_mul_f32_e32 v7, v15, v7
.LBB9_170:
	s_or_b64 exec, exec, s[10:11]
	v_cmp_gt_u32_e64 s[8:9], 6, v0
	s_waitcnt vmcnt(4)
	ds_write_b32 v42, v8
	s_waitcnt lgkmcnt(0)
	; wave barrier
	s_and_saveexec_b64 s[12:13], s[8:9]
	s_cbranch_execz .LBB9_180
; %bb.171:
	s_and_b64 vcc, exec, s[4:5]
	s_cbranch_vccnz .LBB9_173
; %bb.172:
	v_cmp_eq_u32_e32 vcc, 1, v0
	s_waitcnt vmcnt(1)
	v_cndmask_b32_e32 v12, v2, v3, vcc
	v_cmp_eq_u32_e32 vcc, 2, v0
	v_cndmask_b32_e32 v12, v12, v4, vcc
	v_cmp_eq_u32_e32 vcc, 3, v0
	;; [unrolled: 2-line block ×5, first 2 shown]
	ds_read_b32 v13, v42
	v_cndmask_b32_e32 v12, v12, v8, vcc
	v_cmp_eq_u32_e32 vcc, 7, v0
	v_cndmask_b32_e32 v12, v12, v9, vcc
	v_cmp_eq_u32_e32 vcc, 8, v0
	;; [unrolled: 2-line block ×3, first 2 shown]
	s_waitcnt vmcnt(0)
	v_cndmask_b32_e32 v12, v12, v11, vcc
	s_waitcnt lgkmcnt(0)
	v_mul_f32_e32 v15, v12, v13
	s_cbranch_execz .LBB9_174
	s_branch .LBB9_175
.LBB9_173:
                                        ; implicit-def: $vgpr15
.LBB9_174:
	ds_read_b32 v15, v42
.LBB9_175:
	v_cmp_ne_u32_e32 vcc, 5, v0
	s_and_saveexec_b64 s[14:15], vcc
	s_cbranch_execz .LBB9_179
; %bb.176:
	v_mov_b32_e32 v13, v1
	v_lshl_add_u32 v16, v0, 2, 52
	s_mov_b64 s[16:17], 0
	v_mov_b32_e32 v12, v0
.LBB9_177:                              ; =>This Inner Loop Header: Depth=1
	v_add_co_u32_e32 v12, vcc, 1, v12
	v_addc_co_u32_e32 v13, vcc, 0, v13, vcc
	v_cmp_eq_u32_e32 vcc, 1, v12
	s_waitcnt vmcnt(1)
	v_cndmask_b32_e32 v18, v2, v3, vcc
	v_cmp_lt_u32_e32 vcc, 4, v12
	v_cmp_eq_u32_e64 s[10:11], 2, v12
	v_cndmask_b32_e64 v18, v18, v4, s[10:11]
	s_or_b64 s[16:17], vcc, s[16:17]
	v_cmp_eq_u32_e32 vcc, 3, v12
	v_cndmask_b32_e32 v18, v18, v5, vcc
	v_cmp_eq_u32_e32 vcc, 4, v12
	v_cndmask_b32_e32 v18, v18, v6, vcc
	v_cmp_eq_u32_e32 vcc, 5, v12
	ds_read_b32 v17, v16
	v_cndmask_b32_e32 v18, v18, v7, vcc
	v_cmp_eq_u32_e32 vcc, 6, v12
	v_cndmask_b32_e32 v18, v18, v8, vcc
	v_cmp_eq_u32_e32 vcc, 7, v12
	;; [unrolled: 2-line block ×4, first 2 shown]
	s_waitcnt vmcnt(0)
	v_cndmask_b32_e32 v18, v18, v11, vcc
	v_add_u32_e32 v16, 4, v16
	s_waitcnt lgkmcnt(0)
	v_fmac_f32_e32 v15, v18, v17
	s_andn2_b64 exec, exec, s[16:17]
	s_cbranch_execnz .LBB9_177
; %bb.178:
	s_or_b64 exec, exec, s[16:17]
.LBB9_179:
	s_or_b64 exec, exec, s[14:15]
	v_mov_b32_e32 v8, 0
	ds_read_b32 v8, v8 offset:24
	s_waitcnt lgkmcnt(0)
	v_mul_f32_e32 v8, v15, v8
.LBB9_180:
	s_or_b64 exec, exec, s[12:13]
	v_cmp_gt_u32_e32 vcc, 7, v0
	s_waitcnt vmcnt(3)
	ds_write_b32 v42, v9
	s_waitcnt lgkmcnt(0)
	; wave barrier
	s_and_saveexec_b64 s[12:13], vcc
	s_cbranch_execz .LBB9_190
; %bb.181:
	s_and_b64 vcc, exec, s[4:5]
	s_cbranch_vccnz .LBB9_183
; %bb.182:
	v_cmp_eq_u32_e32 vcc, 1, v0
	s_waitcnt vmcnt(1)
	v_cndmask_b32_e32 v12, v2, v3, vcc
	v_cmp_eq_u32_e32 vcc, 2, v0
	v_cndmask_b32_e32 v12, v12, v4, vcc
	v_cmp_eq_u32_e32 vcc, 3, v0
	;; [unrolled: 2-line block ×5, first 2 shown]
	ds_read_b32 v13, v42
	v_cndmask_b32_e32 v12, v12, v8, vcc
	v_cmp_eq_u32_e32 vcc, 7, v0
	v_cndmask_b32_e32 v12, v12, v9, vcc
	v_cmp_eq_u32_e32 vcc, 8, v0
	;; [unrolled: 2-line block ×3, first 2 shown]
	s_waitcnt vmcnt(0)
	v_cndmask_b32_e32 v12, v12, v11, vcc
	s_waitcnt lgkmcnt(0)
	v_mul_f32_e32 v15, v12, v13
	s_cbranch_execz .LBB9_184
	s_branch .LBB9_185
.LBB9_183:
                                        ; implicit-def: $vgpr15
.LBB9_184:
	ds_read_b32 v15, v42
.LBB9_185:
	v_cmp_ne_u32_e32 vcc, 6, v0
	s_and_saveexec_b64 s[14:15], vcc
	s_cbranch_execz .LBB9_189
; %bb.186:
	v_mov_b32_e32 v13, v1
	v_lshl_add_u32 v16, v0, 2, 52
	s_mov_b64 s[16:17], 0
	v_mov_b32_e32 v12, v0
.LBB9_187:                              ; =>This Inner Loop Header: Depth=1
	v_add_co_u32_e32 v12, vcc, 1, v12
	v_addc_co_u32_e32 v13, vcc, 0, v13, vcc
	v_cmp_eq_u32_e32 vcc, 1, v12
	s_waitcnt vmcnt(1)
	v_cndmask_b32_e32 v18, v2, v3, vcc
	v_cmp_lt_u32_e32 vcc, 5, v12
	v_cmp_eq_u32_e64 s[10:11], 2, v12
	v_cndmask_b32_e64 v18, v18, v4, s[10:11]
	s_or_b64 s[16:17], vcc, s[16:17]
	v_cmp_eq_u32_e32 vcc, 3, v12
	v_cndmask_b32_e32 v18, v18, v5, vcc
	v_cmp_eq_u32_e32 vcc, 4, v12
	v_cndmask_b32_e32 v18, v18, v6, vcc
	v_cmp_eq_u32_e32 vcc, 5, v12
	ds_read_b32 v17, v16
	v_cndmask_b32_e32 v18, v18, v7, vcc
	v_cmp_eq_u32_e32 vcc, 6, v12
	v_cndmask_b32_e32 v18, v18, v8, vcc
	v_cmp_eq_u32_e32 vcc, 7, v12
	;; [unrolled: 2-line block ×4, first 2 shown]
	s_waitcnt vmcnt(0)
	v_cndmask_b32_e32 v18, v18, v11, vcc
	v_add_u32_e32 v16, 4, v16
	s_waitcnt lgkmcnt(0)
	v_fmac_f32_e32 v15, v18, v17
	s_andn2_b64 exec, exec, s[16:17]
	s_cbranch_execnz .LBB9_187
; %bb.188:
	s_or_b64 exec, exec, s[16:17]
.LBB9_189:
	s_or_b64 exec, exec, s[14:15]
	v_mov_b32_e32 v9, 0
	ds_read_b32 v9, v9 offset:28
	s_waitcnt lgkmcnt(0)
	v_mul_f32_e32 v9, v15, v9
.LBB9_190:
	s_or_b64 exec, exec, s[12:13]
	v_cmp_gt_u32_e64 s[10:11], 8, v0
	s_waitcnt vmcnt(2)
	ds_write_b32 v42, v10
	s_waitcnt lgkmcnt(0)
	; wave barrier
	s_and_saveexec_b64 s[14:15], s[10:11]
	s_cbranch_execz .LBB9_200
; %bb.191:
	s_and_b64 vcc, exec, s[4:5]
	s_cbranch_vccnz .LBB9_193
; %bb.192:
	v_cmp_eq_u32_e32 vcc, 1, v0
	s_waitcnt vmcnt(1)
	v_cndmask_b32_e32 v12, v2, v3, vcc
	v_cmp_eq_u32_e32 vcc, 2, v0
	v_cndmask_b32_e32 v12, v12, v4, vcc
	v_cmp_eq_u32_e32 vcc, 3, v0
	;; [unrolled: 2-line block ×5, first 2 shown]
	ds_read_b32 v13, v42
	v_cndmask_b32_e32 v12, v12, v8, vcc
	v_cmp_eq_u32_e32 vcc, 7, v0
	v_cndmask_b32_e32 v12, v12, v9, vcc
	v_cmp_eq_u32_e32 vcc, 8, v0
	;; [unrolled: 2-line block ×3, first 2 shown]
	s_waitcnt vmcnt(0)
	v_cndmask_b32_e32 v12, v12, v11, vcc
	s_waitcnt lgkmcnt(0)
	v_mul_f32_e32 v15, v12, v13
	s_cbranch_execz .LBB9_194
	s_branch .LBB9_195
.LBB9_193:
                                        ; implicit-def: $vgpr15
.LBB9_194:
	ds_read_b32 v15, v42
.LBB9_195:
	v_cmp_ne_u32_e32 vcc, 7, v0
	s_and_saveexec_b64 s[16:17], vcc
	s_cbranch_execz .LBB9_199
; %bb.196:
	v_mov_b32_e32 v13, v1
	v_lshl_add_u32 v16, v0, 2, 52
	s_mov_b64 s[18:19], 0
	v_mov_b32_e32 v12, v0
.LBB9_197:                              ; =>This Inner Loop Header: Depth=1
	v_add_co_u32_e32 v12, vcc, 1, v12
	v_addc_co_u32_e32 v13, vcc, 0, v13, vcc
	v_cmp_eq_u32_e32 vcc, 1, v12
	s_waitcnt vmcnt(1)
	v_cndmask_b32_e32 v17, v2, v3, vcc
	v_cmp_lt_u32_e32 vcc, 6, v12
	v_cmp_eq_u32_e64 s[12:13], 2, v12
	v_cndmask_b32_e64 v17, v17, v4, s[12:13]
	s_or_b64 s[18:19], vcc, s[18:19]
	v_cmp_eq_u32_e32 vcc, 3, v12
	v_cndmask_b32_e32 v17, v17, v5, vcc
	v_cmp_eq_u32_e32 vcc, 4, v12
	v_cndmask_b32_e32 v17, v17, v6, vcc
	v_cmp_eq_u32_e32 vcc, 5, v12
	ds_read_b32 v1, v16
	v_cndmask_b32_e32 v17, v17, v7, vcc
	v_cmp_eq_u32_e32 vcc, 6, v12
	v_cndmask_b32_e32 v17, v17, v8, vcc
	v_cmp_eq_u32_e32 vcc, 7, v12
	;; [unrolled: 2-line block ×4, first 2 shown]
	s_waitcnt vmcnt(0)
	v_cndmask_b32_e32 v17, v17, v11, vcc
	v_add_u32_e32 v16, 4, v16
	s_waitcnt lgkmcnt(0)
	v_fmac_f32_e32 v15, v17, v1
	s_andn2_b64 exec, exec, s[18:19]
	s_cbranch_execnz .LBB9_197
; %bb.198:
	s_or_b64 exec, exec, s[18:19]
.LBB9_199:
	s_or_b64 exec, exec, s[16:17]
	v_mov_b32_e32 v1, 0
	ds_read_b32 v1, v1 offset:32
	s_waitcnt lgkmcnt(0)
	v_mul_f32_e32 v10, v15, v1
.LBB9_200:
	s_or_b64 exec, exec, s[14:15]
	v_cmp_ne_u32_e32 vcc, 9, v0
	s_waitcnt vmcnt(0)
	ds_write_b32 v42, v11
	s_waitcnt lgkmcnt(0)
	; wave barrier
	s_and_saveexec_b64 s[12:13], vcc
	s_cbranch_execz .LBB9_222
; %bb.201:
	s_and_b64 vcc, exec, s[4:5]
	s_cbranch_vccnz .LBB9_203
; %bb.202:
	v_cmp_eq_u32_e32 vcc, 1, v0
	v_cndmask_b32_e32 v1, v2, v3, vcc
	v_cmp_eq_u32_e32 vcc, 2, v0
	v_cndmask_b32_e32 v1, v1, v4, vcc
	;; [unrolled: 2-line block ×5, first 2 shown]
	v_cmp_eq_u32_e32 vcc, 6, v0
	ds_read_b32 v12, v42
	v_cndmask_b32_e32 v1, v1, v8, vcc
	v_cmp_eq_u32_e32 vcc, 7, v0
	v_cndmask_b32_e32 v1, v1, v9, vcc
	v_cmp_eq_u32_e32 vcc, 8, v0
	;; [unrolled: 2-line block ×3, first 2 shown]
	v_cndmask_b32_e32 v1, v1, v11, vcc
	s_waitcnt lgkmcnt(0)
	v_mul_f32_e32 v1, v1, v12
	s_cbranch_execz .LBB9_204
	s_branch .LBB9_205
.LBB9_203:
                                        ; implicit-def: $vgpr1
.LBB9_204:
	ds_read_b32 v1, v42
.LBB9_205:
	s_and_saveexec_b64 s[4:5], s[10:11]
	s_cbranch_execz .LBB9_221
; %bb.206:
	v_cmp_eq_u32_e32 vcc, 1, v14
	v_cndmask_b32_e32 v12, v2, v3, vcc
	v_cmp_eq_u32_e32 vcc, 2, v14
	v_cndmask_b32_e32 v12, v12, v4, vcc
	v_cmp_eq_u32_e32 vcc, 3, v14
	v_cndmask_b32_e32 v12, v12, v5, vcc
	v_cmp_eq_u32_e32 vcc, 4, v14
	v_cndmask_b32_e32 v12, v12, v6, vcc
	v_cmp_eq_u32_e32 vcc, 5, v14
	v_cndmask_b32_e32 v12, v12, v7, vcc
	v_cmp_eq_u32_e32 vcc, 6, v14
	ds_read_b32 v13, v42 offset:4
	v_cndmask_b32_e32 v12, v12, v8, vcc
	v_cmp_eq_u32_e32 vcc, 7, v14
	v_cndmask_b32_e32 v12, v12, v9, vcc
	v_cmp_eq_u32_e32 vcc, 8, v14
	v_cndmask_b32_e32 v12, v12, v10, vcc
	v_cmp_eq_u32_e32 vcc, 9, v14
	v_cndmask_b32_e32 v12, v12, v11, vcc
	s_waitcnt lgkmcnt(0)
	v_fmac_f32_e32 v1, v12, v13
	v_cmp_ne_u32_e32 vcc, 7, v0
	s_and_saveexec_b64 s[10:11], vcc
	s_cbranch_execz .LBB9_220
; %bb.207:
	v_add_u32_e32 v12, 2, v0
	v_cmp_eq_u32_e32 vcc, 1, v12
	v_cndmask_b32_e32 v13, v2, v3, vcc
	v_cmp_eq_u32_e32 vcc, 2, v12
	v_cndmask_b32_e32 v13, v13, v4, vcc
	v_cmp_eq_u32_e32 vcc, 3, v12
	v_cndmask_b32_e32 v13, v13, v5, vcc
	v_cmp_eq_u32_e32 vcc, 4, v12
	v_cndmask_b32_e32 v13, v13, v6, vcc
	v_cmp_eq_u32_e32 vcc, 5, v12
	v_cndmask_b32_e32 v13, v13, v7, vcc
	v_cmp_eq_u32_e32 vcc, 6, v12
	ds_read_b32 v14, v42 offset:8
	v_cndmask_b32_e32 v13, v13, v8, vcc
	v_cmp_eq_u32_e32 vcc, 7, v12
	v_cndmask_b32_e32 v13, v13, v9, vcc
	v_cmp_eq_u32_e32 vcc, 8, v12
	v_cndmask_b32_e32 v13, v13, v10, vcc
	v_cmp_eq_u32_e32 vcc, 9, v12
	v_cndmask_b32_e32 v12, v13, v11, vcc
	s_waitcnt lgkmcnt(0)
	v_fmac_f32_e32 v1, v12, v14
	s_and_saveexec_b64 s[14:15], s[8:9]
	s_cbranch_execz .LBB9_219
; %bb.208:
	v_add_u32_e32 v12, 3, v0
	v_cmp_eq_u32_e32 vcc, 1, v12
	v_cndmask_b32_e32 v13, v2, v3, vcc
	v_cmp_eq_u32_e32 vcc, 2, v12
	v_cndmask_b32_e32 v13, v13, v4, vcc
	v_cmp_eq_u32_e32 vcc, 3, v12
	v_cndmask_b32_e32 v13, v13, v5, vcc
	v_cmp_eq_u32_e32 vcc, 4, v12
	v_cndmask_b32_e32 v13, v13, v6, vcc
	v_cmp_eq_u32_e32 vcc, 5, v12
	v_cndmask_b32_e32 v13, v13, v7, vcc
	v_cmp_eq_u32_e32 vcc, 6, v12
	ds_read_b32 v14, v42 offset:12
	v_cndmask_b32_e32 v13, v13, v8, vcc
	v_cmp_eq_u32_e32 vcc, 7, v12
	v_cndmask_b32_e32 v13, v13, v9, vcc
	v_cmp_eq_u32_e32 vcc, 8, v12
	v_cndmask_b32_e32 v13, v13, v10, vcc
	v_cmp_eq_u32_e32 vcc, 9, v12
	v_cndmask_b32_e32 v12, v13, v11, vcc
	s_waitcnt lgkmcnt(0)
	v_fmac_f32_e32 v1, v12, v14
	v_cmp_ne_u32_e32 vcc, 5, v0
	s_and_saveexec_b64 s[8:9], vcc
	s_cbranch_execz .LBB9_218
; %bb.209:
	v_add_u32_e32 v12, 4, v0
	v_cmp_eq_u32_e32 vcc, 1, v12
	v_cndmask_b32_e32 v13, v2, v3, vcc
	v_cmp_eq_u32_e32 vcc, 2, v12
	v_cndmask_b32_e32 v13, v13, v4, vcc
	v_cmp_eq_u32_e32 vcc, 3, v12
	v_cndmask_b32_e32 v13, v13, v5, vcc
	v_cmp_eq_u32_e32 vcc, 4, v12
	v_cndmask_b32_e32 v13, v13, v6, vcc
	v_cmp_eq_u32_e32 vcc, 5, v12
	v_cndmask_b32_e32 v13, v13, v7, vcc
	v_cmp_eq_u32_e32 vcc, 6, v12
	ds_read_b32 v14, v42 offset:16
	v_cndmask_b32_e32 v13, v13, v8, vcc
	v_cmp_eq_u32_e32 vcc, 7, v12
	v_cndmask_b32_e32 v13, v13, v9, vcc
	v_cmp_eq_u32_e32 vcc, 8, v12
	v_cndmask_b32_e32 v13, v13, v10, vcc
	v_cmp_eq_u32_e32 vcc, 9, v12
	v_cndmask_b32_e32 v12, v13, v11, vcc
	s_waitcnt lgkmcnt(0)
	v_fmac_f32_e32 v1, v12, v14
	s_and_saveexec_b64 s[16:17], s[6:7]
	s_cbranch_execz .LBB9_217
; %bb.210:
	v_add_u32_e32 v12, 5, v0
	;; [unrolled: 51-line block ×3, first 2 shown]
	v_cmp_eq_u32_e32 vcc, 1, v0
	v_cndmask_b32_e32 v12, v2, v3, vcc
	v_cmp_eq_u32_e32 vcc, 2, v0
	v_cndmask_b32_e32 v12, v12, v4, vcc
	;; [unrolled: 2-line block ×5, first 2 shown]
	v_cmp_eq_u32_e32 vcc, 6, v0
	ds_read_b32 v13, v42 offset:28
	v_cndmask_b32_e32 v12, v12, v8, vcc
	v_cmp_eq_u32_e32 vcc, 7, v0
	v_cndmask_b32_e32 v12, v12, v9, vcc
	v_cmp_eq_u32_e32 vcc, 8, v0
	;; [unrolled: 2-line block ×3, first 2 shown]
	v_cndmask_b32_e32 v0, v12, v11, vcc
	s_waitcnt lgkmcnt(0)
	v_fmac_f32_e32 v1, v0, v13
	s_and_saveexec_b64 s[2:3], s[0:1]
	s_cbranch_execz .LBB9_214
; %bb.213:
	ds_read_b32 v0, v42 offset:32
	s_waitcnt lgkmcnt(0)
	v_fmac_f32_e32 v1, v10, v0
.LBB9_214:
	s_or_b64 exec, exec, s[2:3]
.LBB9_215:
	s_or_b64 exec, exec, s[18:19]
.LBB9_216:
	s_or_b64 exec, exec, s[6:7]
.LBB9_217:
	s_or_b64 exec, exec, s[16:17]
.LBB9_218:
	s_or_b64 exec, exec, s[8:9]
.LBB9_219:
	s_or_b64 exec, exec, s[14:15]
.LBB9_220:
	s_or_b64 exec, exec, s[10:11]
.LBB9_221:
	s_or_b64 exec, exec, s[4:5]
	v_mov_b32_e32 v0, 0
	ds_read_b32 v0, v0 offset:36
	s_waitcnt lgkmcnt(0)
	v_mul_f32_e32 v11, v1, v0
.LBB9_222:
	s_or_b64 exec, exec, s[12:13]
	v_mov_b32_e32 v21, v11
	v_mov_b32_e32 v20, v10
	;; [unrolled: 1-line block ×10, first 2 shown]
.LBB9_223:
	global_store_dword v[38:39], v12, off
	global_store_dword v[40:41], v13, off
	;; [unrolled: 1-line block ×10, first 2 shown]
.LBB9_224:
	s_endpgm
	.section	.rodata,"a",@progbits
	.p2align	6, 0x0
	.amdhsa_kernel _ZN9rocsolver6v33100L18trti2_kernel_smallILi10EfPfEEv13rocblas_fill_17rocblas_diagonal_T1_iil
		.amdhsa_group_segment_fixed_size 88
		.amdhsa_private_segment_fixed_size 0
		.amdhsa_kernarg_size 32
		.amdhsa_user_sgpr_count 6
		.amdhsa_user_sgpr_private_segment_buffer 1
		.amdhsa_user_sgpr_dispatch_ptr 0
		.amdhsa_user_sgpr_queue_ptr 0
		.amdhsa_user_sgpr_kernarg_segment_ptr 1
		.amdhsa_user_sgpr_dispatch_id 0
		.amdhsa_user_sgpr_flat_scratch_init 0
		.amdhsa_user_sgpr_private_segment_size 0
		.amdhsa_uses_dynamic_stack 0
		.amdhsa_system_sgpr_private_segment_wavefront_offset 0
		.amdhsa_system_sgpr_workgroup_id_x 1
		.amdhsa_system_sgpr_workgroup_id_y 0
		.amdhsa_system_sgpr_workgroup_id_z 0
		.amdhsa_system_sgpr_workgroup_info 0
		.amdhsa_system_vgpr_workitem_id 0
		.amdhsa_next_free_vgpr 60
		.amdhsa_next_free_sgpr 28
		.amdhsa_reserve_vcc 1
		.amdhsa_reserve_flat_scratch 0
		.amdhsa_float_round_mode_32 0
		.amdhsa_float_round_mode_16_64 0
		.amdhsa_float_denorm_mode_32 3
		.amdhsa_float_denorm_mode_16_64 3
		.amdhsa_dx10_clamp 1
		.amdhsa_ieee_mode 1
		.amdhsa_fp16_overflow 0
		.amdhsa_exception_fp_ieee_invalid_op 0
		.amdhsa_exception_fp_denorm_src 0
		.amdhsa_exception_fp_ieee_div_zero 0
		.amdhsa_exception_fp_ieee_overflow 0
		.amdhsa_exception_fp_ieee_underflow 0
		.amdhsa_exception_fp_ieee_inexact 0
		.amdhsa_exception_int_div_zero 0
	.end_amdhsa_kernel
	.section	.text._ZN9rocsolver6v33100L18trti2_kernel_smallILi10EfPfEEv13rocblas_fill_17rocblas_diagonal_T1_iil,"axG",@progbits,_ZN9rocsolver6v33100L18trti2_kernel_smallILi10EfPfEEv13rocblas_fill_17rocblas_diagonal_T1_iil,comdat
.Lfunc_end9:
	.size	_ZN9rocsolver6v33100L18trti2_kernel_smallILi10EfPfEEv13rocblas_fill_17rocblas_diagonal_T1_iil, .Lfunc_end9-_ZN9rocsolver6v33100L18trti2_kernel_smallILi10EfPfEEv13rocblas_fill_17rocblas_diagonal_T1_iil
                                        ; -- End function
	.set _ZN9rocsolver6v33100L18trti2_kernel_smallILi10EfPfEEv13rocblas_fill_17rocblas_diagonal_T1_iil.num_vgpr, 60
	.set _ZN9rocsolver6v33100L18trti2_kernel_smallILi10EfPfEEv13rocblas_fill_17rocblas_diagonal_T1_iil.num_agpr, 0
	.set _ZN9rocsolver6v33100L18trti2_kernel_smallILi10EfPfEEv13rocblas_fill_17rocblas_diagonal_T1_iil.numbered_sgpr, 28
	.set _ZN9rocsolver6v33100L18trti2_kernel_smallILi10EfPfEEv13rocblas_fill_17rocblas_diagonal_T1_iil.num_named_barrier, 0
	.set _ZN9rocsolver6v33100L18trti2_kernel_smallILi10EfPfEEv13rocblas_fill_17rocblas_diagonal_T1_iil.private_seg_size, 0
	.set _ZN9rocsolver6v33100L18trti2_kernel_smallILi10EfPfEEv13rocblas_fill_17rocblas_diagonal_T1_iil.uses_vcc, 1
	.set _ZN9rocsolver6v33100L18trti2_kernel_smallILi10EfPfEEv13rocblas_fill_17rocblas_diagonal_T1_iil.uses_flat_scratch, 0
	.set _ZN9rocsolver6v33100L18trti2_kernel_smallILi10EfPfEEv13rocblas_fill_17rocblas_diagonal_T1_iil.has_dyn_sized_stack, 0
	.set _ZN9rocsolver6v33100L18trti2_kernel_smallILi10EfPfEEv13rocblas_fill_17rocblas_diagonal_T1_iil.has_recursion, 0
	.set _ZN9rocsolver6v33100L18trti2_kernel_smallILi10EfPfEEv13rocblas_fill_17rocblas_diagonal_T1_iil.has_indirect_call, 0
	.section	.AMDGPU.csdata,"",@progbits
; Kernel info:
; codeLenInByte = 9192
; TotalNumSgprs: 32
; NumVgprs: 60
; ScratchSize: 0
; MemoryBound: 0
; FloatMode: 240
; IeeeMode: 1
; LDSByteSize: 88 bytes/workgroup (compile time only)
; SGPRBlocks: 3
; VGPRBlocks: 14
; NumSGPRsForWavesPerEU: 32
; NumVGPRsForWavesPerEU: 60
; Occupancy: 4
; WaveLimiterHint : 0
; COMPUTE_PGM_RSRC2:SCRATCH_EN: 0
; COMPUTE_PGM_RSRC2:USER_SGPR: 6
; COMPUTE_PGM_RSRC2:TRAP_HANDLER: 0
; COMPUTE_PGM_RSRC2:TGID_X_EN: 1
; COMPUTE_PGM_RSRC2:TGID_Y_EN: 0
; COMPUTE_PGM_RSRC2:TGID_Z_EN: 0
; COMPUTE_PGM_RSRC2:TIDIG_COMP_CNT: 0
	.section	.text._ZN9rocsolver6v33100L18trti2_kernel_smallILi11EfPfEEv13rocblas_fill_17rocblas_diagonal_T1_iil,"axG",@progbits,_ZN9rocsolver6v33100L18trti2_kernel_smallILi11EfPfEEv13rocblas_fill_17rocblas_diagonal_T1_iil,comdat
	.globl	_ZN9rocsolver6v33100L18trti2_kernel_smallILi11EfPfEEv13rocblas_fill_17rocblas_diagonal_T1_iil ; -- Begin function _ZN9rocsolver6v33100L18trti2_kernel_smallILi11EfPfEEv13rocblas_fill_17rocblas_diagonal_T1_iil
	.p2align	8
	.type	_ZN9rocsolver6v33100L18trti2_kernel_smallILi11EfPfEEv13rocblas_fill_17rocblas_diagonal_T1_iil,@function
_ZN9rocsolver6v33100L18trti2_kernel_smallILi11EfPfEEv13rocblas_fill_17rocblas_diagonal_T1_iil: ; @_ZN9rocsolver6v33100L18trti2_kernel_smallILi11EfPfEEv13rocblas_fill_17rocblas_diagonal_T1_iil
; %bb.0:
	v_cmp_gt_u32_e32 vcc, 11, v0
	s_and_saveexec_b64 s[0:1], vcc
	s_cbranch_execz .LBB10_250
; %bb.1:
	s_load_dwordx8 s[24:31], s[4:5], 0x0
	s_ashr_i32 s2, s6, 31
	v_lshlrev_b32_e32 v13, 2, v0
	v_mov_b32_e32 v14, -1.0
	s_waitcnt lgkmcnt(0)
	s_mul_hi_u32 s3, s30, s6
	s_mul_i32 s2, s30, s2
	s_add_i32 s2, s3, s2
	s_mul_i32 s3, s31, s6
	s_add_i32 s3, s2, s3
	s_mul_i32 s2, s30, s6
	s_ashr_i32 s1, s28, 31
	s_lshl_b64 s[2:3], s[2:3], 2
	s_mov_b32 s0, s28
	s_add_u32 s2, s26, s2
	s_addc_u32 s3, s27, s3
	s_lshl_b64 s[0:1], s[0:1], 2
	s_add_u32 s0, s2, s0
	s_addc_u32 s1, s3, s1
	s_add_i32 s2, s29, s29
	v_add_u32_e32 v1, s2, v0
	v_ashrrev_i32_e32 v2, 31, v1
	v_lshlrev_b64 v[2:3], 2, v[1:2]
	v_add_u32_e32 v1, s29, v1
	v_mov_b32_e32 v4, s1
	v_add_co_u32_e32 v24, vcc, s0, v2
	v_ashrrev_i32_e32 v2, 31, v1
	v_addc_co_u32_e32 v25, vcc, v4, v3, vcc
	v_lshlrev_b64 v[2:3], 2, v[1:2]
	v_add_u32_e32 v1, s29, v1
	v_add_co_u32_e32 v26, vcc, s0, v2
	v_ashrrev_i32_e32 v2, 31, v1
	v_addc_co_u32_e32 v27, vcc, v4, v3, vcc
	v_lshlrev_b64 v[2:3], 2, v[1:2]
	v_add_u32_e32 v1, s29, v1
	;; [unrolled: 5-line block ×7, first 2 shown]
	v_add_co_u32_e32 v38, vcc, s0, v2
	v_ashrrev_i32_e32 v2, 31, v1
	v_lshlrev_b64 v[1:2], 2, v[1:2]
	v_addc_co_u32_e32 v39, vcc, v4, v3, vcc
	v_mov_b32_e32 v3, s1
	v_add_co_u32_e32 v40, vcc, s0, v1
	v_addc_co_u32_e32 v41, vcc, v3, v2, vcc
	v_mov_b32_e32 v1, s1
	v_add_co_u32_e32 v42, vcc, s0, v13
	s_ashr_i32 s3, s29, 31
	s_mov_b32 s2, s29
	v_addc_co_u32_e32 v43, vcc, 0, v1, vcc
	s_lshl_b64 s[2:3], s[2:3], 2
	v_mov_b32_e32 v1, s3
	v_add_co_u32_e32 v44, vcc, s2, v42
	v_addc_co_u32_e32 v45, vcc, v43, v1, vcc
	global_load_dword v3, v[44:45], off
	global_load_dword v4, v[24:25], off
	;; [unrolled: 1-line block ×8, first 2 shown]
	global_load_dword v2, v13, s[0:1]
	global_load_dword v11, v[38:39], off
	global_load_dword v12, v[40:41], off
	s_cmpk_lg_i32 s25, 0x84
	v_mov_b32_e32 v1, 0
	s_cselect_b64 s[22:23], -1, 0
	s_cmpk_eq_i32 s25, 0x84
	v_cmp_eq_u32_e64 s[0:1], 0, v0
	s_cbranch_scc1 .LBB10_3
; %bb.2:
	v_cmp_eq_u32_e64 s[2:3], 1, v0
	s_waitcnt vmcnt(2)
	v_cndmask_b32_e64 v14, v2, v3, s[2:3]
	v_cmp_eq_u32_e64 s[4:5], 2, v0
	v_cndmask_b32_e64 v14, v14, v4, s[4:5]
	v_cmp_eq_u32_e64 s[6:7], 3, v0
	;; [unrolled: 2-line block ×8, first 2 shown]
	s_waitcnt vmcnt(1)
	v_cndmask_b32_e64 v14, v14, v11, s[18:19]
	v_cmp_eq_u32_e64 s[20:21], 10, v0
	s_waitcnt vmcnt(0)
	v_cndmask_b32_e64 v14, v14, v12, s[20:21]
	v_div_scale_f32 v15, s[26:27], v14, v14, 1.0
	v_div_scale_f32 v16, vcc, 1.0, v14, 1.0
	v_rcp_f32_e32 v17, v15
	v_fma_f32 v18, -v15, v17, 1.0
	v_fmac_f32_e32 v17, v18, v17
	v_mul_f32_e32 v18, v16, v17
	v_fma_f32 v19, -v15, v18, v16
	v_fmac_f32_e32 v18, v19, v17
	v_fma_f32 v15, -v15, v18, v16
	v_div_fmas_f32 v15, v15, v17, v18
	v_div_fixup_f32 v14, v15, v14, 1.0
	v_cndmask_b32_e64 v12, v12, v14, s[20:21]
	v_cndmask_b32_e64 v11, v11, v14, s[18:19]
	;; [unrolled: 1-line block ×11, first 2 shown]
	v_xor_b32_e32 v14, 0x80000000, v14
.LBB10_3:
	s_cmpk_eq_i32 s24, 0x79
	v_add_u32_e32 v46, 48, v13
	ds_write_b32 v13, v14
	s_cbranch_scc1 .LBB10_7
; %bb.4:
	s_waitcnt vmcnt(0)
	v_mov_b32_e32 v23, v12
	v_mov_b32_e32 v22, v11
	;; [unrolled: 1-line block ×11, first 2 shown]
	v_cmp_eq_u32_e64 s[2:3], 10, v0
	ds_write_b32 v46, v11
	s_waitcnt lgkmcnt(0)
	; wave barrier
	s_and_saveexec_b64 s[0:1], s[2:3]
	s_cbranch_execz .LBB10_11
; %bb.5:
	s_and_b64 vcc, exec, s[22:23]
	s_cbranch_vccz .LBB10_8
; %bb.6:
	v_cmp_eq_u32_e32 vcc, 1, v0
	v_cndmask_b32_e32 v13, v2, v3, vcc
	v_cmp_eq_u32_e32 vcc, 2, v0
	v_cndmask_b32_e32 v13, v13, v4, vcc
	v_cmp_eq_u32_e32 vcc, 3, v0
	v_cndmask_b32_e32 v13, v13, v5, vcc
	v_cmp_eq_u32_e32 vcc, 4, v0
	v_cndmask_b32_e32 v13, v13, v6, vcc
	v_cmp_eq_u32_e32 vcc, 5, v0
	v_cndmask_b32_e32 v13, v13, v7, vcc
	v_cmp_eq_u32_e32 vcc, 6, v0
	v_cndmask_b32_e32 v13, v13, v8, vcc
	v_cmp_eq_u32_e32 vcc, 7, v0
	ds_read_b32 v14, v46
	v_cndmask_b32_e32 v13, v13, v9, vcc
	v_cmp_eq_u32_e32 vcc, 8, v0
	v_cndmask_b32_e32 v13, v13, v10, vcc
	v_cmp_eq_u32_e32 vcc, 9, v0
	v_cndmask_b32_e32 v13, v13, v11, vcc
	v_cmp_eq_u32_e32 vcc, 10, v0
	v_cndmask_b32_e32 v13, v13, v12, vcc
	s_waitcnt lgkmcnt(0)
	v_mul_f32_e32 v13, v13, v14
	s_cbranch_execz .LBB10_9
	s_branch .LBB10_10
.LBB10_7:
                                        ; implicit-def: $vgpr13_vgpr14_vgpr15_vgpr16_vgpr17_vgpr18_vgpr19_vgpr20_vgpr21_vgpr22_vgpr23
	s_cbranch_execnz .LBB10_146
	s_branch .LBB10_249
.LBB10_8:
                                        ; implicit-def: $vgpr13
.LBB10_9:
	ds_read_b32 v13, v46
.LBB10_10:
	v_mov_b32_e32 v14, 0
	ds_read_b32 v14, v14 offset:36
	s_waitcnt lgkmcnt(0)
	v_mul_f32_e32 v47, v13, v14
	v_mov_b32_e32 v23, v12
	v_mov_b32_e32 v22, v11
	v_mov_b32_e32 v21, v10
	v_mov_b32_e32 v20, v9
	v_mov_b32_e32 v19, v8
	v_mov_b32_e32 v18, v7
	v_mov_b32_e32 v17, v6
	v_mov_b32_e32 v16, v5
	v_mov_b32_e32 v15, v4
	v_mov_b32_e32 v14, v3
	v_mov_b32_e32 v13, v2
	v_mov_b32_e32 v22, v47
.LBB10_11:
	s_or_b64 exec, exec, s[0:1]
	v_cmp_lt_u32_e64 s[0:1], 8, v0
	ds_write_b32 v46, v21
	s_waitcnt lgkmcnt(0)
	; wave barrier
	s_and_saveexec_b64 s[4:5], s[0:1]
	s_cbranch_execz .LBB10_17
; %bb.12:
	s_andn2_b64 vcc, exec, s[22:23]
	s_cbranch_vccnz .LBB10_14
; %bb.13:
	v_cmp_eq_u32_e32 vcc, 1, v0
	v_cndmask_b32_e32 v47, v13, v14, vcc
	v_cmp_eq_u32_e32 vcc, 2, v0
	v_cndmask_b32_e32 v47, v47, v15, vcc
	;; [unrolled: 2-line block ×8, first 2 shown]
	ds_read_b32 v47, v46
	v_cmp_eq_u32_e32 vcc, 9, v0
	v_cndmask_b32_e32 v21, v21, v22, vcc
	v_cmp_eq_u32_e32 vcc, 10, v0
	v_cndmask_b32_e32 v21, v21, v23, vcc
	s_waitcnt lgkmcnt(0)
	v_mul_f32_e32 v21, v21, v47
	s_cbranch_execz .LBB10_15
	s_branch .LBB10_16
.LBB10_14:
                                        ; implicit-def: $vgpr21
.LBB10_15:
	ds_read_b32 v21, v46
.LBB10_16:
	v_mov_b32_e32 v47, 0
	ds_read2_b32 v[47:48], v47 offset0:8 offset1:21
	s_waitcnt lgkmcnt(0)
	v_fma_f32 v48, v22, v48, v21
	v_cndmask_b32_e64 v21, v21, v48, s[2:3]
	v_mul_f32_e32 v21, v21, v47
.LBB10_17:
	s_or_b64 exec, exec, s[4:5]
	v_cmp_lt_u32_e64 s[2:3], 7, v0
	ds_write_b32 v46, v20
	s_waitcnt lgkmcnt(0)
	; wave barrier
	s_and_saveexec_b64 s[4:5], s[2:3]
	s_cbranch_execz .LBB10_33
; %bb.18:
	s_andn2_b64 vcc, exec, s[22:23]
	s_cbranch_vccnz .LBB10_20
; %bb.19:
	v_cmp_eq_u32_e32 vcc, 1, v0
	v_cndmask_b32_e32 v47, v13, v14, vcc
	v_cmp_eq_u32_e32 vcc, 2, v0
	v_cndmask_b32_e32 v47, v47, v15, vcc
	;; [unrolled: 2-line block ×6, first 2 shown]
	v_cmp_eq_u32_e32 vcc, 7, v0
	ds_read_b32 v48, v46
	v_cndmask_b32_e32 v47, v47, v20, vcc
	v_cmp_eq_u32_e32 vcc, 8, v0
	v_cndmask_b32_e32 v47, v47, v21, vcc
	v_cmp_eq_u32_e32 vcc, 9, v0
	v_cndmask_b32_e32 v47, v47, v22, vcc
	v_cmp_eq_u32_e32 vcc, 10, v0
	v_cndmask_b32_e32 v47, v47, v23, vcc
	s_waitcnt lgkmcnt(0)
	v_mul_f32_e32 v47, v47, v48
	s_cbranch_execz .LBB10_21
	s_branch .LBB10_22
.LBB10_20:
                                        ; implicit-def: $vgpr47
.LBB10_21:
	ds_read_b32 v47, v46
.LBB10_22:
	s_and_saveexec_b64 s[6:7], s[0:1]
	s_cbranch_execz .LBB10_32
; %bb.23:
	v_add_u32_e32 v48, -9, v0
	v_cmp_lt_u32_e32 vcc, 6, v48
	v_mov_b32_e32 v48, 8
	s_and_saveexec_b64 s[0:1], vcc
	s_cbranch_execz .LBB10_27
; %bb.24:
	v_and_b32_e32 v48, 8, v0
	v_sub_u32_e32 v49, 0, v48
	s_mov_b64 s[8:9], 15
	s_movk_i32 s12, 0x50
	s_mov_b64 s[10:11], 0
.LBB10_25:                              ; =>This Inner Loop Header: Depth=1
	s_add_i32 s13, s8, -7
	v_mov_b32_e32 v48, s12
	s_add_i32 s14, s8, -6
	s_set_gpr_idx_on s13, gpr_idx(SRC0)
	v_mov_b32_e32 v58, v13
	s_set_gpr_idx_off
	s_add_i32 s15, s8, -5
	ds_read_b128 v[50:53], v48
	ds_read_b128 v[54:57], v48 offset:16
	s_set_gpr_idx_on s14, gpr_idx(SRC0)
	v_mov_b32_e32 v48, v13
	s_set_gpr_idx_off
	s_add_i32 s16, s8, -4
	s_set_gpr_idx_on s15, gpr_idx(SRC0)
	v_mov_b32_e32 v59, v13
	s_set_gpr_idx_off
	s_add_i32 s17, s8, -3
	;; [unrolled: 4-line block ×4, first 2 shown]
	s_waitcnt lgkmcnt(1)
	v_fmac_f32_e32 v47, v58, v50
	s_set_gpr_idx_on s18, gpr_idx(SRC0)
	v_mov_b32_e32 v50, v13
	s_set_gpr_idx_off
	v_fmac_f32_e32 v47, v48, v51
	s_set_gpr_idx_on s19, gpr_idx(SRC0)
	v_mov_b32_e32 v51, v13
	s_set_gpr_idx_off
	;; [unrolled: 4-line block ×3, first 2 shown]
	v_fmac_f32_e32 v47, v60, v53
	s_add_u32 s8, s8, 8
	s_waitcnt lgkmcnt(0)
	v_fmac_f32_e32 v47, v61, v54
	v_add_u32_e32 v48, s8, v49
	v_fmac_f32_e32 v47, v50, v55
	s_addc_u32 s9, s9, 0
	s_add_i32 s12, s12, 32
	s_add_i32 s13, s8, -7
	v_cmp_eq_u32_e32 vcc, 7, v48
	v_fmac_f32_e32 v47, v51, v56
	v_mov_b32_e32 v48, s13
	s_or_b64 s[10:11], vcc, s[10:11]
	v_fmac_f32_e32 v47, v52, v57
	s_andn2_b64 exec, exec, s[10:11]
	s_cbranch_execnz .LBB10_25
; %bb.26:
	s_or_b64 exec, exec, s[10:11]
.LBB10_27:
	s_or_b64 exec, exec, s[0:1]
	v_and_b32_e32 v49, 7, v0
	v_cmp_ne_u32_e32 vcc, 0, v49
	s_and_saveexec_b64 s[8:9], vcc
	s_cbranch_execz .LBB10_31
; %bb.28:
	v_lshl_add_u32 v50, v48, 2, 48
	v_mov_b32_e32 v51, 0
	s_mov_b64 s[10:11], 0
.LBB10_29:                              ; =>This Inner Loop Header: Depth=1
	v_cmp_eq_u32_e32 vcc, 1, v48
	v_cndmask_b32_e32 v52, v13, v14, vcc
	v_add_u32_e32 v49, -1, v49
	v_cmp_eq_u32_e32 vcc, 2, v48
	v_cndmask_b32_e32 v52, v52, v15, vcc
	v_cmp_eq_u32_e32 vcc, 0, v49
	v_cmp_eq_u32_e64 s[0:1], 3, v48
	v_cndmask_b32_e64 v52, v52, v16, s[0:1]
	s_or_b64 s[10:11], vcc, s[10:11]
	v_cmp_eq_u32_e32 vcc, 4, v48
	v_cndmask_b32_e32 v52, v52, v17, vcc
	v_cmp_eq_u32_e32 vcc, 5, v48
	v_cndmask_b32_e32 v52, v52, v18, vcc
	v_cmp_eq_u32_e32 vcc, 6, v48
	ds_read_b32 v53, v50
	v_cndmask_b32_e32 v52, v52, v19, vcc
	v_cmp_eq_u32_e32 vcc, 7, v48
	v_cndmask_b32_e32 v52, v52, v20, vcc
	v_cmp_eq_u32_e32 vcc, 8, v48
	;; [unrolled: 2-line block ×4, first 2 shown]
	v_add_co_u32_e64 v48, s[0:1], 1, v48
	v_cndmask_b32_e32 v52, v52, v23, vcc
	v_add_u32_e32 v50, 4, v50
	v_addc_co_u32_e64 v51, s[0:1], 0, v51, s[0:1]
	s_waitcnt lgkmcnt(0)
	v_fmac_f32_e32 v47, v52, v53
	s_andn2_b64 exec, exec, s[10:11]
	s_cbranch_execnz .LBB10_29
; %bb.30:
	s_or_b64 exec, exec, s[10:11]
.LBB10_31:
	s_or_b64 exec, exec, s[8:9]
.LBB10_32:
	s_or_b64 exec, exec, s[6:7]
	v_mov_b32_e32 v20, 0
	ds_read_b32 v20, v20 offset:28
	s_waitcnt lgkmcnt(0)
	v_mul_f32_e32 v20, v47, v20
.LBB10_33:
	s_or_b64 exec, exec, s[4:5]
	v_cmp_lt_u32_e64 s[0:1], 6, v0
	ds_write_b32 v46, v19
	s_waitcnt lgkmcnt(0)
	; wave barrier
	s_and_saveexec_b64 s[4:5], s[0:1]
	s_cbranch_execz .LBB10_49
; %bb.34:
	s_andn2_b64 vcc, exec, s[22:23]
	s_cbranch_vccnz .LBB10_36
; %bb.35:
	v_cmp_eq_u32_e32 vcc, 1, v0
	v_cndmask_b32_e32 v47, v13, v14, vcc
	v_cmp_eq_u32_e32 vcc, 2, v0
	v_cndmask_b32_e32 v47, v47, v15, vcc
	;; [unrolled: 2-line block ×6, first 2 shown]
	v_cmp_eq_u32_e32 vcc, 7, v0
	ds_read_b32 v48, v46
	v_cndmask_b32_e32 v47, v47, v20, vcc
	v_cmp_eq_u32_e32 vcc, 8, v0
	v_cndmask_b32_e32 v47, v47, v21, vcc
	v_cmp_eq_u32_e32 vcc, 9, v0
	;; [unrolled: 2-line block ×3, first 2 shown]
	v_cndmask_b32_e32 v47, v47, v23, vcc
	s_waitcnt lgkmcnt(0)
	v_mul_f32_e32 v47, v47, v48
	s_cbranch_execz .LBB10_37
	s_branch .LBB10_38
.LBB10_36:
                                        ; implicit-def: $vgpr47
.LBB10_37:
	ds_read_b32 v47, v46
.LBB10_38:
	s_and_saveexec_b64 s[6:7], s[2:3]
	s_cbranch_execz .LBB10_48
; %bb.39:
	v_add_u32_e32 v48, -8, v0
	v_add_u32_e32 v49, -7, v0
	v_cmp_lt_u32_e32 vcc, 6, v48
	v_mov_b32_e32 v48, 7
	s_and_saveexec_b64 s[2:3], vcc
	s_cbranch_execz .LBB10_43
; %bb.40:
	v_and_b32_e32 v48, -8, v49
	v_sub_u32_e32 v50, 0, v48
	s_mov_b64 s[8:9], 14
	s_movk_i32 s12, 0x4c
	s_mov_b64 s[10:11], 0
.LBB10_41:                              ; =>This Inner Loop Header: Depth=1
	s_add_i32 s13, s8, -7
	v_mov_b32_e32 v48, s12
	s_add_i32 s14, s8, -6
	s_set_gpr_idx_on s13, gpr_idx(SRC0)
	v_mov_b32_e32 v57, v13
	s_set_gpr_idx_off
	ds_read2_b32 v[51:52], v48 offset1:1
	s_add_i32 s15, s8, -5
	s_set_gpr_idx_on s14, gpr_idx(SRC0)
	v_mov_b32_e32 v58, v13
	s_set_gpr_idx_off
	s_add_i32 s16, s8, -4
	s_set_gpr_idx_on s15, gpr_idx(SRC0)
	v_mov_b32_e32 v59, v13
	s_set_gpr_idx_off
	ds_read2_b32 v[53:54], v48 offset0:2 offset1:3
	s_add_i32 s17, s8, -3
	s_set_gpr_idx_on s16, gpr_idx(SRC0)
	v_mov_b32_e32 v60, v13
	s_set_gpr_idx_off
	s_add_i32 s18, s8, -2
	s_set_gpr_idx_on s17, gpr_idx(SRC0)
	v_mov_b32_e32 v61, v13
	s_set_gpr_idx_off
	ds_read2_b32 v[55:56], v48 offset0:4 offset1:5
	s_add_i32 s19, s8, -1
	s_waitcnt lgkmcnt(2)
	v_fmac_f32_e32 v47, v57, v51
	s_set_gpr_idx_on s18, gpr_idx(SRC0)
	v_mov_b32_e32 v57, v13
	s_set_gpr_idx_off
	v_fmac_f32_e32 v47, v58, v52
	s_set_gpr_idx_on s19, gpr_idx(SRC0)
	v_mov_b32_e32 v58, v13
	s_set_gpr_idx_off
	ds_read2_b32 v[51:52], v48 offset0:6 offset1:7
	s_waitcnt lgkmcnt(2)
	v_fmac_f32_e32 v47, v59, v53
	s_set_gpr_idx_on s8, gpr_idx(SRC0)
	v_mov_b32_e32 v53, v13
	s_set_gpr_idx_off
	v_fmac_f32_e32 v47, v60, v54
	s_add_u32 s8, s8, 8
	s_waitcnt lgkmcnt(1)
	v_fmac_f32_e32 v47, v61, v55
	v_add_u32_e32 v48, s8, v50
	v_fmac_f32_e32 v47, v57, v56
	s_addc_u32 s9, s9, 0
	s_add_i32 s12, s12, 32
	s_add_i32 s13, s8, -7
	v_cmp_eq_u32_e32 vcc, 14, v48
	s_waitcnt lgkmcnt(0)
	v_fmac_f32_e32 v47, v58, v51
	v_mov_b32_e32 v48, s13
	s_or_b64 s[10:11], vcc, s[10:11]
	v_fmac_f32_e32 v47, v53, v52
	s_andn2_b64 exec, exec, s[10:11]
	s_cbranch_execnz .LBB10_41
; %bb.42:
	s_or_b64 exec, exec, s[10:11]
.LBB10_43:
	s_or_b64 exec, exec, s[2:3]
	v_and_b32_e32 v49, 7, v49
	v_cmp_ne_u32_e32 vcc, 0, v49
	s_and_saveexec_b64 s[8:9], vcc
	s_cbranch_execz .LBB10_47
; %bb.44:
	v_lshl_add_u32 v50, v48, 2, 48
	v_mov_b32_e32 v51, 0
	s_mov_b64 s[10:11], 0
.LBB10_45:                              ; =>This Inner Loop Header: Depth=1
	v_cmp_eq_u32_e32 vcc, 1, v48
	v_cndmask_b32_e32 v52, v13, v14, vcc
	v_add_u32_e32 v49, -1, v49
	v_cmp_eq_u32_e32 vcc, 2, v48
	v_cndmask_b32_e32 v52, v52, v15, vcc
	v_cmp_eq_u32_e32 vcc, 0, v49
	v_cmp_eq_u32_e64 s[2:3], 3, v48
	v_cndmask_b32_e64 v52, v52, v16, s[2:3]
	s_or_b64 s[10:11], vcc, s[10:11]
	v_cmp_eq_u32_e32 vcc, 4, v48
	v_cndmask_b32_e32 v52, v52, v17, vcc
	v_cmp_eq_u32_e32 vcc, 5, v48
	v_cndmask_b32_e32 v52, v52, v18, vcc
	v_cmp_eq_u32_e32 vcc, 6, v48
	ds_read_b32 v53, v50
	v_cndmask_b32_e32 v52, v52, v19, vcc
	v_cmp_eq_u32_e32 vcc, 7, v48
	v_cndmask_b32_e32 v52, v52, v20, vcc
	v_cmp_eq_u32_e32 vcc, 8, v48
	;; [unrolled: 2-line block ×4, first 2 shown]
	v_add_co_u32_e64 v48, s[2:3], 1, v48
	v_cndmask_b32_e32 v52, v52, v23, vcc
	v_add_u32_e32 v50, 4, v50
	v_addc_co_u32_e64 v51, s[2:3], 0, v51, s[2:3]
	s_waitcnt lgkmcnt(0)
	v_fmac_f32_e32 v47, v52, v53
	s_andn2_b64 exec, exec, s[10:11]
	s_cbranch_execnz .LBB10_45
; %bb.46:
	s_or_b64 exec, exec, s[10:11]
.LBB10_47:
	s_or_b64 exec, exec, s[8:9]
.LBB10_48:
	s_or_b64 exec, exec, s[6:7]
	v_mov_b32_e32 v19, 0
	ds_read_b32 v19, v19 offset:24
	s_waitcnt lgkmcnt(0)
	v_mul_f32_e32 v19, v47, v19
.LBB10_49:
	s_or_b64 exec, exec, s[4:5]
	v_cmp_lt_u32_e64 s[2:3], 5, v0
	ds_write_b32 v46, v18
	s_waitcnt lgkmcnt(0)
	; wave barrier
	s_and_saveexec_b64 s[4:5], s[2:3]
	s_cbranch_execz .LBB10_65
; %bb.50:
	s_andn2_b64 vcc, exec, s[22:23]
	s_cbranch_vccnz .LBB10_52
; %bb.51:
	v_cmp_eq_u32_e32 vcc, 1, v0
	v_cndmask_b32_e32 v47, v13, v14, vcc
	v_cmp_eq_u32_e32 vcc, 2, v0
	v_cndmask_b32_e32 v47, v47, v15, vcc
	;; [unrolled: 2-line block ×6, first 2 shown]
	v_cmp_eq_u32_e32 vcc, 7, v0
	ds_read_b32 v48, v46
	v_cndmask_b32_e32 v47, v47, v20, vcc
	v_cmp_eq_u32_e32 vcc, 8, v0
	v_cndmask_b32_e32 v47, v47, v21, vcc
	v_cmp_eq_u32_e32 vcc, 9, v0
	;; [unrolled: 2-line block ×3, first 2 shown]
	v_cndmask_b32_e32 v47, v47, v23, vcc
	s_waitcnt lgkmcnt(0)
	v_mul_f32_e32 v47, v47, v48
	s_cbranch_execz .LBB10_53
	s_branch .LBB10_54
.LBB10_52:
                                        ; implicit-def: $vgpr47
.LBB10_53:
	ds_read_b32 v47, v46
.LBB10_54:
	s_and_saveexec_b64 s[6:7], s[0:1]
	s_cbranch_execz .LBB10_64
; %bb.55:
	v_add_u32_e32 v50, -7, v0
	v_add_u32_e32 v49, -6, v0
	v_mov_b32_e32 v48, 6
	v_cmp_lt_u32_e32 vcc, 6, v50
	s_and_saveexec_b64 s[0:1], vcc
	s_cbranch_execz .LBB10_59
; %bb.56:
	v_and_b32_e32 v48, -8, v49
	v_sub_u32_e32 v50, 0, v48
	s_mov_b64 s[8:9], 13
	s_movk_i32 s12, 0x48
	s_mov_b64 s[10:11], 0
.LBB10_57:                              ; =>This Inner Loop Header: Depth=1
	s_add_i32 s13, s8, -7
	v_mov_b32_e32 v48, s12
	s_add_i32 s14, s8, -6
	s_set_gpr_idx_on s13, gpr_idx(SRC0)
	v_mov_b32_e32 v59, v13
	s_set_gpr_idx_off
	ds_read2_b64 v[51:54], v48 offset1:1
	s_add_i32 s15, s8, -5
	s_set_gpr_idx_on s14, gpr_idx(SRC0)
	v_mov_b32_e32 v60, v13
	s_set_gpr_idx_off
	s_add_i32 s16, s8, -4
	s_set_gpr_idx_on s15, gpr_idx(SRC0)
	v_mov_b32_e32 v61, v13
	s_set_gpr_idx_off
	;; [unrolled: 4-line block ×4, first 2 shown]
	ds_read2_b64 v[55:58], v48 offset0:2 offset1:3
	s_add_i32 s19, s8, -1
	s_waitcnt lgkmcnt(1)
	v_fmac_f32_e32 v47, v59, v51
	s_set_gpr_idx_on s18, gpr_idx(SRC0)
	v_mov_b32_e32 v51, v13
	s_set_gpr_idx_off
	v_fmac_f32_e32 v47, v60, v52
	s_set_gpr_idx_on s19, gpr_idx(SRC0)
	v_mov_b32_e32 v52, v13
	s_set_gpr_idx_off
	;; [unrolled: 4-line block ×3, first 2 shown]
	v_fmac_f32_e32 v47, v62, v54
	s_add_u32 s8, s8, 8
	s_waitcnt lgkmcnt(0)
	v_fmac_f32_e32 v47, v63, v55
	v_add_u32_e32 v48, s8, v50
	v_fmac_f32_e32 v47, v51, v56
	s_addc_u32 s9, s9, 0
	s_add_i32 s12, s12, 32
	s_add_i32 s13, s8, -7
	v_cmp_eq_u32_e32 vcc, 13, v48
	v_fmac_f32_e32 v47, v52, v57
	v_mov_b32_e32 v48, s13
	s_or_b64 s[10:11], vcc, s[10:11]
	v_fmac_f32_e32 v47, v53, v58
	s_andn2_b64 exec, exec, s[10:11]
	s_cbranch_execnz .LBB10_57
; %bb.58:
	s_or_b64 exec, exec, s[10:11]
.LBB10_59:
	s_or_b64 exec, exec, s[0:1]
	v_and_b32_e32 v49, 7, v49
	v_cmp_ne_u32_e32 vcc, 0, v49
	s_and_saveexec_b64 s[8:9], vcc
	s_cbranch_execz .LBB10_63
; %bb.60:
	v_lshl_add_u32 v50, v48, 2, 48
	v_mov_b32_e32 v51, 0
	s_mov_b64 s[10:11], 0
.LBB10_61:                              ; =>This Inner Loop Header: Depth=1
	v_cmp_eq_u32_e32 vcc, 1, v48
	v_cndmask_b32_e32 v52, v13, v14, vcc
	v_add_u32_e32 v49, -1, v49
	v_cmp_eq_u32_e32 vcc, 2, v48
	v_cndmask_b32_e32 v52, v52, v15, vcc
	v_cmp_eq_u32_e32 vcc, 0, v49
	v_cmp_eq_u32_e64 s[0:1], 3, v48
	v_cndmask_b32_e64 v52, v52, v16, s[0:1]
	s_or_b64 s[10:11], vcc, s[10:11]
	v_cmp_eq_u32_e32 vcc, 4, v48
	v_cndmask_b32_e32 v52, v52, v17, vcc
	v_cmp_eq_u32_e32 vcc, 5, v48
	v_cndmask_b32_e32 v52, v52, v18, vcc
	v_cmp_eq_u32_e32 vcc, 6, v48
	ds_read_b32 v53, v50
	v_cndmask_b32_e32 v52, v52, v19, vcc
	v_cmp_eq_u32_e32 vcc, 7, v48
	v_cndmask_b32_e32 v52, v52, v20, vcc
	v_cmp_eq_u32_e32 vcc, 8, v48
	;; [unrolled: 2-line block ×4, first 2 shown]
	v_add_co_u32_e64 v48, s[0:1], 1, v48
	v_cndmask_b32_e32 v52, v52, v23, vcc
	v_add_u32_e32 v50, 4, v50
	v_addc_co_u32_e64 v51, s[0:1], 0, v51, s[0:1]
	s_waitcnt lgkmcnt(0)
	v_fmac_f32_e32 v47, v52, v53
	s_andn2_b64 exec, exec, s[10:11]
	s_cbranch_execnz .LBB10_61
; %bb.62:
	s_or_b64 exec, exec, s[10:11]
.LBB10_63:
	s_or_b64 exec, exec, s[8:9]
.LBB10_64:
	s_or_b64 exec, exec, s[6:7]
	v_mov_b32_e32 v18, 0
	ds_read_b32 v18, v18 offset:20
	s_waitcnt lgkmcnt(0)
	v_mul_f32_e32 v18, v47, v18
.LBB10_65:
	s_or_b64 exec, exec, s[4:5]
	v_cmp_lt_u32_e64 s[0:1], 4, v0
	ds_write_b32 v46, v17
	s_waitcnt lgkmcnt(0)
	; wave barrier
	s_and_saveexec_b64 s[4:5], s[0:1]
	s_cbranch_execz .LBB10_81
; %bb.66:
	s_andn2_b64 vcc, exec, s[22:23]
	s_cbranch_vccnz .LBB10_68
; %bb.67:
	v_cmp_eq_u32_e32 vcc, 1, v0
	v_cndmask_b32_e32 v47, v13, v14, vcc
	v_cmp_eq_u32_e32 vcc, 2, v0
	v_cndmask_b32_e32 v47, v47, v15, vcc
	;; [unrolled: 2-line block ×6, first 2 shown]
	v_cmp_eq_u32_e32 vcc, 7, v0
	ds_read_b32 v48, v46
	v_cndmask_b32_e32 v47, v47, v20, vcc
	v_cmp_eq_u32_e32 vcc, 8, v0
	v_cndmask_b32_e32 v47, v47, v21, vcc
	v_cmp_eq_u32_e32 vcc, 9, v0
	;; [unrolled: 2-line block ×3, first 2 shown]
	v_cndmask_b32_e32 v47, v47, v23, vcc
	s_waitcnt lgkmcnt(0)
	v_mul_f32_e32 v47, v47, v48
	s_cbranch_execz .LBB10_69
	s_branch .LBB10_70
.LBB10_68:
                                        ; implicit-def: $vgpr47
.LBB10_69:
	ds_read_b32 v47, v46
.LBB10_70:
	s_and_saveexec_b64 s[6:7], s[2:3]
	s_cbranch_execz .LBB10_80
; %bb.71:
	v_add_u32_e32 v48, -6, v0
	v_add_u32_e32 v49, -5, v0
	v_cmp_lt_u32_e32 vcc, 6, v48
	v_mov_b32_e32 v48, 5
	s_and_saveexec_b64 s[2:3], vcc
	s_cbranch_execz .LBB10_75
; %bb.72:
	v_and_b32_e32 v48, -8, v49
	v_sub_u32_e32 v50, 0, v48
	s_mov_b64 s[8:9], 12
	s_movk_i32 s12, 0x44
	s_mov_b64 s[10:11], 0
.LBB10_73:                              ; =>This Inner Loop Header: Depth=1
	s_add_i32 s13, s8, -7
	v_mov_b32_e32 v48, s12
	s_add_i32 s14, s8, -6
	s_set_gpr_idx_on s13, gpr_idx(SRC0)
	v_mov_b32_e32 v57, v13
	s_set_gpr_idx_off
	ds_read2_b32 v[51:52], v48 offset1:1
	s_add_i32 s15, s8, -5
	s_set_gpr_idx_on s14, gpr_idx(SRC0)
	v_mov_b32_e32 v58, v13
	s_set_gpr_idx_off
	s_add_i32 s16, s8, -4
	s_set_gpr_idx_on s15, gpr_idx(SRC0)
	v_mov_b32_e32 v59, v13
	s_set_gpr_idx_off
	ds_read2_b32 v[53:54], v48 offset0:2 offset1:3
	s_add_i32 s17, s8, -3
	s_set_gpr_idx_on s16, gpr_idx(SRC0)
	v_mov_b32_e32 v60, v13
	s_set_gpr_idx_off
	s_add_i32 s18, s8, -2
	s_set_gpr_idx_on s17, gpr_idx(SRC0)
	v_mov_b32_e32 v61, v13
	s_set_gpr_idx_off
	ds_read2_b32 v[55:56], v48 offset0:4 offset1:5
	s_add_i32 s19, s8, -1
	s_waitcnt lgkmcnt(2)
	v_fmac_f32_e32 v47, v57, v51
	s_set_gpr_idx_on s18, gpr_idx(SRC0)
	v_mov_b32_e32 v57, v13
	s_set_gpr_idx_off
	v_fmac_f32_e32 v47, v58, v52
	s_set_gpr_idx_on s19, gpr_idx(SRC0)
	v_mov_b32_e32 v58, v13
	s_set_gpr_idx_off
	ds_read2_b32 v[51:52], v48 offset0:6 offset1:7
	s_waitcnt lgkmcnt(2)
	v_fmac_f32_e32 v47, v59, v53
	s_set_gpr_idx_on s8, gpr_idx(SRC0)
	v_mov_b32_e32 v53, v13
	s_set_gpr_idx_off
	v_fmac_f32_e32 v47, v60, v54
	s_add_u32 s8, s8, 8
	s_waitcnt lgkmcnt(1)
	v_fmac_f32_e32 v47, v61, v55
	v_add_u32_e32 v48, s8, v50
	v_fmac_f32_e32 v47, v57, v56
	s_addc_u32 s9, s9, 0
	s_add_i32 s12, s12, 32
	s_add_i32 s13, s8, -7
	v_cmp_eq_u32_e32 vcc, 12, v48
	s_waitcnt lgkmcnt(0)
	v_fmac_f32_e32 v47, v58, v51
	v_mov_b32_e32 v48, s13
	s_or_b64 s[10:11], vcc, s[10:11]
	v_fmac_f32_e32 v47, v53, v52
	s_andn2_b64 exec, exec, s[10:11]
	s_cbranch_execnz .LBB10_73
; %bb.74:
	s_or_b64 exec, exec, s[10:11]
.LBB10_75:
	s_or_b64 exec, exec, s[2:3]
	v_and_b32_e32 v49, 7, v49
	v_cmp_ne_u32_e32 vcc, 0, v49
	s_and_saveexec_b64 s[8:9], vcc
	s_cbranch_execz .LBB10_79
; %bb.76:
	v_lshl_add_u32 v50, v48, 2, 48
	v_mov_b32_e32 v51, 0
	s_mov_b64 s[10:11], 0
.LBB10_77:                              ; =>This Inner Loop Header: Depth=1
	v_cmp_eq_u32_e32 vcc, 1, v48
	v_cndmask_b32_e32 v52, v13, v14, vcc
	v_add_u32_e32 v49, -1, v49
	v_cmp_eq_u32_e32 vcc, 2, v48
	v_cndmask_b32_e32 v52, v52, v15, vcc
	v_cmp_eq_u32_e32 vcc, 0, v49
	v_cmp_eq_u32_e64 s[2:3], 3, v48
	v_cndmask_b32_e64 v52, v52, v16, s[2:3]
	s_or_b64 s[10:11], vcc, s[10:11]
	v_cmp_eq_u32_e32 vcc, 4, v48
	v_cndmask_b32_e32 v52, v52, v17, vcc
	v_cmp_eq_u32_e32 vcc, 5, v48
	v_cndmask_b32_e32 v52, v52, v18, vcc
	v_cmp_eq_u32_e32 vcc, 6, v48
	ds_read_b32 v53, v50
	v_cndmask_b32_e32 v52, v52, v19, vcc
	v_cmp_eq_u32_e32 vcc, 7, v48
	v_cndmask_b32_e32 v52, v52, v20, vcc
	v_cmp_eq_u32_e32 vcc, 8, v48
	;; [unrolled: 2-line block ×4, first 2 shown]
	v_add_co_u32_e64 v48, s[2:3], 1, v48
	v_cndmask_b32_e32 v52, v52, v23, vcc
	v_add_u32_e32 v50, 4, v50
	v_addc_co_u32_e64 v51, s[2:3], 0, v51, s[2:3]
	s_waitcnt lgkmcnt(0)
	v_fmac_f32_e32 v47, v52, v53
	s_andn2_b64 exec, exec, s[10:11]
	s_cbranch_execnz .LBB10_77
; %bb.78:
	s_or_b64 exec, exec, s[10:11]
.LBB10_79:
	s_or_b64 exec, exec, s[8:9]
.LBB10_80:
	s_or_b64 exec, exec, s[6:7]
	v_mov_b32_e32 v17, 0
	ds_read_b32 v17, v17 offset:16
	s_waitcnt lgkmcnt(0)
	v_mul_f32_e32 v17, v47, v17
.LBB10_81:
	s_or_b64 exec, exec, s[4:5]
	v_cmp_lt_u32_e64 s[2:3], 3, v0
	ds_write_b32 v46, v16
	s_waitcnt lgkmcnt(0)
	; wave barrier
	s_and_saveexec_b64 s[4:5], s[2:3]
	s_cbranch_execz .LBB10_97
; %bb.82:
	s_andn2_b64 vcc, exec, s[22:23]
	s_cbranch_vccnz .LBB10_84
; %bb.83:
	v_cmp_eq_u32_e32 vcc, 1, v0
	v_cndmask_b32_e32 v47, v13, v14, vcc
	v_cmp_eq_u32_e32 vcc, 2, v0
	v_cndmask_b32_e32 v47, v47, v15, vcc
	;; [unrolled: 2-line block ×6, first 2 shown]
	v_cmp_eq_u32_e32 vcc, 7, v0
	ds_read_b32 v48, v46
	v_cndmask_b32_e32 v47, v47, v20, vcc
	v_cmp_eq_u32_e32 vcc, 8, v0
	v_cndmask_b32_e32 v47, v47, v21, vcc
	v_cmp_eq_u32_e32 vcc, 9, v0
	;; [unrolled: 2-line block ×3, first 2 shown]
	v_cndmask_b32_e32 v47, v47, v23, vcc
	s_waitcnt lgkmcnt(0)
	v_mul_f32_e32 v47, v47, v48
	s_cbranch_execz .LBB10_85
	s_branch .LBB10_86
.LBB10_84:
                                        ; implicit-def: $vgpr47
.LBB10_85:
	ds_read_b32 v47, v46
.LBB10_86:
	s_and_saveexec_b64 s[6:7], s[0:1]
	s_cbranch_execz .LBB10_96
; %bb.87:
	v_add_u32_e32 v48, -5, v0
	v_add_u32_e32 v49, -4, v0
	v_cmp_lt_u32_e32 vcc, 6, v48
	v_mov_b32_e32 v48, 4
	s_and_saveexec_b64 s[0:1], vcc
	s_cbranch_execz .LBB10_91
; %bb.88:
	v_and_b32_e32 v48, -8, v49
	v_sub_u32_e32 v50, 0, v48
	s_mov_b64 s[8:9], 5
	s_mov_b32 s12, 64
	s_mov_b64 s[10:11], 0
.LBB10_89:                              ; =>This Inner Loop Header: Depth=1
	s_add_i32 s13, s8, -1
	v_mov_b32_e32 v48, s12
	s_set_gpr_idx_on s13, gpr_idx(SRC0)
	v_mov_b32_e32 v59, v13
	s_set_gpr_idx_off
	s_add_i32 s14, s8, 1
	ds_read_b128 v[51:54], v48
	ds_read_b128 v[55:58], v48 offset:16
	s_set_gpr_idx_on s8, gpr_idx(SRC0)
	v_mov_b32_e32 v60, v13
	s_set_gpr_idx_off
	s_add_i32 s15, s8, 2
	s_set_gpr_idx_on s14, gpr_idx(SRC0)
	v_mov_b32_e32 v61, v13
	s_set_gpr_idx_off
	s_add_i32 s16, s8, 3
	;; [unrolled: 4-line block ×4, first 2 shown]
	s_waitcnt lgkmcnt(1)
	v_fmac_f32_e32 v47, v59, v51
	s_set_gpr_idx_on s17, gpr_idx(SRC0)
	v_mov_b32_e32 v51, v13
	s_set_gpr_idx_off
	s_add_i32 s19, s8, 6
	v_fmac_f32_e32 v47, v60, v52
	s_set_gpr_idx_on s18, gpr_idx(SRC0)
	v_mov_b32_e32 v52, v13
	s_set_gpr_idx_off
	v_fmac_f32_e32 v47, v61, v53
	s_set_gpr_idx_on s19, gpr_idx(SRC0)
	v_mov_b32_e32 v53, v13
	s_set_gpr_idx_off
	v_fmac_f32_e32 v47, v62, v54
	s_add_u32 s8, s8, 8
	s_waitcnt lgkmcnt(0)
	v_fmac_f32_e32 v47, v63, v55
	v_add_u32_e32 v48, s8, v50
	v_fmac_f32_e32 v47, v51, v56
	s_addc_u32 s9, s9, 0
	s_add_i32 s12, s12, 32
	s_add_i32 s13, s8, -1
	v_cmp_eq_u32_e32 vcc, 5, v48
	v_fmac_f32_e32 v47, v52, v57
	v_mov_b32_e32 v48, s13
	s_or_b64 s[10:11], vcc, s[10:11]
	v_fmac_f32_e32 v47, v53, v58
	s_andn2_b64 exec, exec, s[10:11]
	s_cbranch_execnz .LBB10_89
; %bb.90:
	s_or_b64 exec, exec, s[10:11]
.LBB10_91:
	s_or_b64 exec, exec, s[0:1]
	v_and_b32_e32 v49, 7, v49
	v_cmp_ne_u32_e32 vcc, 0, v49
	s_and_saveexec_b64 s[8:9], vcc
	s_cbranch_execz .LBB10_95
; %bb.92:
	v_lshl_add_u32 v50, v48, 2, 48
	v_mov_b32_e32 v51, 0
	s_mov_b64 s[10:11], 0
.LBB10_93:                              ; =>This Inner Loop Header: Depth=1
	v_cmp_eq_u32_e32 vcc, 1, v48
	v_cndmask_b32_e32 v52, v13, v14, vcc
	v_add_u32_e32 v49, -1, v49
	v_cmp_eq_u32_e32 vcc, 2, v48
	v_cndmask_b32_e32 v52, v52, v15, vcc
	v_cmp_eq_u32_e32 vcc, 0, v49
	v_cmp_eq_u32_e64 s[0:1], 3, v48
	v_cndmask_b32_e64 v52, v52, v16, s[0:1]
	s_or_b64 s[10:11], vcc, s[10:11]
	v_cmp_eq_u32_e32 vcc, 4, v48
	v_cndmask_b32_e32 v52, v52, v17, vcc
	v_cmp_eq_u32_e32 vcc, 5, v48
	v_cndmask_b32_e32 v52, v52, v18, vcc
	v_cmp_eq_u32_e32 vcc, 6, v48
	ds_read_b32 v53, v50
	v_cndmask_b32_e32 v52, v52, v19, vcc
	v_cmp_eq_u32_e32 vcc, 7, v48
	v_cndmask_b32_e32 v52, v52, v20, vcc
	v_cmp_eq_u32_e32 vcc, 8, v48
	;; [unrolled: 2-line block ×4, first 2 shown]
	v_add_co_u32_e64 v48, s[0:1], 1, v48
	v_cndmask_b32_e32 v52, v52, v23, vcc
	v_add_u32_e32 v50, 4, v50
	v_addc_co_u32_e64 v51, s[0:1], 0, v51, s[0:1]
	s_waitcnt lgkmcnt(0)
	v_fmac_f32_e32 v47, v52, v53
	s_andn2_b64 exec, exec, s[10:11]
	s_cbranch_execnz .LBB10_93
; %bb.94:
	s_or_b64 exec, exec, s[10:11]
.LBB10_95:
	s_or_b64 exec, exec, s[8:9]
.LBB10_96:
	s_or_b64 exec, exec, s[6:7]
	v_mov_b32_e32 v16, 0
	ds_read_b32 v16, v16 offset:12
	s_waitcnt lgkmcnt(0)
	v_mul_f32_e32 v16, v47, v16
.LBB10_97:
	s_or_b64 exec, exec, s[4:5]
	v_cmp_lt_u32_e64 s[0:1], 2, v0
	ds_write_b32 v46, v15
	s_waitcnt lgkmcnt(0)
	; wave barrier
	s_and_saveexec_b64 s[4:5], s[0:1]
	s_cbranch_execz .LBB10_113
; %bb.98:
	s_andn2_b64 vcc, exec, s[22:23]
	s_cbranch_vccnz .LBB10_100
; %bb.99:
	v_cmp_eq_u32_e32 vcc, 1, v0
	v_cndmask_b32_e32 v47, v13, v14, vcc
	v_cmp_eq_u32_e32 vcc, 2, v0
	v_cndmask_b32_e32 v47, v47, v15, vcc
	;; [unrolled: 2-line block ×6, first 2 shown]
	v_cmp_eq_u32_e32 vcc, 7, v0
	ds_read_b32 v48, v46
	v_cndmask_b32_e32 v47, v47, v20, vcc
	v_cmp_eq_u32_e32 vcc, 8, v0
	v_cndmask_b32_e32 v47, v47, v21, vcc
	v_cmp_eq_u32_e32 vcc, 9, v0
	;; [unrolled: 2-line block ×3, first 2 shown]
	v_cndmask_b32_e32 v47, v47, v23, vcc
	s_waitcnt lgkmcnt(0)
	v_mul_f32_e32 v47, v47, v48
	s_cbranch_execz .LBB10_101
	s_branch .LBB10_102
.LBB10_100:
                                        ; implicit-def: $vgpr47
.LBB10_101:
	ds_read_b32 v47, v46
.LBB10_102:
	s_and_saveexec_b64 s[6:7], s[2:3]
	s_cbranch_execz .LBB10_112
; %bb.103:
	v_add_u32_e32 v48, -4, v0
	v_add_u32_e32 v49, -3, v0
	v_cmp_lt_u32_e32 vcc, 6, v48
	v_mov_b32_e32 v48, 3
	s_and_saveexec_b64 s[2:3], vcc
	s_cbranch_execz .LBB10_107
; %bb.104:
	v_and_b32_e32 v48, -8, v49
	v_sub_u32_e32 v50, 0, v48
	s_mov_b64 s[8:9], 10
	s_mov_b32 s12, 60
	s_mov_b64 s[10:11], 0
.LBB10_105:                             ; =>This Inner Loop Header: Depth=1
	s_add_i32 s13, s8, -7
	v_mov_b32_e32 v48, s12
	s_add_i32 s14, s8, -6
	s_set_gpr_idx_on s13, gpr_idx(SRC0)
	v_mov_b32_e32 v57, v13
	s_set_gpr_idx_off
	ds_read2_b32 v[51:52], v48 offset1:1
	s_add_i32 s15, s8, -5
	s_set_gpr_idx_on s14, gpr_idx(SRC0)
	v_mov_b32_e32 v58, v13
	s_set_gpr_idx_off
	s_add_i32 s16, s8, -4
	s_set_gpr_idx_on s15, gpr_idx(SRC0)
	v_mov_b32_e32 v59, v13
	s_set_gpr_idx_off
	ds_read2_b32 v[53:54], v48 offset0:2 offset1:3
	s_add_i32 s17, s8, -3
	s_set_gpr_idx_on s16, gpr_idx(SRC0)
	v_mov_b32_e32 v60, v13
	s_set_gpr_idx_off
	s_add_i32 s18, s8, -2
	s_set_gpr_idx_on s17, gpr_idx(SRC0)
	v_mov_b32_e32 v61, v13
	s_set_gpr_idx_off
	ds_read2_b32 v[55:56], v48 offset0:4 offset1:5
	s_add_i32 s19, s8, -1
	s_waitcnt lgkmcnt(2)
	v_fmac_f32_e32 v47, v57, v51
	s_set_gpr_idx_on s18, gpr_idx(SRC0)
	v_mov_b32_e32 v57, v13
	s_set_gpr_idx_off
	v_fmac_f32_e32 v47, v58, v52
	s_set_gpr_idx_on s19, gpr_idx(SRC0)
	v_mov_b32_e32 v58, v13
	s_set_gpr_idx_off
	ds_read2_b32 v[51:52], v48 offset0:6 offset1:7
	s_waitcnt lgkmcnt(2)
	v_fmac_f32_e32 v47, v59, v53
	s_set_gpr_idx_on s8, gpr_idx(SRC0)
	v_mov_b32_e32 v53, v13
	s_set_gpr_idx_off
	v_fmac_f32_e32 v47, v60, v54
	s_add_u32 s8, s8, 8
	s_waitcnt lgkmcnt(1)
	v_fmac_f32_e32 v47, v61, v55
	v_add_u32_e32 v48, s8, v50
	v_fmac_f32_e32 v47, v57, v56
	s_addc_u32 s9, s9, 0
	s_add_i32 s12, s12, 32
	s_add_i32 s13, s8, -7
	v_cmp_eq_u32_e32 vcc, 10, v48
	s_waitcnt lgkmcnt(0)
	v_fmac_f32_e32 v47, v58, v51
	v_mov_b32_e32 v48, s13
	s_or_b64 s[10:11], vcc, s[10:11]
	v_fmac_f32_e32 v47, v53, v52
	s_andn2_b64 exec, exec, s[10:11]
	s_cbranch_execnz .LBB10_105
; %bb.106:
	s_or_b64 exec, exec, s[10:11]
.LBB10_107:
	s_or_b64 exec, exec, s[2:3]
	v_and_b32_e32 v49, 7, v49
	v_cmp_ne_u32_e32 vcc, 0, v49
	s_and_saveexec_b64 s[8:9], vcc
	s_cbranch_execz .LBB10_111
; %bb.108:
	v_lshl_add_u32 v50, v48, 2, 48
	v_mov_b32_e32 v51, 0
	s_mov_b64 s[10:11], 0
.LBB10_109:                             ; =>This Inner Loop Header: Depth=1
	v_cmp_eq_u32_e32 vcc, 1, v48
	v_cndmask_b32_e32 v52, v13, v14, vcc
	v_add_u32_e32 v49, -1, v49
	v_cmp_eq_u32_e32 vcc, 2, v48
	v_cndmask_b32_e32 v52, v52, v15, vcc
	v_cmp_eq_u32_e32 vcc, 0, v49
	v_cmp_eq_u32_e64 s[2:3], 3, v48
	v_cndmask_b32_e64 v52, v52, v16, s[2:3]
	s_or_b64 s[10:11], vcc, s[10:11]
	v_cmp_eq_u32_e32 vcc, 4, v48
	v_cndmask_b32_e32 v52, v52, v17, vcc
	v_cmp_eq_u32_e32 vcc, 5, v48
	v_cndmask_b32_e32 v52, v52, v18, vcc
	v_cmp_eq_u32_e32 vcc, 6, v48
	ds_read_b32 v53, v50
	v_cndmask_b32_e32 v52, v52, v19, vcc
	v_cmp_eq_u32_e32 vcc, 7, v48
	v_cndmask_b32_e32 v52, v52, v20, vcc
	v_cmp_eq_u32_e32 vcc, 8, v48
	v_cndmask_b32_e32 v52, v52, v21, vcc
	v_cmp_eq_u32_e32 vcc, 9, v48
	v_cndmask_b32_e32 v52, v52, v22, vcc
	v_cmp_eq_u32_e32 vcc, 10, v48
	v_add_co_u32_e64 v48, s[2:3], 1, v48
	v_cndmask_b32_e32 v52, v52, v23, vcc
	v_add_u32_e32 v50, 4, v50
	v_addc_co_u32_e64 v51, s[2:3], 0, v51, s[2:3]
	s_waitcnt lgkmcnt(0)
	v_fmac_f32_e32 v47, v52, v53
	s_andn2_b64 exec, exec, s[10:11]
	s_cbranch_execnz .LBB10_109
; %bb.110:
	s_or_b64 exec, exec, s[10:11]
.LBB10_111:
	s_or_b64 exec, exec, s[8:9]
.LBB10_112:
	s_or_b64 exec, exec, s[6:7]
	v_mov_b32_e32 v15, 0
	ds_read_b32 v15, v15 offset:8
	s_waitcnt lgkmcnt(0)
	v_mul_f32_e32 v15, v47, v15
.LBB10_113:
	s_or_b64 exec, exec, s[4:5]
	v_cmp_lt_u32_e64 s[2:3], 1, v0
	ds_write_b32 v46, v14
	s_waitcnt lgkmcnt(0)
	; wave barrier
	s_and_saveexec_b64 s[4:5], s[2:3]
	s_cbranch_execz .LBB10_129
; %bb.114:
	s_andn2_b64 vcc, exec, s[22:23]
	s_cbranch_vccnz .LBB10_116
; %bb.115:
	v_cmp_eq_u32_e32 vcc, 1, v0
	v_cndmask_b32_e32 v47, v13, v14, vcc
	v_cmp_eq_u32_e32 vcc, 2, v0
	v_cndmask_b32_e32 v47, v47, v15, vcc
	;; [unrolled: 2-line block ×6, first 2 shown]
	v_cmp_eq_u32_e32 vcc, 7, v0
	ds_read_b32 v48, v46
	v_cndmask_b32_e32 v47, v47, v20, vcc
	v_cmp_eq_u32_e32 vcc, 8, v0
	v_cndmask_b32_e32 v47, v47, v21, vcc
	v_cmp_eq_u32_e32 vcc, 9, v0
	;; [unrolled: 2-line block ×3, first 2 shown]
	v_cndmask_b32_e32 v47, v47, v23, vcc
	s_waitcnt lgkmcnt(0)
	v_mul_f32_e32 v47, v47, v48
	s_cbranch_execz .LBB10_117
	s_branch .LBB10_118
.LBB10_116:
                                        ; implicit-def: $vgpr47
.LBB10_117:
	ds_read_b32 v47, v46
.LBB10_118:
	s_and_saveexec_b64 s[6:7], s[0:1]
	s_cbranch_execz .LBB10_128
; %bb.119:
	v_add_u32_e32 v48, -3, v0
	v_add_u32_e32 v49, -2, v0
	v_cmp_lt_u32_e32 vcc, 6, v48
	v_mov_b32_e32 v48, 2
	s_and_saveexec_b64 s[0:1], vcc
	s_cbranch_execz .LBB10_123
; %bb.120:
	v_and_b32_e32 v48, -8, v49
	v_sub_u32_e32 v50, 0, v48
	s_mov_b64 s[8:9], 9
	s_mov_b32 s12, 56
	s_mov_b64 s[10:11], 0
.LBB10_121:                             ; =>This Inner Loop Header: Depth=1
	s_add_i32 s13, s8, -7
	v_mov_b32_e32 v48, s12
	s_add_i32 s14, s8, -6
	s_set_gpr_idx_on s13, gpr_idx(SRC0)
	v_mov_b32_e32 v59, v13
	s_set_gpr_idx_off
	ds_read2_b64 v[51:54], v48 offset1:1
	s_add_i32 s15, s8, -5
	s_set_gpr_idx_on s14, gpr_idx(SRC0)
	v_mov_b32_e32 v60, v13
	s_set_gpr_idx_off
	s_add_i32 s16, s8, -4
	s_set_gpr_idx_on s15, gpr_idx(SRC0)
	v_mov_b32_e32 v61, v13
	s_set_gpr_idx_off
	;; [unrolled: 4-line block ×4, first 2 shown]
	ds_read2_b64 v[55:58], v48 offset0:2 offset1:3
	s_add_i32 s19, s8, -1
	s_waitcnt lgkmcnt(1)
	v_fmac_f32_e32 v47, v59, v51
	s_set_gpr_idx_on s18, gpr_idx(SRC0)
	v_mov_b32_e32 v51, v13
	s_set_gpr_idx_off
	v_fmac_f32_e32 v47, v60, v52
	s_set_gpr_idx_on s19, gpr_idx(SRC0)
	v_mov_b32_e32 v52, v13
	s_set_gpr_idx_off
	;; [unrolled: 4-line block ×3, first 2 shown]
	v_fmac_f32_e32 v47, v62, v54
	s_add_u32 s8, s8, 8
	s_waitcnt lgkmcnt(0)
	v_fmac_f32_e32 v47, v63, v55
	v_add_u32_e32 v48, s8, v50
	v_fmac_f32_e32 v47, v51, v56
	s_addc_u32 s9, s9, 0
	s_add_i32 s12, s12, 32
	s_add_i32 s13, s8, -7
	v_cmp_eq_u32_e32 vcc, 9, v48
	v_fmac_f32_e32 v47, v52, v57
	v_mov_b32_e32 v48, s13
	s_or_b64 s[10:11], vcc, s[10:11]
	v_fmac_f32_e32 v47, v53, v58
	s_andn2_b64 exec, exec, s[10:11]
	s_cbranch_execnz .LBB10_121
; %bb.122:
	s_or_b64 exec, exec, s[10:11]
.LBB10_123:
	s_or_b64 exec, exec, s[0:1]
	v_and_b32_e32 v49, 7, v49
	v_cmp_ne_u32_e32 vcc, 0, v49
	s_and_saveexec_b64 s[8:9], vcc
	s_cbranch_execz .LBB10_127
; %bb.124:
	v_lshl_add_u32 v50, v48, 2, 48
	v_mov_b32_e32 v51, 0
	s_mov_b64 s[10:11], 0
.LBB10_125:                             ; =>This Inner Loop Header: Depth=1
	v_cmp_eq_u32_e32 vcc, 1, v48
	v_cndmask_b32_e32 v52, v13, v14, vcc
	v_add_u32_e32 v49, -1, v49
	v_cmp_eq_u32_e32 vcc, 2, v48
	v_cndmask_b32_e32 v52, v52, v15, vcc
	v_cmp_eq_u32_e32 vcc, 0, v49
	v_cmp_eq_u32_e64 s[0:1], 3, v48
	v_cndmask_b32_e64 v52, v52, v16, s[0:1]
	s_or_b64 s[10:11], vcc, s[10:11]
	v_cmp_eq_u32_e32 vcc, 4, v48
	v_cndmask_b32_e32 v52, v52, v17, vcc
	v_cmp_eq_u32_e32 vcc, 5, v48
	v_cndmask_b32_e32 v52, v52, v18, vcc
	v_cmp_eq_u32_e32 vcc, 6, v48
	ds_read_b32 v53, v50
	v_cndmask_b32_e32 v52, v52, v19, vcc
	v_cmp_eq_u32_e32 vcc, 7, v48
	v_cndmask_b32_e32 v52, v52, v20, vcc
	v_cmp_eq_u32_e32 vcc, 8, v48
	;; [unrolled: 2-line block ×4, first 2 shown]
	v_add_co_u32_e64 v48, s[0:1], 1, v48
	v_cndmask_b32_e32 v52, v52, v23, vcc
	v_add_u32_e32 v50, 4, v50
	v_addc_co_u32_e64 v51, s[0:1], 0, v51, s[0:1]
	s_waitcnt lgkmcnt(0)
	v_fmac_f32_e32 v47, v52, v53
	s_andn2_b64 exec, exec, s[10:11]
	s_cbranch_execnz .LBB10_125
; %bb.126:
	s_or_b64 exec, exec, s[10:11]
.LBB10_127:
	s_or_b64 exec, exec, s[8:9]
.LBB10_128:
	s_or_b64 exec, exec, s[6:7]
	v_mov_b32_e32 v14, 0
	ds_read_b32 v14, v14 offset:4
	s_waitcnt lgkmcnt(0)
	v_mul_f32_e32 v14, v47, v14
.LBB10_129:
	s_or_b64 exec, exec, s[4:5]
	v_cmp_ne_u32_e32 vcc, 0, v0
	ds_write_b32 v46, v13
	s_waitcnt lgkmcnt(0)
	; wave barrier
	s_and_saveexec_b64 s[4:5], vcc
	s_cbranch_execz .LBB10_145
; %bb.130:
	s_andn2_b64 vcc, exec, s[22:23]
	s_cbranch_vccnz .LBB10_132
; %bb.131:
	v_cmp_eq_u32_e32 vcc, 1, v0
	v_cndmask_b32_e32 v47, v13, v14, vcc
	v_cmp_eq_u32_e32 vcc, 2, v0
	v_cndmask_b32_e32 v47, v47, v15, vcc
	;; [unrolled: 2-line block ×6, first 2 shown]
	v_cmp_eq_u32_e32 vcc, 7, v0
	ds_read_b32 v48, v46
	v_cndmask_b32_e32 v47, v47, v20, vcc
	v_cmp_eq_u32_e32 vcc, 8, v0
	v_cndmask_b32_e32 v47, v47, v21, vcc
	v_cmp_eq_u32_e32 vcc, 9, v0
	;; [unrolled: 2-line block ×3, first 2 shown]
	v_cndmask_b32_e32 v47, v47, v23, vcc
	s_waitcnt lgkmcnt(0)
	v_mul_f32_e32 v47, v47, v48
	s_cbranch_execz .LBB10_133
	s_branch .LBB10_134
.LBB10_132:
                                        ; implicit-def: $vgpr47
.LBB10_133:
	ds_read_b32 v47, v46
.LBB10_134:
	s_and_saveexec_b64 s[6:7], s[2:3]
	s_cbranch_execz .LBB10_144
; %bb.135:
	v_add_u32_e32 v48, -2, v0
	v_add_u32_e32 v49, -1, v0
	v_cmp_lt_u32_e32 vcc, 6, v48
	v_mov_b32_e32 v48, 1
	s_and_saveexec_b64 s[0:1], vcc
	s_cbranch_execz .LBB10_139
; %bb.136:
	v_and_b32_e32 v48, -8, v49
	v_sub_u32_e32 v50, 0, v48
	s_mov_b64 s[2:3], 8
	s_mov_b32 s10, 52
	s_mov_b64 s[8:9], 0
.LBB10_137:                             ; =>This Inner Loop Header: Depth=1
	s_add_i32 s11, s2, -7
	v_mov_b32_e32 v48, s10
	s_add_i32 s12, s2, -6
	s_set_gpr_idx_on s11, gpr_idx(SRC0)
	v_mov_b32_e32 v57, v13
	s_set_gpr_idx_off
	ds_read2_b32 v[51:52], v48 offset1:1
	s_add_i32 s13, s2, -5
	s_set_gpr_idx_on s12, gpr_idx(SRC0)
	v_mov_b32_e32 v58, v13
	s_set_gpr_idx_off
	s_add_i32 s14, s2, -4
	s_set_gpr_idx_on s13, gpr_idx(SRC0)
	v_mov_b32_e32 v59, v13
	s_set_gpr_idx_off
	ds_read2_b32 v[53:54], v48 offset0:2 offset1:3
	s_add_i32 s15, s2, -3
	s_set_gpr_idx_on s14, gpr_idx(SRC0)
	v_mov_b32_e32 v60, v13
	s_set_gpr_idx_off
	s_add_i32 s16, s2, -2
	s_set_gpr_idx_on s15, gpr_idx(SRC0)
	v_mov_b32_e32 v61, v13
	s_set_gpr_idx_off
	ds_read2_b32 v[55:56], v48 offset0:4 offset1:5
	s_add_i32 s17, s2, -1
	s_waitcnt lgkmcnt(2)
	v_fmac_f32_e32 v47, v57, v51
	s_set_gpr_idx_on s16, gpr_idx(SRC0)
	v_mov_b32_e32 v57, v13
	s_set_gpr_idx_off
	v_fmac_f32_e32 v47, v58, v52
	s_set_gpr_idx_on s17, gpr_idx(SRC0)
	v_mov_b32_e32 v58, v13
	s_set_gpr_idx_off
	ds_read2_b32 v[51:52], v48 offset0:6 offset1:7
	s_waitcnt lgkmcnt(2)
	v_fmac_f32_e32 v47, v59, v53
	s_set_gpr_idx_on s2, gpr_idx(SRC0)
	v_mov_b32_e32 v53, v13
	s_set_gpr_idx_off
	v_fmac_f32_e32 v47, v60, v54
	s_add_u32 s2, s2, 8
	s_waitcnt lgkmcnt(1)
	v_fmac_f32_e32 v47, v61, v55
	v_add_u32_e32 v48, s2, v50
	v_fmac_f32_e32 v47, v57, v56
	s_addc_u32 s3, s3, 0
	s_add_i32 s10, s10, 32
	s_add_i32 s11, s2, -7
	v_cmp_eq_u32_e32 vcc, 8, v48
	s_waitcnt lgkmcnt(0)
	v_fmac_f32_e32 v47, v58, v51
	v_mov_b32_e32 v48, s11
	s_or_b64 s[8:9], vcc, s[8:9]
	v_fmac_f32_e32 v47, v53, v52
	s_andn2_b64 exec, exec, s[8:9]
	s_cbranch_execnz .LBB10_137
; %bb.138:
	s_or_b64 exec, exec, s[8:9]
.LBB10_139:
	s_or_b64 exec, exec, s[0:1]
	v_and_b32_e32 v49, 7, v49
	v_cmp_ne_u32_e32 vcc, 0, v49
	s_and_saveexec_b64 s[2:3], vcc
	s_cbranch_execz .LBB10_143
; %bb.140:
	v_lshl_add_u32 v50, v48, 2, 48
	v_mov_b32_e32 v51, 0
	s_mov_b64 s[8:9], 0
.LBB10_141:                             ; =>This Inner Loop Header: Depth=1
	v_cmp_eq_u32_e32 vcc, 1, v48
	v_cndmask_b32_e32 v52, v13, v14, vcc
	v_add_u32_e32 v49, -1, v49
	v_cmp_eq_u32_e32 vcc, 2, v48
	v_cndmask_b32_e32 v52, v52, v15, vcc
	v_cmp_eq_u32_e32 vcc, 0, v49
	v_cmp_eq_u32_e64 s[0:1], 3, v48
	v_cndmask_b32_e64 v52, v52, v16, s[0:1]
	s_or_b64 s[8:9], vcc, s[8:9]
	v_cmp_eq_u32_e32 vcc, 4, v48
	v_cndmask_b32_e32 v52, v52, v17, vcc
	v_cmp_eq_u32_e32 vcc, 5, v48
	v_cndmask_b32_e32 v52, v52, v18, vcc
	v_cmp_eq_u32_e32 vcc, 6, v48
	ds_read_b32 v53, v50
	v_cndmask_b32_e32 v52, v52, v19, vcc
	v_cmp_eq_u32_e32 vcc, 7, v48
	v_cndmask_b32_e32 v52, v52, v20, vcc
	v_cmp_eq_u32_e32 vcc, 8, v48
	;; [unrolled: 2-line block ×4, first 2 shown]
	v_add_co_u32_e64 v48, s[0:1], 1, v48
	v_cndmask_b32_e32 v52, v52, v23, vcc
	v_add_u32_e32 v50, 4, v50
	v_addc_co_u32_e64 v51, s[0:1], 0, v51, s[0:1]
	s_waitcnt lgkmcnt(0)
	v_fmac_f32_e32 v47, v52, v53
	s_andn2_b64 exec, exec, s[8:9]
	s_cbranch_execnz .LBB10_141
; %bb.142:
	s_or_b64 exec, exec, s[8:9]
.LBB10_143:
	s_or_b64 exec, exec, s[2:3]
.LBB10_144:
	s_or_b64 exec, exec, s[6:7]
	v_mov_b32_e32 v13, 0
	ds_read_b32 v13, v13
	s_waitcnt lgkmcnt(0)
	v_mul_f32_e32 v13, v47, v13
.LBB10_145:
	s_or_b64 exec, exec, s[4:5]
	s_branch .LBB10_249
.LBB10_146:
	v_cmp_eq_u32_e64 s[0:1], 0, v0
	s_waitcnt vmcnt(10)
	ds_write_b32 v46, v3
	s_waitcnt lgkmcnt(0)
	; wave barrier
	s_and_saveexec_b64 s[2:3], s[0:1]
	s_cbranch_execz .LBB10_152
; %bb.147:
	s_and_b64 vcc, exec, s[22:23]
	s_cbranch_vccz .LBB10_149
; %bb.148:
	v_cmp_eq_u32_e32 vcc, 1, v0
	s_waitcnt vmcnt(2)
	v_cndmask_b32_e32 v3, v2, v3, vcc
	v_cmp_eq_u32_e32 vcc, 2, v0
	v_cndmask_b32_e32 v3, v3, v4, vcc
	v_cmp_eq_u32_e32 vcc, 3, v0
	;; [unrolled: 2-line block ×6, first 2 shown]
	ds_read_b32 v13, v46
	v_cndmask_b32_e32 v3, v3, v9, vcc
	v_cmp_eq_u32_e32 vcc, 8, v0
	v_cndmask_b32_e32 v3, v3, v10, vcc
	v_cmp_eq_u32_e32 vcc, 9, v0
	s_waitcnt vmcnt(1)
	v_cndmask_b32_e32 v3, v3, v11, vcc
	v_cmp_eq_u32_e32 vcc, 10, v0
	s_waitcnt vmcnt(0)
	v_cndmask_b32_e32 v3, v3, v12, vcc
	s_waitcnt lgkmcnt(0)
	v_mul_f32_e32 v3, v3, v13
	s_cbranch_execz .LBB10_150
	s_branch .LBB10_151
.LBB10_149:
                                        ; implicit-def: $vgpr3
.LBB10_150:
	ds_read_b32 v3, v46
.LBB10_151:
	v_mov_b32_e32 v13, 0
	ds_read_b32 v13, v13 offset:4
	s_waitcnt lgkmcnt(0)
	v_mul_f32_e32 v3, v3, v13
.LBB10_152:
	s_or_b64 exec, exec, s[2:3]
	v_cndmask_b32_e64 v13, 0, 1, s[22:23]
	v_cmp_gt_u32_e32 vcc, 2, v0
	v_cmp_ne_u32_e64 s[2:3], 1, v13
	s_waitcnt vmcnt(9)
	ds_write_b32 v46, v4
	s_waitcnt lgkmcnt(0)
	; wave barrier
	s_and_saveexec_b64 s[4:5], vcc
	s_cbranch_execz .LBB10_158
; %bb.153:
	s_and_b64 vcc, exec, s[2:3]
	s_cbranch_vccnz .LBB10_155
; %bb.154:
	v_cmp_eq_u32_e32 vcc, 1, v0
	s_waitcnt vmcnt(2)
	v_cndmask_b32_e32 v13, v2, v3, vcc
	v_cmp_eq_u32_e32 vcc, 2, v0
	v_cndmask_b32_e32 v4, v13, v4, vcc
	v_cmp_eq_u32_e32 vcc, 3, v0
	;; [unrolled: 2-line block ×6, first 2 shown]
	ds_read_b32 v13, v46
	v_cndmask_b32_e32 v4, v4, v9, vcc
	v_cmp_eq_u32_e32 vcc, 8, v0
	v_cndmask_b32_e32 v4, v4, v10, vcc
	v_cmp_eq_u32_e32 vcc, 9, v0
	s_waitcnt vmcnt(1)
	v_cndmask_b32_e32 v4, v4, v11, vcc
	v_cmp_eq_u32_e32 vcc, 10, v0
	s_waitcnt vmcnt(0)
	v_cndmask_b32_e32 v4, v4, v12, vcc
	s_waitcnt lgkmcnt(0)
	v_mul_f32_e32 v4, v4, v13
	s_cbranch_execz .LBB10_156
	s_branch .LBB10_157
.LBB10_155:
                                        ; implicit-def: $vgpr4
.LBB10_156:
	ds_read_b32 v4, v46
.LBB10_157:
	v_mov_b32_e32 v13, 0
	ds_read2_b32 v[13:14], v13 offset0:2 offset1:13
	s_waitcnt lgkmcnt(0)
	v_fma_f32 v14, v3, v14, v4
	v_cndmask_b32_e64 v4, v4, v14, s[0:1]
	v_mul_f32_e32 v4, v4, v13
.LBB10_158:
	s_or_b64 exec, exec, s[4:5]
	v_add_u32_e32 v15, 1, v0
	v_cmp_gt_u32_e64 s[4:5], 3, v0
	s_waitcnt vmcnt(8)
	ds_write_b32 v46, v5
	s_waitcnt lgkmcnt(0)
	; wave barrier
	s_and_saveexec_b64 s[6:7], s[4:5]
	s_cbranch_execz .LBB10_166
; %bb.159:
	s_and_b64 vcc, exec, s[2:3]
	s_cbranch_vccnz .LBB10_161
; %bb.160:
	v_cmp_eq_u32_e32 vcc, 1, v0
	s_waitcnt vmcnt(2)
	v_cndmask_b32_e32 v13, v2, v3, vcc
	v_cmp_eq_u32_e32 vcc, 2, v0
	v_cndmask_b32_e32 v13, v13, v4, vcc
	v_cmp_eq_u32_e32 vcc, 3, v0
	;; [unrolled: 2-line block ×6, first 2 shown]
	ds_read_b32 v14, v46
	v_cndmask_b32_e32 v13, v13, v9, vcc
	v_cmp_eq_u32_e32 vcc, 8, v0
	v_cndmask_b32_e32 v13, v13, v10, vcc
	v_cmp_eq_u32_e32 vcc, 9, v0
	s_waitcnt vmcnt(1)
	v_cndmask_b32_e32 v13, v13, v11, vcc
	v_cmp_eq_u32_e32 vcc, 10, v0
	s_waitcnt vmcnt(0)
	v_cndmask_b32_e32 v13, v13, v12, vcc
	s_waitcnt lgkmcnt(0)
	v_mul_f32_e32 v13, v13, v14
	s_cbranch_execz .LBB10_162
	s_branch .LBB10_163
.LBB10_161:
                                        ; implicit-def: $vgpr13
.LBB10_162:
	ds_read_b32 v13, v46
.LBB10_163:
	v_cmp_ne_u32_e32 vcc, 2, v0
	s_and_saveexec_b64 s[8:9], vcc
	s_cbranch_execz .LBB10_165
; %bb.164:
	v_cmp_eq_u32_e32 vcc, 1, v15
	s_waitcnt vmcnt(2)
	v_cndmask_b32_e32 v14, v2, v3, vcc
	v_cmp_eq_u32_e32 vcc, 2, v15
	v_cndmask_b32_e32 v14, v14, v4, vcc
	v_cmp_eq_u32_e32 vcc, 3, v15
	v_cndmask_b32_e32 v5, v14, v5, vcc
	v_cmp_eq_u32_e32 vcc, 4, v15
	v_cndmask_b32_e32 v5, v5, v6, vcc
	v_cmp_eq_u32_e32 vcc, 5, v15
	v_cndmask_b32_e32 v5, v5, v7, vcc
	v_cmp_eq_u32_e32 vcc, 6, v15
	v_cndmask_b32_e32 v5, v5, v8, vcc
	v_cmp_eq_u32_e32 vcc, 7, v15
	v_mov_b32_e32 v14, 0
	v_cndmask_b32_e32 v5, v5, v9, vcc
	v_cmp_eq_u32_e32 vcc, 8, v15
	ds_read_b32 v16, v46 offset:4
	ds_read_b32 v14, v14 offset:56
	v_cndmask_b32_e32 v5, v5, v10, vcc
	v_cmp_eq_u32_e32 vcc, 9, v15
	s_waitcnt vmcnt(1)
	v_cndmask_b32_e32 v5, v5, v11, vcc
	v_cmp_eq_u32_e32 vcc, 10, v15
	s_waitcnt vmcnt(0)
	v_cndmask_b32_e32 v5, v5, v12, vcc
	s_waitcnt lgkmcnt(1)
	v_fmac_f32_e32 v13, v5, v16
	s_waitcnt lgkmcnt(0)
	v_fma_f32 v5, v4, v14, v13
	v_cndmask_b32_e64 v13, v13, v5, s[0:1]
.LBB10_165:
	s_or_b64 exec, exec, s[8:9]
	v_mov_b32_e32 v5, 0
	ds_read_b32 v5, v5 offset:12
	s_waitcnt lgkmcnt(0)
	v_mul_f32_e32 v5, v13, v5
.LBB10_166:
	s_or_b64 exec, exec, s[6:7]
	v_cmp_gt_u32_e32 vcc, 4, v0
	s_waitcnt vmcnt(7)
	ds_write_b32 v46, v6
	s_waitcnt lgkmcnt(0)
	; wave barrier
	s_and_saveexec_b64 s[8:9], vcc
	s_cbranch_execz .LBB10_176
; %bb.167:
	s_and_b64 vcc, exec, s[2:3]
	s_cbranch_vccnz .LBB10_169
; %bb.168:
	v_cmp_eq_u32_e32 vcc, 1, v0
	s_waitcnt vmcnt(2)
	v_cndmask_b32_e32 v13, v2, v3, vcc
	v_cmp_eq_u32_e32 vcc, 2, v0
	v_cndmask_b32_e32 v13, v13, v4, vcc
	v_cmp_eq_u32_e32 vcc, 3, v0
	v_cndmask_b32_e32 v13, v13, v5, vcc
	v_cmp_eq_u32_e32 vcc, 4, v0
	v_cndmask_b32_e32 v13, v13, v6, vcc
	v_cmp_eq_u32_e32 vcc, 5, v0
	v_cndmask_b32_e32 v13, v13, v7, vcc
	v_cmp_eq_u32_e32 vcc, 6, v0
	v_cndmask_b32_e32 v13, v13, v8, vcc
	v_cmp_eq_u32_e32 vcc, 7, v0
	ds_read_b32 v14, v46
	v_cndmask_b32_e32 v13, v13, v9, vcc
	v_cmp_eq_u32_e32 vcc, 8, v0
	v_cndmask_b32_e32 v13, v13, v10, vcc
	v_cmp_eq_u32_e32 vcc, 9, v0
	s_waitcnt vmcnt(1)
	v_cndmask_b32_e32 v13, v13, v11, vcc
	v_cmp_eq_u32_e32 vcc, 10, v0
	s_waitcnt vmcnt(0)
	v_cndmask_b32_e32 v13, v13, v12, vcc
	s_waitcnt lgkmcnt(0)
	v_mul_f32_e32 v16, v13, v14
	s_cbranch_execz .LBB10_170
	s_branch .LBB10_171
.LBB10_169:
                                        ; implicit-def: $vgpr16
.LBB10_170:
	ds_read_b32 v16, v46
.LBB10_171:
	v_cmp_ne_u32_e32 vcc, 3, v0
	s_and_saveexec_b64 s[10:11], vcc
	s_cbranch_execz .LBB10_175
; %bb.172:
	v_mov_b32_e32 v14, v1
	v_lshl_add_u32 v17, v0, 2, 52
	s_mov_b64 s[12:13], 0
	v_mov_b32_e32 v13, v0
.LBB10_173:                             ; =>This Inner Loop Header: Depth=1
	v_add_co_u32_e32 v13, vcc, 1, v13
	v_addc_co_u32_e32 v14, vcc, 0, v14, vcc
	v_cmp_eq_u32_e32 vcc, 1, v13
	s_waitcnt vmcnt(2)
	v_cndmask_b32_e32 v19, v2, v3, vcc
	v_cmp_lt_u32_e32 vcc, 2, v13
	v_cmp_eq_u32_e64 s[6:7], 2, v13
	v_cndmask_b32_e64 v19, v19, v4, s[6:7]
	s_or_b64 s[12:13], vcc, s[12:13]
	v_cmp_eq_u32_e32 vcc, 3, v13
	v_cndmask_b32_e32 v19, v19, v5, vcc
	v_cmp_eq_u32_e32 vcc, 4, v13
	v_cndmask_b32_e32 v19, v19, v6, vcc
	;; [unrolled: 2-line block ×3, first 2 shown]
	v_cmp_eq_u32_e32 vcc, 6, v13
	ds_read_b32 v18, v17
	v_cndmask_b32_e32 v19, v19, v8, vcc
	v_cmp_eq_u32_e32 vcc, 7, v13
	v_cndmask_b32_e32 v19, v19, v9, vcc
	v_cmp_eq_u32_e32 vcc, 8, v13
	;; [unrolled: 2-line block ×3, first 2 shown]
	s_waitcnt vmcnt(1)
	v_cndmask_b32_e32 v19, v19, v11, vcc
	v_cmp_eq_u32_e32 vcc, 10, v13
	s_waitcnt vmcnt(0)
	v_cndmask_b32_e32 v19, v19, v12, vcc
	v_add_u32_e32 v17, 4, v17
	s_waitcnt lgkmcnt(0)
	v_fmac_f32_e32 v16, v19, v18
	s_andn2_b64 exec, exec, s[12:13]
	s_cbranch_execnz .LBB10_173
; %bb.174:
	s_or_b64 exec, exec, s[12:13]
.LBB10_175:
	s_or_b64 exec, exec, s[10:11]
	v_mov_b32_e32 v6, 0
	ds_read_b32 v6, v6 offset:16
	s_waitcnt lgkmcnt(0)
	v_mul_f32_e32 v6, v16, v6
.LBB10_176:
	s_or_b64 exec, exec, s[8:9]
	v_cmp_gt_u32_e64 s[6:7], 5, v0
	s_waitcnt vmcnt(6)
	ds_write_b32 v46, v7
	s_waitcnt lgkmcnt(0)
	; wave barrier
	s_and_saveexec_b64 s[10:11], s[6:7]
	s_cbranch_execz .LBB10_186
; %bb.177:
	s_and_b64 vcc, exec, s[2:3]
	s_cbranch_vccnz .LBB10_179
; %bb.178:
	v_cmp_eq_u32_e32 vcc, 1, v0
	s_waitcnt vmcnt(2)
	v_cndmask_b32_e32 v13, v2, v3, vcc
	v_cmp_eq_u32_e32 vcc, 2, v0
	v_cndmask_b32_e32 v13, v13, v4, vcc
	v_cmp_eq_u32_e32 vcc, 3, v0
	;; [unrolled: 2-line block ×6, first 2 shown]
	ds_read_b32 v14, v46
	v_cndmask_b32_e32 v13, v13, v9, vcc
	v_cmp_eq_u32_e32 vcc, 8, v0
	v_cndmask_b32_e32 v13, v13, v10, vcc
	v_cmp_eq_u32_e32 vcc, 9, v0
	s_waitcnt vmcnt(1)
	v_cndmask_b32_e32 v13, v13, v11, vcc
	v_cmp_eq_u32_e32 vcc, 10, v0
	s_waitcnt vmcnt(0)
	v_cndmask_b32_e32 v13, v13, v12, vcc
	s_waitcnt lgkmcnt(0)
	v_mul_f32_e32 v16, v13, v14
	s_cbranch_execz .LBB10_180
	s_branch .LBB10_181
.LBB10_179:
                                        ; implicit-def: $vgpr16
.LBB10_180:
	ds_read_b32 v16, v46
.LBB10_181:
	v_cmp_ne_u32_e32 vcc, 4, v0
	s_and_saveexec_b64 s[12:13], vcc
	s_cbranch_execz .LBB10_185
; %bb.182:
	v_mov_b32_e32 v14, v1
	v_lshl_add_u32 v17, v0, 2, 52
	s_mov_b64 s[14:15], 0
	v_mov_b32_e32 v13, v0
.LBB10_183:                             ; =>This Inner Loop Header: Depth=1
	v_add_co_u32_e32 v13, vcc, 1, v13
	v_addc_co_u32_e32 v14, vcc, 0, v14, vcc
	v_cmp_eq_u32_e32 vcc, 1, v13
	s_waitcnt vmcnt(2)
	v_cndmask_b32_e32 v19, v2, v3, vcc
	v_cmp_lt_u32_e32 vcc, 3, v13
	v_cmp_eq_u32_e64 s[8:9], 2, v13
	v_cndmask_b32_e64 v19, v19, v4, s[8:9]
	s_or_b64 s[14:15], vcc, s[14:15]
	v_cmp_eq_u32_e32 vcc, 3, v13
	v_cndmask_b32_e32 v19, v19, v5, vcc
	v_cmp_eq_u32_e32 vcc, 4, v13
	v_cndmask_b32_e32 v19, v19, v6, vcc
	;; [unrolled: 2-line block ×3, first 2 shown]
	v_cmp_eq_u32_e32 vcc, 6, v13
	ds_read_b32 v18, v17
	v_cndmask_b32_e32 v19, v19, v8, vcc
	v_cmp_eq_u32_e32 vcc, 7, v13
	v_cndmask_b32_e32 v19, v19, v9, vcc
	v_cmp_eq_u32_e32 vcc, 8, v13
	;; [unrolled: 2-line block ×3, first 2 shown]
	s_waitcnt vmcnt(1)
	v_cndmask_b32_e32 v19, v19, v11, vcc
	v_cmp_eq_u32_e32 vcc, 10, v13
	s_waitcnt vmcnt(0)
	v_cndmask_b32_e32 v19, v19, v12, vcc
	v_add_u32_e32 v17, 4, v17
	s_waitcnt lgkmcnt(0)
	v_fmac_f32_e32 v16, v19, v18
	s_andn2_b64 exec, exec, s[14:15]
	s_cbranch_execnz .LBB10_183
; %bb.184:
	s_or_b64 exec, exec, s[14:15]
.LBB10_185:
	s_or_b64 exec, exec, s[12:13]
	v_mov_b32_e32 v7, 0
	ds_read_b32 v7, v7 offset:20
	s_waitcnt lgkmcnt(0)
	v_mul_f32_e32 v7, v16, v7
.LBB10_186:
	s_or_b64 exec, exec, s[10:11]
	v_cmp_gt_u32_e32 vcc, 6, v0
	s_waitcnt vmcnt(5)
	ds_write_b32 v46, v8
	s_waitcnt lgkmcnt(0)
	; wave barrier
	s_and_saveexec_b64 s[10:11], vcc
	s_cbranch_execz .LBB10_196
; %bb.187:
	s_and_b64 vcc, exec, s[2:3]
	s_cbranch_vccnz .LBB10_189
; %bb.188:
	v_cmp_eq_u32_e32 vcc, 1, v0
	s_waitcnt vmcnt(2)
	v_cndmask_b32_e32 v13, v2, v3, vcc
	v_cmp_eq_u32_e32 vcc, 2, v0
	v_cndmask_b32_e32 v13, v13, v4, vcc
	v_cmp_eq_u32_e32 vcc, 3, v0
	v_cndmask_b32_e32 v13, v13, v5, vcc
	v_cmp_eq_u32_e32 vcc, 4, v0
	v_cndmask_b32_e32 v13, v13, v6, vcc
	v_cmp_eq_u32_e32 vcc, 5, v0
	v_cndmask_b32_e32 v13, v13, v7, vcc
	v_cmp_eq_u32_e32 vcc, 6, v0
	v_cndmask_b32_e32 v13, v13, v8, vcc
	v_cmp_eq_u32_e32 vcc, 7, v0
	ds_read_b32 v14, v46
	v_cndmask_b32_e32 v13, v13, v9, vcc
	v_cmp_eq_u32_e32 vcc, 8, v0
	v_cndmask_b32_e32 v13, v13, v10, vcc
	v_cmp_eq_u32_e32 vcc, 9, v0
	s_waitcnt vmcnt(1)
	v_cndmask_b32_e32 v13, v13, v11, vcc
	v_cmp_eq_u32_e32 vcc, 10, v0
	s_waitcnt vmcnt(0)
	v_cndmask_b32_e32 v13, v13, v12, vcc
	s_waitcnt lgkmcnt(0)
	v_mul_f32_e32 v16, v13, v14
	s_cbranch_execz .LBB10_190
	s_branch .LBB10_191
.LBB10_189:
                                        ; implicit-def: $vgpr16
.LBB10_190:
	ds_read_b32 v16, v46
.LBB10_191:
	v_cmp_ne_u32_e32 vcc, 5, v0
	s_and_saveexec_b64 s[12:13], vcc
	s_cbranch_execz .LBB10_195
; %bb.192:
	v_mov_b32_e32 v14, v1
	v_lshl_add_u32 v17, v0, 2, 52
	s_mov_b64 s[14:15], 0
	v_mov_b32_e32 v13, v0
.LBB10_193:                             ; =>This Inner Loop Header: Depth=1
	v_add_co_u32_e32 v13, vcc, 1, v13
	v_addc_co_u32_e32 v14, vcc, 0, v14, vcc
	v_cmp_eq_u32_e32 vcc, 1, v13
	s_waitcnt vmcnt(2)
	v_cndmask_b32_e32 v19, v2, v3, vcc
	v_cmp_lt_u32_e32 vcc, 4, v13
	v_cmp_eq_u32_e64 s[8:9], 2, v13
	v_cndmask_b32_e64 v19, v19, v4, s[8:9]
	s_or_b64 s[14:15], vcc, s[14:15]
	v_cmp_eq_u32_e32 vcc, 3, v13
	v_cndmask_b32_e32 v19, v19, v5, vcc
	v_cmp_eq_u32_e32 vcc, 4, v13
	v_cndmask_b32_e32 v19, v19, v6, vcc
	;; [unrolled: 2-line block ×3, first 2 shown]
	v_cmp_eq_u32_e32 vcc, 6, v13
	ds_read_b32 v18, v17
	v_cndmask_b32_e32 v19, v19, v8, vcc
	v_cmp_eq_u32_e32 vcc, 7, v13
	v_cndmask_b32_e32 v19, v19, v9, vcc
	v_cmp_eq_u32_e32 vcc, 8, v13
	;; [unrolled: 2-line block ×3, first 2 shown]
	s_waitcnt vmcnt(1)
	v_cndmask_b32_e32 v19, v19, v11, vcc
	v_cmp_eq_u32_e32 vcc, 10, v13
	s_waitcnt vmcnt(0)
	v_cndmask_b32_e32 v19, v19, v12, vcc
	v_add_u32_e32 v17, 4, v17
	s_waitcnt lgkmcnt(0)
	v_fmac_f32_e32 v16, v19, v18
	s_andn2_b64 exec, exec, s[14:15]
	s_cbranch_execnz .LBB10_193
; %bb.194:
	s_or_b64 exec, exec, s[14:15]
.LBB10_195:
	s_or_b64 exec, exec, s[12:13]
	v_mov_b32_e32 v8, 0
	ds_read_b32 v8, v8 offset:24
	s_waitcnt lgkmcnt(0)
	v_mul_f32_e32 v8, v16, v8
.LBB10_196:
	s_or_b64 exec, exec, s[10:11]
	v_cmp_gt_u32_e64 s[10:11], 7, v0
	s_waitcnt vmcnt(4)
	ds_write_b32 v46, v9
	s_waitcnt lgkmcnt(0)
	; wave barrier
	s_and_saveexec_b64 s[12:13], s[10:11]
	s_cbranch_execz .LBB10_206
; %bb.197:
	s_and_b64 vcc, exec, s[2:3]
	s_cbranch_vccnz .LBB10_199
; %bb.198:
	v_cmp_eq_u32_e32 vcc, 1, v0
	s_waitcnt vmcnt(2)
	v_cndmask_b32_e32 v13, v2, v3, vcc
	v_cmp_eq_u32_e32 vcc, 2, v0
	v_cndmask_b32_e32 v13, v13, v4, vcc
	v_cmp_eq_u32_e32 vcc, 3, v0
	;; [unrolled: 2-line block ×6, first 2 shown]
	ds_read_b32 v14, v46
	v_cndmask_b32_e32 v13, v13, v9, vcc
	v_cmp_eq_u32_e32 vcc, 8, v0
	v_cndmask_b32_e32 v13, v13, v10, vcc
	v_cmp_eq_u32_e32 vcc, 9, v0
	s_waitcnt vmcnt(1)
	v_cndmask_b32_e32 v13, v13, v11, vcc
	v_cmp_eq_u32_e32 vcc, 10, v0
	s_waitcnt vmcnt(0)
	v_cndmask_b32_e32 v13, v13, v12, vcc
	s_waitcnt lgkmcnt(0)
	v_mul_f32_e32 v16, v13, v14
	s_cbranch_execz .LBB10_200
	s_branch .LBB10_201
.LBB10_199:
                                        ; implicit-def: $vgpr16
.LBB10_200:
	ds_read_b32 v16, v46
.LBB10_201:
	v_cmp_ne_u32_e32 vcc, 6, v0
	s_and_saveexec_b64 s[14:15], vcc
	s_cbranch_execz .LBB10_205
; %bb.202:
	v_mov_b32_e32 v14, v1
	v_lshl_add_u32 v17, v0, 2, 52
	s_mov_b64 s[16:17], 0
	v_mov_b32_e32 v13, v0
.LBB10_203:                             ; =>This Inner Loop Header: Depth=1
	v_add_co_u32_e32 v13, vcc, 1, v13
	v_addc_co_u32_e32 v14, vcc, 0, v14, vcc
	v_cmp_eq_u32_e32 vcc, 1, v13
	s_waitcnt vmcnt(2)
	v_cndmask_b32_e32 v19, v2, v3, vcc
	v_cmp_lt_u32_e32 vcc, 5, v13
	v_cmp_eq_u32_e64 s[8:9], 2, v13
	v_cndmask_b32_e64 v19, v19, v4, s[8:9]
	s_or_b64 s[16:17], vcc, s[16:17]
	v_cmp_eq_u32_e32 vcc, 3, v13
	v_cndmask_b32_e32 v19, v19, v5, vcc
	v_cmp_eq_u32_e32 vcc, 4, v13
	v_cndmask_b32_e32 v19, v19, v6, vcc
	;; [unrolled: 2-line block ×3, first 2 shown]
	v_cmp_eq_u32_e32 vcc, 6, v13
	ds_read_b32 v18, v17
	v_cndmask_b32_e32 v19, v19, v8, vcc
	v_cmp_eq_u32_e32 vcc, 7, v13
	v_cndmask_b32_e32 v19, v19, v9, vcc
	v_cmp_eq_u32_e32 vcc, 8, v13
	;; [unrolled: 2-line block ×3, first 2 shown]
	s_waitcnt vmcnt(1)
	v_cndmask_b32_e32 v19, v19, v11, vcc
	v_cmp_eq_u32_e32 vcc, 10, v13
	s_waitcnt vmcnt(0)
	v_cndmask_b32_e32 v19, v19, v12, vcc
	v_add_u32_e32 v17, 4, v17
	s_waitcnt lgkmcnt(0)
	v_fmac_f32_e32 v16, v19, v18
	s_andn2_b64 exec, exec, s[16:17]
	s_cbranch_execnz .LBB10_203
; %bb.204:
	s_or_b64 exec, exec, s[16:17]
.LBB10_205:
	s_or_b64 exec, exec, s[14:15]
	v_mov_b32_e32 v9, 0
	ds_read_b32 v9, v9 offset:28
	s_waitcnt lgkmcnt(0)
	v_mul_f32_e32 v9, v16, v9
.LBB10_206:
	s_or_b64 exec, exec, s[12:13]
	v_cmp_gt_u32_e32 vcc, 8, v0
	s_waitcnt vmcnt(3)
	ds_write_b32 v46, v10
	s_waitcnt lgkmcnt(0)
	; wave barrier
	s_and_saveexec_b64 s[12:13], vcc
	s_cbranch_execz .LBB10_216
; %bb.207:
	s_and_b64 vcc, exec, s[2:3]
	s_cbranch_vccnz .LBB10_209
; %bb.208:
	v_cmp_eq_u32_e32 vcc, 1, v0
	s_waitcnt vmcnt(2)
	v_cndmask_b32_e32 v13, v2, v3, vcc
	v_cmp_eq_u32_e32 vcc, 2, v0
	v_cndmask_b32_e32 v13, v13, v4, vcc
	v_cmp_eq_u32_e32 vcc, 3, v0
	;; [unrolled: 2-line block ×6, first 2 shown]
	ds_read_b32 v14, v46
	v_cndmask_b32_e32 v13, v13, v9, vcc
	v_cmp_eq_u32_e32 vcc, 8, v0
	v_cndmask_b32_e32 v13, v13, v10, vcc
	v_cmp_eq_u32_e32 vcc, 9, v0
	s_waitcnt vmcnt(1)
	v_cndmask_b32_e32 v13, v13, v11, vcc
	v_cmp_eq_u32_e32 vcc, 10, v0
	s_waitcnt vmcnt(0)
	v_cndmask_b32_e32 v13, v13, v12, vcc
	s_waitcnt lgkmcnt(0)
	v_mul_f32_e32 v16, v13, v14
	s_cbranch_execz .LBB10_210
	s_branch .LBB10_211
.LBB10_209:
                                        ; implicit-def: $vgpr16
.LBB10_210:
	ds_read_b32 v16, v46
.LBB10_211:
	v_cmp_ne_u32_e32 vcc, 7, v0
	s_and_saveexec_b64 s[14:15], vcc
	s_cbranch_execz .LBB10_215
; %bb.212:
	v_mov_b32_e32 v14, v1
	v_lshl_add_u32 v17, v0, 2, 52
	s_mov_b64 s[16:17], 0
	v_mov_b32_e32 v13, v0
.LBB10_213:                             ; =>This Inner Loop Header: Depth=1
	v_add_co_u32_e32 v13, vcc, 1, v13
	v_addc_co_u32_e32 v14, vcc, 0, v14, vcc
	v_cmp_eq_u32_e32 vcc, 1, v13
	s_waitcnt vmcnt(2)
	v_cndmask_b32_e32 v19, v2, v3, vcc
	v_cmp_lt_u32_e32 vcc, 6, v13
	v_cmp_eq_u32_e64 s[8:9], 2, v13
	v_cndmask_b32_e64 v19, v19, v4, s[8:9]
	s_or_b64 s[16:17], vcc, s[16:17]
	v_cmp_eq_u32_e32 vcc, 3, v13
	v_cndmask_b32_e32 v19, v19, v5, vcc
	v_cmp_eq_u32_e32 vcc, 4, v13
	v_cndmask_b32_e32 v19, v19, v6, vcc
	;; [unrolled: 2-line block ×3, first 2 shown]
	v_cmp_eq_u32_e32 vcc, 6, v13
	ds_read_b32 v18, v17
	v_cndmask_b32_e32 v19, v19, v8, vcc
	v_cmp_eq_u32_e32 vcc, 7, v13
	v_cndmask_b32_e32 v19, v19, v9, vcc
	v_cmp_eq_u32_e32 vcc, 8, v13
	v_cndmask_b32_e32 v19, v19, v10, vcc
	v_cmp_eq_u32_e32 vcc, 9, v13
	s_waitcnt vmcnt(1)
	v_cndmask_b32_e32 v19, v19, v11, vcc
	v_cmp_eq_u32_e32 vcc, 10, v13
	s_waitcnt vmcnt(0)
	v_cndmask_b32_e32 v19, v19, v12, vcc
	v_add_u32_e32 v17, 4, v17
	s_waitcnt lgkmcnt(0)
	v_fmac_f32_e32 v16, v19, v18
	s_andn2_b64 exec, exec, s[16:17]
	s_cbranch_execnz .LBB10_213
; %bb.214:
	s_or_b64 exec, exec, s[16:17]
.LBB10_215:
	s_or_b64 exec, exec, s[14:15]
	v_mov_b32_e32 v10, 0
	ds_read_b32 v10, v10 offset:32
	s_waitcnt lgkmcnt(0)
	v_mul_f32_e32 v10, v16, v10
.LBB10_216:
	s_or_b64 exec, exec, s[12:13]
	v_cmp_gt_u32_e64 s[8:9], 9, v0
	s_waitcnt vmcnt(1)
	ds_write_b32 v46, v11
	s_waitcnt lgkmcnt(0)
	; wave barrier
	s_and_saveexec_b64 s[12:13], s[8:9]
	s_cbranch_execz .LBB10_238
; %bb.217:
	s_and_b64 vcc, exec, s[2:3]
	s_cbranch_vccnz .LBB10_219
; %bb.218:
	v_cmp_eq_u32_e32 vcc, 1, v0
	v_cndmask_b32_e32 v13, v2, v3, vcc
	v_cmp_eq_u32_e32 vcc, 2, v0
	v_cndmask_b32_e32 v13, v13, v4, vcc
	;; [unrolled: 2-line block ×6, first 2 shown]
	v_cmp_eq_u32_e32 vcc, 7, v0
	ds_read_b32 v14, v46
	v_cndmask_b32_e32 v13, v13, v9, vcc
	v_cmp_eq_u32_e32 vcc, 8, v0
	v_cndmask_b32_e32 v13, v13, v10, vcc
	v_cmp_eq_u32_e32 vcc, 9, v0
	;; [unrolled: 2-line block ×3, first 2 shown]
	s_waitcnt vmcnt(0)
	v_cndmask_b32_e32 v13, v13, v12, vcc
	s_waitcnt lgkmcnt(0)
	v_mul_f32_e32 v13, v13, v14
	s_cbranch_execz .LBB10_220
	s_branch .LBB10_221
.LBB10_219:
                                        ; implicit-def: $vgpr13
.LBB10_220:
	ds_read_b32 v13, v46
.LBB10_221:
	v_cmp_ne_u32_e32 vcc, 8, v0
	s_and_saveexec_b64 s[14:15], vcc
	s_cbranch_execz .LBB10_237
; %bb.222:
	v_cmp_eq_u32_e32 vcc, 1, v15
	v_cndmask_b32_e32 v14, v2, v3, vcc
	v_cmp_eq_u32_e32 vcc, 2, v15
	v_cndmask_b32_e32 v14, v14, v4, vcc
	;; [unrolled: 2-line block ×6, first 2 shown]
	v_cmp_eq_u32_e32 vcc, 7, v15
	ds_read_b32 v16, v46 offset:4
	v_cndmask_b32_e32 v14, v14, v9, vcc
	v_cmp_eq_u32_e32 vcc, 8, v15
	v_cndmask_b32_e32 v14, v14, v10, vcc
	v_cmp_eq_u32_e32 vcc, 9, v15
	;; [unrolled: 2-line block ×3, first 2 shown]
	s_waitcnt vmcnt(0)
	v_cndmask_b32_e32 v14, v14, v12, vcc
	s_waitcnt lgkmcnt(0)
	v_fmac_f32_e32 v13, v14, v16
	s_and_saveexec_b64 s[16:17], s[10:11]
	s_cbranch_execz .LBB10_236
; %bb.223:
	v_add_u32_e32 v14, 2, v0
	v_cmp_eq_u32_e32 vcc, 1, v14
	v_cndmask_b32_e32 v15, v2, v3, vcc
	v_cmp_eq_u32_e32 vcc, 2, v14
	v_cndmask_b32_e32 v15, v15, v4, vcc
	v_cmp_eq_u32_e32 vcc, 3, v14
	v_cndmask_b32_e32 v15, v15, v5, vcc
	v_cmp_eq_u32_e32 vcc, 4, v14
	v_cndmask_b32_e32 v15, v15, v6, vcc
	v_cmp_eq_u32_e32 vcc, 5, v14
	v_cndmask_b32_e32 v15, v15, v7, vcc
	v_cmp_eq_u32_e32 vcc, 6, v14
	v_cndmask_b32_e32 v15, v15, v8, vcc
	v_cmp_eq_u32_e32 vcc, 7, v14
	ds_read_b32 v16, v46 offset:8
	v_cndmask_b32_e32 v15, v15, v9, vcc
	v_cmp_eq_u32_e32 vcc, 8, v14
	v_cndmask_b32_e32 v15, v15, v10, vcc
	v_cmp_eq_u32_e32 vcc, 9, v14
	v_cndmask_b32_e32 v15, v15, v11, vcc
	v_cmp_eq_u32_e32 vcc, 10, v14
	v_cndmask_b32_e32 v14, v15, v12, vcc
	s_waitcnt lgkmcnt(0)
	v_fmac_f32_e32 v13, v14, v16
	v_cmp_ne_u32_e32 vcc, 6, v0
	s_and_saveexec_b64 s[10:11], vcc
	s_cbranch_execz .LBB10_235
; %bb.224:
	v_add_u32_e32 v14, 3, v0
	v_cmp_eq_u32_e32 vcc, 1, v14
	v_cndmask_b32_e32 v15, v2, v3, vcc
	v_cmp_eq_u32_e32 vcc, 2, v14
	v_cndmask_b32_e32 v15, v15, v4, vcc
	v_cmp_eq_u32_e32 vcc, 3, v14
	v_cndmask_b32_e32 v15, v15, v5, vcc
	v_cmp_eq_u32_e32 vcc, 4, v14
	v_cndmask_b32_e32 v15, v15, v6, vcc
	v_cmp_eq_u32_e32 vcc, 5, v14
	v_cndmask_b32_e32 v15, v15, v7, vcc
	v_cmp_eq_u32_e32 vcc, 6, v14
	v_cndmask_b32_e32 v15, v15, v8, vcc
	v_cmp_eq_u32_e32 vcc, 7, v14
	ds_read_b32 v16, v46 offset:12
	v_cndmask_b32_e32 v15, v15, v9, vcc
	v_cmp_eq_u32_e32 vcc, 8, v14
	v_cndmask_b32_e32 v15, v15, v10, vcc
	v_cmp_eq_u32_e32 vcc, 9, v14
	v_cndmask_b32_e32 v15, v15, v11, vcc
	v_cmp_eq_u32_e32 vcc, 10, v14
	v_cndmask_b32_e32 v14, v15, v12, vcc
	s_waitcnt lgkmcnt(0)
	v_fmac_f32_e32 v13, v14, v16
	s_and_saveexec_b64 s[18:19], s[6:7]
	s_cbranch_execz .LBB10_234
; %bb.225:
	v_add_u32_e32 v14, 4, v0
	v_cmp_eq_u32_e32 vcc, 1, v14
	v_cndmask_b32_e32 v15, v2, v3, vcc
	v_cmp_eq_u32_e32 vcc, 2, v14
	v_cndmask_b32_e32 v15, v15, v4, vcc
	v_cmp_eq_u32_e32 vcc, 3, v14
	v_cndmask_b32_e32 v15, v15, v5, vcc
	v_cmp_eq_u32_e32 vcc, 4, v14
	v_cndmask_b32_e32 v15, v15, v6, vcc
	v_cmp_eq_u32_e32 vcc, 5, v14
	v_cndmask_b32_e32 v15, v15, v7, vcc
	v_cmp_eq_u32_e32 vcc, 6, v14
	v_cndmask_b32_e32 v15, v15, v8, vcc
	v_cmp_eq_u32_e32 vcc, 7, v14
	ds_read_b32 v16, v46 offset:16
	v_cndmask_b32_e32 v15, v15, v9, vcc
	v_cmp_eq_u32_e32 vcc, 8, v14
	v_cndmask_b32_e32 v15, v15, v10, vcc
	v_cmp_eq_u32_e32 vcc, 9, v14
	v_cndmask_b32_e32 v15, v15, v11, vcc
	v_cmp_eq_u32_e32 vcc, 10, v14
	v_cndmask_b32_e32 v14, v15, v12, vcc
	s_waitcnt lgkmcnt(0)
	v_fmac_f32_e32 v13, v14, v16
	v_cmp_ne_u32_e32 vcc, 4, v0
	s_and_saveexec_b64 s[6:7], vcc
	s_cbranch_execz .LBB10_233
; %bb.226:
	v_add_u32_e32 v14, 5, v0
	v_cmp_eq_u32_e32 vcc, 1, v14
	v_cndmask_b32_e32 v15, v2, v3, vcc
	v_cmp_eq_u32_e32 vcc, 2, v14
	v_cndmask_b32_e32 v15, v15, v4, vcc
	v_cmp_eq_u32_e32 vcc, 3, v14
	v_cndmask_b32_e32 v15, v15, v5, vcc
	v_cmp_eq_u32_e32 vcc, 4, v14
	v_cndmask_b32_e32 v15, v15, v6, vcc
	v_cmp_eq_u32_e32 vcc, 5, v14
	v_cndmask_b32_e32 v15, v15, v7, vcc
	v_cmp_eq_u32_e32 vcc, 6, v14
	v_cndmask_b32_e32 v15, v15, v8, vcc
	v_cmp_eq_u32_e32 vcc, 7, v14
	ds_read_b32 v16, v46 offset:20
	v_cndmask_b32_e32 v15, v15, v9, vcc
	v_cmp_eq_u32_e32 vcc, 8, v14
	v_cndmask_b32_e32 v15, v15, v10, vcc
	v_cmp_eq_u32_e32 vcc, 9, v14
	v_cndmask_b32_e32 v15, v15, v11, vcc
	v_cmp_eq_u32_e32 vcc, 10, v14
	;; [unrolled: 55-line block ×3, first 2 shown]
	v_cndmask_b32_e32 v11, v11, v12, vcc
	s_waitcnt lgkmcnt(0)
	v_fmac_f32_e32 v13, v11, v16
	s_and_saveexec_b64 s[22:23], s[0:1]
	s_cbranch_execz .LBB10_230
; %bb.229:
	ds_read_b32 v11, v46 offset:32
	s_waitcnt lgkmcnt(0)
	v_fmac_f32_e32 v13, v10, v11
.LBB10_230:
	s_or_b64 exec, exec, s[22:23]
.LBB10_231:
	s_or_b64 exec, exec, s[4:5]
.LBB10_232:
	s_or_b64 exec, exec, s[20:21]
.LBB10_233:
	s_or_b64 exec, exec, s[6:7]
.LBB10_234:
	s_or_b64 exec, exec, s[18:19]
.LBB10_235:
	s_or_b64 exec, exec, s[10:11]
.LBB10_236:
	s_or_b64 exec, exec, s[16:17]
.LBB10_237:
	s_or_b64 exec, exec, s[14:15]
	v_mov_b32_e32 v11, 0
	ds_read_b32 v11, v11 offset:36
	s_waitcnt lgkmcnt(0)
	v_mul_f32_e32 v11, v13, v11
.LBB10_238:
	s_or_b64 exec, exec, s[12:13]
	v_cmp_ne_u32_e32 vcc, 10, v0
	s_waitcnt vmcnt(0)
	ds_write_b32 v46, v12
	s_waitcnt lgkmcnt(0)
	; wave barrier
	s_and_saveexec_b64 s[4:5], vcc
	s_cbranch_execz .LBB10_248
; %bb.239:
	s_and_b64 vcc, exec, s[2:3]
	s_cbranch_vccnz .LBB10_241
; %bb.240:
	v_cmp_eq_u32_e32 vcc, 1, v0
	v_cndmask_b32_e32 v13, v2, v3, vcc
	v_cmp_eq_u32_e32 vcc, 2, v0
	v_cndmask_b32_e32 v13, v13, v4, vcc
	;; [unrolled: 2-line block ×6, first 2 shown]
	v_cmp_eq_u32_e32 vcc, 7, v0
	ds_read_b32 v14, v46
	v_cndmask_b32_e32 v13, v13, v9, vcc
	v_cmp_eq_u32_e32 vcc, 8, v0
	v_cndmask_b32_e32 v13, v13, v10, vcc
	v_cmp_eq_u32_e32 vcc, 9, v0
	;; [unrolled: 2-line block ×3, first 2 shown]
	v_cndmask_b32_e32 v13, v13, v12, vcc
	s_waitcnt lgkmcnt(0)
	v_mul_f32_e32 v13, v13, v14
	s_cbranch_execz .LBB10_242
	s_branch .LBB10_243
.LBB10_241:
                                        ; implicit-def: $vgpr13
.LBB10_242:
	ds_read_b32 v13, v46
.LBB10_243:
	s_and_saveexec_b64 s[2:3], s[8:9]
	s_cbranch_execz .LBB10_247
; %bb.244:
	v_lshl_add_u32 v14, v0, 2, 52
	s_mov_b64 s[6:7], 0
.LBB10_245:                             ; =>This Inner Loop Header: Depth=1
	v_add_co_u32_e32 v0, vcc, 1, v0
	v_addc_co_u32_e32 v1, vcc, 0, v1, vcc
	v_cmp_eq_u32_e32 vcc, 1, v0
	v_cndmask_b32_e32 v16, v2, v3, vcc
	v_cmp_lt_u32_e32 vcc, 8, v0
	v_cmp_eq_u32_e64 s[0:1], 2, v0
	v_cndmask_b32_e64 v16, v16, v4, s[0:1]
	s_or_b64 s[6:7], vcc, s[6:7]
	v_cmp_eq_u32_e32 vcc, 3, v0
	v_cndmask_b32_e32 v16, v16, v5, vcc
	v_cmp_eq_u32_e32 vcc, 4, v0
	v_cndmask_b32_e32 v16, v16, v6, vcc
	;; [unrolled: 2-line block ×3, first 2 shown]
	v_cmp_eq_u32_e32 vcc, 6, v0
	ds_read_b32 v15, v14
	v_cndmask_b32_e32 v16, v16, v8, vcc
	v_cmp_eq_u32_e32 vcc, 7, v0
	v_cndmask_b32_e32 v16, v16, v9, vcc
	v_cmp_eq_u32_e32 vcc, 8, v0
	;; [unrolled: 2-line block ×4, first 2 shown]
	v_cndmask_b32_e32 v16, v16, v12, vcc
	v_add_u32_e32 v14, 4, v14
	s_waitcnt lgkmcnt(0)
	v_fmac_f32_e32 v13, v16, v15
	s_andn2_b64 exec, exec, s[6:7]
	s_cbranch_execnz .LBB10_245
; %bb.246:
	s_or_b64 exec, exec, s[6:7]
.LBB10_247:
	s_or_b64 exec, exec, s[2:3]
	v_mov_b32_e32 v0, 0
	ds_read_b32 v0, v0 offset:40
	s_waitcnt lgkmcnt(0)
	v_mul_f32_e32 v12, v13, v0
.LBB10_248:
	s_or_b64 exec, exec, s[4:5]
	v_mov_b32_e32 v23, v12
	v_mov_b32_e32 v22, v11
	v_mov_b32_e32 v21, v10
	v_mov_b32_e32 v20, v9
	v_mov_b32_e32 v19, v8
	v_mov_b32_e32 v18, v7
	v_mov_b32_e32 v17, v6
	v_mov_b32_e32 v16, v5
	v_mov_b32_e32 v15, v4
	v_mov_b32_e32 v14, v3
	v_mov_b32_e32 v13, v2
.LBB10_249:
	global_store_dword v[42:43], v13, off
	global_store_dword v[44:45], v14, off
	global_store_dword v[24:25], v15, off
	global_store_dword v[26:27], v16, off
	global_store_dword v[28:29], v17, off
	global_store_dword v[30:31], v18, off
	global_store_dword v[32:33], v19, off
	global_store_dword v[34:35], v20, off
	global_store_dword v[36:37], v21, off
	global_store_dword v[38:39], v22, off
	global_store_dword v[40:41], v23, off
.LBB10_250:
	s_endpgm
	.section	.rodata,"a",@progbits
	.p2align	6, 0x0
	.amdhsa_kernel _ZN9rocsolver6v33100L18trti2_kernel_smallILi11EfPfEEv13rocblas_fill_17rocblas_diagonal_T1_iil
		.amdhsa_group_segment_fixed_size 92
		.amdhsa_private_segment_fixed_size 0
		.amdhsa_kernarg_size 32
		.amdhsa_user_sgpr_count 6
		.amdhsa_user_sgpr_private_segment_buffer 1
		.amdhsa_user_sgpr_dispatch_ptr 0
		.amdhsa_user_sgpr_queue_ptr 0
		.amdhsa_user_sgpr_kernarg_segment_ptr 1
		.amdhsa_user_sgpr_dispatch_id 0
		.amdhsa_user_sgpr_flat_scratch_init 0
		.amdhsa_user_sgpr_private_segment_size 0
		.amdhsa_uses_dynamic_stack 0
		.amdhsa_system_sgpr_private_segment_wavefront_offset 0
		.amdhsa_system_sgpr_workgroup_id_x 1
		.amdhsa_system_sgpr_workgroup_id_y 0
		.amdhsa_system_sgpr_workgroup_id_z 0
		.amdhsa_system_sgpr_workgroup_info 0
		.amdhsa_system_vgpr_workitem_id 0
		.amdhsa_next_free_vgpr 64
		.amdhsa_next_free_sgpr 32
		.amdhsa_reserve_vcc 1
		.amdhsa_reserve_flat_scratch 0
		.amdhsa_float_round_mode_32 0
		.amdhsa_float_round_mode_16_64 0
		.amdhsa_float_denorm_mode_32 3
		.amdhsa_float_denorm_mode_16_64 3
		.amdhsa_dx10_clamp 1
		.amdhsa_ieee_mode 1
		.amdhsa_fp16_overflow 0
		.amdhsa_exception_fp_ieee_invalid_op 0
		.amdhsa_exception_fp_denorm_src 0
		.amdhsa_exception_fp_ieee_div_zero 0
		.amdhsa_exception_fp_ieee_overflow 0
		.amdhsa_exception_fp_ieee_underflow 0
		.amdhsa_exception_fp_ieee_inexact 0
		.amdhsa_exception_int_div_zero 0
	.end_amdhsa_kernel
	.section	.text._ZN9rocsolver6v33100L18trti2_kernel_smallILi11EfPfEEv13rocblas_fill_17rocblas_diagonal_T1_iil,"axG",@progbits,_ZN9rocsolver6v33100L18trti2_kernel_smallILi11EfPfEEv13rocblas_fill_17rocblas_diagonal_T1_iil,comdat
.Lfunc_end10:
	.size	_ZN9rocsolver6v33100L18trti2_kernel_smallILi11EfPfEEv13rocblas_fill_17rocblas_diagonal_T1_iil, .Lfunc_end10-_ZN9rocsolver6v33100L18trti2_kernel_smallILi11EfPfEEv13rocblas_fill_17rocblas_diagonal_T1_iil
                                        ; -- End function
	.set _ZN9rocsolver6v33100L18trti2_kernel_smallILi11EfPfEEv13rocblas_fill_17rocblas_diagonal_T1_iil.num_vgpr, 64
	.set _ZN9rocsolver6v33100L18trti2_kernel_smallILi11EfPfEEv13rocblas_fill_17rocblas_diagonal_T1_iil.num_agpr, 0
	.set _ZN9rocsolver6v33100L18trti2_kernel_smallILi11EfPfEEv13rocblas_fill_17rocblas_diagonal_T1_iil.numbered_sgpr, 32
	.set _ZN9rocsolver6v33100L18trti2_kernel_smallILi11EfPfEEv13rocblas_fill_17rocblas_diagonal_T1_iil.num_named_barrier, 0
	.set _ZN9rocsolver6v33100L18trti2_kernel_smallILi11EfPfEEv13rocblas_fill_17rocblas_diagonal_T1_iil.private_seg_size, 0
	.set _ZN9rocsolver6v33100L18trti2_kernel_smallILi11EfPfEEv13rocblas_fill_17rocblas_diagonal_T1_iil.uses_vcc, 1
	.set _ZN9rocsolver6v33100L18trti2_kernel_smallILi11EfPfEEv13rocblas_fill_17rocblas_diagonal_T1_iil.uses_flat_scratch, 0
	.set _ZN9rocsolver6v33100L18trti2_kernel_smallILi11EfPfEEv13rocblas_fill_17rocblas_diagonal_T1_iil.has_dyn_sized_stack, 0
	.set _ZN9rocsolver6v33100L18trti2_kernel_smallILi11EfPfEEv13rocblas_fill_17rocblas_diagonal_T1_iil.has_recursion, 0
	.set _ZN9rocsolver6v33100L18trti2_kernel_smallILi11EfPfEEv13rocblas_fill_17rocblas_diagonal_T1_iil.has_indirect_call, 0
	.section	.AMDGPU.csdata,"",@progbits
; Kernel info:
; codeLenInByte = 10616
; TotalNumSgprs: 36
; NumVgprs: 64
; ScratchSize: 0
; MemoryBound: 0
; FloatMode: 240
; IeeeMode: 1
; LDSByteSize: 92 bytes/workgroup (compile time only)
; SGPRBlocks: 4
; VGPRBlocks: 15
; NumSGPRsForWavesPerEU: 36
; NumVGPRsForWavesPerEU: 64
; Occupancy: 4
; WaveLimiterHint : 0
; COMPUTE_PGM_RSRC2:SCRATCH_EN: 0
; COMPUTE_PGM_RSRC2:USER_SGPR: 6
; COMPUTE_PGM_RSRC2:TRAP_HANDLER: 0
; COMPUTE_PGM_RSRC2:TGID_X_EN: 1
; COMPUTE_PGM_RSRC2:TGID_Y_EN: 0
; COMPUTE_PGM_RSRC2:TGID_Z_EN: 0
; COMPUTE_PGM_RSRC2:TIDIG_COMP_CNT: 0
	.section	.text._ZN9rocsolver6v33100L18trti2_kernel_smallILi12EfPfEEv13rocblas_fill_17rocblas_diagonal_T1_iil,"axG",@progbits,_ZN9rocsolver6v33100L18trti2_kernel_smallILi12EfPfEEv13rocblas_fill_17rocblas_diagonal_T1_iil,comdat
	.globl	_ZN9rocsolver6v33100L18trti2_kernel_smallILi12EfPfEEv13rocblas_fill_17rocblas_diagonal_T1_iil ; -- Begin function _ZN9rocsolver6v33100L18trti2_kernel_smallILi12EfPfEEv13rocblas_fill_17rocblas_diagonal_T1_iil
	.p2align	8
	.type	_ZN9rocsolver6v33100L18trti2_kernel_smallILi12EfPfEEv13rocblas_fill_17rocblas_diagonal_T1_iil,@function
_ZN9rocsolver6v33100L18trti2_kernel_smallILi12EfPfEEv13rocblas_fill_17rocblas_diagonal_T1_iil: ; @_ZN9rocsolver6v33100L18trti2_kernel_smallILi12EfPfEEv13rocblas_fill_17rocblas_diagonal_T1_iil
; %bb.0:
	v_cmp_gt_u32_e32 vcc, 12, v0
	s_and_saveexec_b64 s[0:1], vcc
	s_cbranch_execz .LBB11_276
; %bb.1:
	s_load_dwordx8 s[24:31], s[4:5], 0x0
	s_ashr_i32 s2, s6, 31
	v_lshlrev_b32_e32 v14, 2, v0
	v_mov_b32_e32 v15, -1.0
	s_waitcnt lgkmcnt(0)
	s_mul_hi_u32 s3, s30, s6
	s_mul_i32 s2, s30, s2
	s_add_i32 s2, s3, s2
	s_mul_i32 s3, s31, s6
	s_add_i32 s3, s2, s3
	s_mul_i32 s2, s30, s6
	s_ashr_i32 s1, s28, 31
	s_lshl_b64 s[2:3], s[2:3], 2
	s_mov_b32 s0, s28
	s_add_u32 s2, s26, s2
	s_addc_u32 s3, s27, s3
	s_lshl_b64 s[0:1], s[0:1], 2
	s_add_u32 s0, s2, s0
	s_addc_u32 s1, s3, s1
	s_add_i32 s2, s29, s29
	v_add_u32_e32 v1, s2, v0
	v_ashrrev_i32_e32 v2, 31, v1
	v_lshlrev_b64 v[2:3], 2, v[1:2]
	v_add_u32_e32 v1, s29, v1
	v_mov_b32_e32 v4, s1
	v_add_co_u32_e32 v26, vcc, s0, v2
	v_ashrrev_i32_e32 v2, 31, v1
	v_addc_co_u32_e32 v27, vcc, v4, v3, vcc
	v_lshlrev_b64 v[2:3], 2, v[1:2]
	v_add_u32_e32 v1, s29, v1
	v_add_co_u32_e32 v28, vcc, s0, v2
	v_ashrrev_i32_e32 v2, 31, v1
	v_addc_co_u32_e32 v29, vcc, v4, v3, vcc
	v_lshlrev_b64 v[2:3], 2, v[1:2]
	v_add_u32_e32 v1, s29, v1
	;; [unrolled: 5-line block ×8, first 2 shown]
	v_add_co_u32_e32 v42, vcc, s0, v2
	v_ashrrev_i32_e32 v2, 31, v1
	v_lshlrev_b64 v[1:2], 2, v[1:2]
	v_addc_co_u32_e32 v43, vcc, v4, v3, vcc
	v_mov_b32_e32 v3, s1
	v_add_co_u32_e32 v44, vcc, s0, v1
	v_addc_co_u32_e32 v45, vcc, v3, v2, vcc
	v_mov_b32_e32 v1, s1
	v_add_co_u32_e32 v46, vcc, s0, v14
	s_ashr_i32 s3, s29, 31
	s_mov_b32 s2, s29
	v_addc_co_u32_e32 v47, vcc, 0, v1, vcc
	s_lshl_b64 s[2:3], s[2:3], 2
	v_mov_b32_e32 v1, s3
	v_add_co_u32_e32 v48, vcc, s2, v46
	v_addc_co_u32_e32 v49, vcc, v47, v1, vcc
	global_load_dword v3, v[48:49], off
	global_load_dword v4, v[26:27], off
	;; [unrolled: 1-line block ×8, first 2 shown]
	global_load_dword v2, v14, s[0:1]
	global_load_dword v11, v[40:41], off
	global_load_dword v12, v[42:43], off
	;; [unrolled: 1-line block ×3, first 2 shown]
	s_cmpk_lg_i32 s25, 0x84
	v_mov_b32_e32 v1, 0
	s_cselect_b64 s[26:27], -1, 0
	s_cmpk_eq_i32 s25, 0x84
	v_cmp_eq_u32_e64 s[0:1], 0, v0
	s_cbranch_scc1 .LBB11_3
; %bb.2:
	v_cmp_eq_u32_e64 s[2:3], 1, v0
	s_waitcnt vmcnt(3)
	v_cndmask_b32_e64 v15, v2, v3, s[2:3]
	v_cmp_eq_u32_e64 s[4:5], 2, v0
	v_cndmask_b32_e64 v15, v15, v4, s[4:5]
	v_cmp_eq_u32_e64 s[6:7], 3, v0
	v_cndmask_b32_e64 v15, v15, v5, s[6:7]
	v_cmp_eq_u32_e64 s[8:9], 4, v0
	v_cndmask_b32_e64 v15, v15, v6, s[8:9]
	v_cmp_eq_u32_e64 s[10:11], 5, v0
	v_cndmask_b32_e64 v15, v15, v7, s[10:11]
	v_cmp_eq_u32_e64 s[12:13], 6, v0
	v_cndmask_b32_e64 v15, v15, v8, s[12:13]
	v_cmp_eq_u32_e64 s[14:15], 7, v0
	v_cndmask_b32_e64 v15, v15, v9, s[14:15]
	v_cmp_eq_u32_e64 s[16:17], 8, v0
	v_cndmask_b32_e64 v15, v15, v10, s[16:17]
	v_cmp_eq_u32_e64 s[18:19], 9, v0
	s_waitcnt vmcnt(2)
	v_cndmask_b32_e64 v15, v15, v11, s[18:19]
	v_cmp_eq_u32_e64 s[20:21], 10, v0
	s_waitcnt vmcnt(1)
	v_cndmask_b32_e64 v15, v15, v12, s[20:21]
	v_cmp_eq_u32_e64 s[22:23], 11, v0
	s_waitcnt vmcnt(0)
	v_cndmask_b32_e64 v15, v15, v13, s[22:23]
	v_div_scale_f32 v16, s[28:29], v15, v15, 1.0
	v_div_scale_f32 v17, vcc, 1.0, v15, 1.0
	v_rcp_f32_e32 v18, v16
	v_fma_f32 v19, -v16, v18, 1.0
	v_fmac_f32_e32 v18, v19, v18
	v_mul_f32_e32 v19, v17, v18
	v_fma_f32 v20, -v16, v19, v17
	v_fmac_f32_e32 v19, v20, v18
	v_fma_f32 v16, -v16, v19, v17
	v_div_fmas_f32 v16, v16, v18, v19
	v_div_fixup_f32 v15, v16, v15, 1.0
	v_cndmask_b32_e64 v13, v13, v15, s[22:23]
	v_cndmask_b32_e64 v12, v12, v15, s[20:21]
	;; [unrolled: 1-line block ×12, first 2 shown]
	v_xor_b32_e32 v15, 0x80000000, v15
.LBB11_3:
	s_cmpk_eq_i32 s24, 0x79
	v_add_u32_e32 v50, 48, v14
	ds_write_b32 v14, v15
	s_cbranch_scc1 .LBB11_7
; %bb.4:
	s_waitcnt vmcnt(0)
	v_mov_b32_e32 v25, v13
	v_mov_b32_e32 v24, v12
	v_mov_b32_e32 v23, v11
	v_mov_b32_e32 v22, v10
	v_mov_b32_e32 v21, v9
	v_mov_b32_e32 v20, v8
	v_mov_b32_e32 v19, v7
	v_mov_b32_e32 v18, v6
	v_mov_b32_e32 v17, v5
	v_mov_b32_e32 v16, v4
	v_mov_b32_e32 v15, v3
	v_mov_b32_e32 v14, v2
	v_cmp_eq_u32_e64 s[0:1], 11, v0
	ds_write_b32 v50, v12
	s_waitcnt lgkmcnt(0)
	; wave barrier
	s_and_saveexec_b64 s[2:3], s[0:1]
	s_cbranch_execz .LBB11_11
; %bb.5:
	s_and_b64 vcc, exec, s[26:27]
	s_cbranch_vccz .LBB11_8
; %bb.6:
	v_cmp_eq_u32_e32 vcc, 1, v0
	v_cndmask_b32_e32 v14, v2, v3, vcc
	v_cmp_eq_u32_e32 vcc, 2, v0
	v_cndmask_b32_e32 v14, v14, v4, vcc
	;; [unrolled: 2-line block ×7, first 2 shown]
	v_cmp_eq_u32_e32 vcc, 8, v0
	ds_read_b32 v15, v50
	v_cndmask_b32_e32 v14, v14, v10, vcc
	v_cmp_eq_u32_e32 vcc, 9, v0
	v_cndmask_b32_e32 v14, v14, v11, vcc
	v_cmp_eq_u32_e32 vcc, 10, v0
	;; [unrolled: 2-line block ×3, first 2 shown]
	v_cndmask_b32_e32 v14, v14, v13, vcc
	s_waitcnt lgkmcnt(0)
	v_mul_f32_e32 v14, v14, v15
	s_cbranch_execz .LBB11_9
	s_branch .LBB11_10
.LBB11_7:
                                        ; implicit-def: $vgpr14_vgpr15_vgpr16_vgpr17_vgpr18_vgpr19_vgpr20_vgpr21_vgpr22_vgpr23_vgpr24_vgpr25
	s_cbranch_execnz .LBB11_162
	s_branch .LBB11_275
.LBB11_8:
                                        ; implicit-def: $vgpr14
.LBB11_9:
	ds_read_b32 v14, v50
.LBB11_10:
	v_mov_b32_e32 v15, 0
	ds_read_b32 v15, v15 offset:40
	s_waitcnt lgkmcnt(0)
	v_mul_f32_e32 v51, v14, v15
	v_mov_b32_e32 v25, v13
	v_mov_b32_e32 v24, v12
	;; [unrolled: 1-line block ×13, first 2 shown]
.LBB11_11:
	s_or_b64 exec, exec, s[2:3]
	v_cmp_lt_u32_e64 s[2:3], 9, v0
	ds_write_b32 v50, v23
	s_waitcnt lgkmcnt(0)
	; wave barrier
	s_and_saveexec_b64 s[4:5], s[2:3]
	s_cbranch_execz .LBB11_17
; %bb.12:
	s_andn2_b64 vcc, exec, s[26:27]
	s_cbranch_vccnz .LBB11_14
; %bb.13:
	v_cmp_eq_u32_e32 vcc, 1, v0
	v_cndmask_b32_e32 v51, v14, v15, vcc
	v_cmp_eq_u32_e32 vcc, 2, v0
	v_cndmask_b32_e32 v51, v51, v16, vcc
	;; [unrolled: 2-line block ×9, first 2 shown]
	ds_read_b32 v51, v50
	v_cmp_eq_u32_e32 vcc, 10, v0
	v_cndmask_b32_e32 v23, v23, v24, vcc
	v_cmp_eq_u32_e32 vcc, 11, v0
	v_cndmask_b32_e32 v23, v23, v25, vcc
	s_waitcnt lgkmcnt(0)
	v_mul_f32_e32 v23, v23, v51
	s_cbranch_execz .LBB11_15
	s_branch .LBB11_16
.LBB11_14:
                                        ; implicit-def: $vgpr23
.LBB11_15:
	ds_read_b32 v23, v50
.LBB11_16:
	v_mov_b32_e32 v51, 0
	ds_read2_b32 v[51:52], v51 offset0:9 offset1:22
	s_waitcnt lgkmcnt(0)
	v_fma_f32 v52, v24, v52, v23
	v_cndmask_b32_e64 v23, v23, v52, s[0:1]
	v_mul_f32_e32 v23, v23, v51
.LBB11_17:
	s_or_b64 exec, exec, s[4:5]
	v_cmp_lt_u32_e64 s[0:1], 8, v0
	ds_write_b32 v50, v22
	s_waitcnt lgkmcnt(0)
	; wave barrier
	s_and_saveexec_b64 s[4:5], s[0:1]
	s_cbranch_execz .LBB11_33
; %bb.18:
	s_andn2_b64 vcc, exec, s[26:27]
	s_cbranch_vccnz .LBB11_20
; %bb.19:
	v_cmp_eq_u32_e32 vcc, 1, v0
	v_cndmask_b32_e32 v51, v14, v15, vcc
	v_cmp_eq_u32_e32 vcc, 2, v0
	v_cndmask_b32_e32 v51, v51, v16, vcc
	;; [unrolled: 2-line block ×7, first 2 shown]
	v_cmp_eq_u32_e32 vcc, 8, v0
	ds_read_b32 v52, v50
	v_cndmask_b32_e32 v51, v51, v22, vcc
	v_cmp_eq_u32_e32 vcc, 9, v0
	v_cndmask_b32_e32 v51, v51, v23, vcc
	v_cmp_eq_u32_e32 vcc, 10, v0
	;; [unrolled: 2-line block ×3, first 2 shown]
	v_cndmask_b32_e32 v51, v51, v25, vcc
	s_waitcnt lgkmcnt(0)
	v_mul_f32_e32 v51, v51, v52
	s_cbranch_execz .LBB11_21
	s_branch .LBB11_22
.LBB11_20:
                                        ; implicit-def: $vgpr51
.LBB11_21:
	ds_read_b32 v51, v50
.LBB11_22:
	s_and_saveexec_b64 s[6:7], s[2:3]
	s_cbranch_execz .LBB11_32
; %bb.23:
	v_add_u32_e32 v53, -10, v0
	v_add_u32_e32 v52, -9, v0
	v_cmp_lt_u32_e32 vcc, 6, v53
	v_mov_b32_e32 v53, 9
	s_and_saveexec_b64 s[2:3], vcc
	s_cbranch_execz .LBB11_27
; %bb.24:
	v_and_b32_e32 v53, -8, v52
	v_sub_u32_e32 v54, 0, v53
	s_mov_b64 s[8:9], 16
	s_movk_i32 s12, 0x54
	s_mov_b64 s[10:11], 0
.LBB11_25:                              ; =>This Inner Loop Header: Depth=1
	s_add_i32 s13, s8, -7
	v_mov_b32_e32 v57, s12
	s_set_gpr_idx_on s13, gpr_idx(SRC0)
	v_mov_b32_e32 v53, v14
	s_set_gpr_idx_off
	ds_read2_b32 v[55:56], v57 offset1:1
	s_add_i32 s13, s8, -6
	s_waitcnt lgkmcnt(0)
	v_fmac_f32_e32 v51, v53, v55
	s_set_gpr_idx_on s13, gpr_idx(SRC0)
	v_mov_b32_e32 v53, v14
	s_set_gpr_idx_off
	s_add_i32 s13, s8, -5
	v_fmac_f32_e32 v51, v53, v56
	s_set_gpr_idx_on s13, gpr_idx(SRC0)
	v_mov_b32_e32 v53, v14
	s_set_gpr_idx_off
	ds_read2_b32 v[55:56], v57 offset0:2 offset1:3
	s_add_i32 s13, s8, -4
	s_waitcnt lgkmcnt(0)
	v_fmac_f32_e32 v51, v53, v55
	s_set_gpr_idx_on s13, gpr_idx(SRC0)
	v_mov_b32_e32 v53, v14
	s_set_gpr_idx_off
	s_add_i32 s13, s8, -3
	v_fmac_f32_e32 v51, v53, v56
	s_set_gpr_idx_on s13, gpr_idx(SRC0)
	v_mov_b32_e32 v53, v14
	s_set_gpr_idx_off
	ds_read2_b32 v[55:56], v57 offset0:4 offset1:5
	s_add_i32 s13, s8, -2
	s_waitcnt lgkmcnt(0)
	v_fmac_f32_e32 v51, v53, v55
	s_set_gpr_idx_on s13, gpr_idx(SRC0)
	v_mov_b32_e32 v53, v14
	s_set_gpr_idx_off
	s_add_i32 s13, s8, -1
	v_fmac_f32_e32 v51, v53, v56
	s_set_gpr_idx_on s13, gpr_idx(SRC0)
	v_mov_b32_e32 v53, v14
	s_set_gpr_idx_off
	ds_read2_b32 v[55:56], v57 offset0:6 offset1:7
	s_waitcnt lgkmcnt(0)
	v_fmac_f32_e32 v51, v53, v55
	s_set_gpr_idx_on s8, gpr_idx(SRC0)
	v_mov_b32_e32 v53, v14
	s_set_gpr_idx_off
	s_add_u32 s8, s8, 8
	v_fmac_f32_e32 v51, v53, v56
	v_add_u32_e32 v53, s8, v54
	s_addc_u32 s9, s9, 0
	s_add_i32 s12, s12, 32
	v_cmp_eq_u32_e32 vcc, 16, v53
	s_add_i32 s13, s8, -7
	s_or_b64 s[10:11], vcc, s[10:11]
	v_mov_b32_e32 v53, s13
	s_andn2_b64 exec, exec, s[10:11]
	s_cbranch_execnz .LBB11_25
; %bb.26:
	s_or_b64 exec, exec, s[10:11]
.LBB11_27:
	s_or_b64 exec, exec, s[2:3]
	v_and_b32_e32 v52, 7, v52
	v_cmp_ne_u32_e32 vcc, 0, v52
	s_and_saveexec_b64 s[8:9], vcc
	s_cbranch_execz .LBB11_31
; %bb.28:
	v_lshl_add_u32 v54, v53, 2, 48
	v_mov_b32_e32 v55, 0
	s_mov_b64 s[10:11], 0
.LBB11_29:                              ; =>This Inner Loop Header: Depth=1
	v_cmp_eq_u32_e32 vcc, 1, v53
	v_cndmask_b32_e32 v56, v14, v15, vcc
	v_add_u32_e32 v52, -1, v52
	v_cmp_eq_u32_e32 vcc, 2, v53
	v_cndmask_b32_e32 v56, v56, v16, vcc
	v_cmp_eq_u32_e32 vcc, 0, v52
	v_cmp_eq_u32_e64 s[2:3], 3, v53
	v_cndmask_b32_e64 v56, v56, v17, s[2:3]
	s_or_b64 s[10:11], vcc, s[10:11]
	v_cmp_eq_u32_e32 vcc, 4, v53
	v_cndmask_b32_e32 v56, v56, v18, vcc
	v_cmp_eq_u32_e32 vcc, 5, v53
	v_cndmask_b32_e32 v56, v56, v19, vcc
	;; [unrolled: 2-line block ×3, first 2 shown]
	v_cmp_eq_u32_e32 vcc, 7, v53
	ds_read_b32 v57, v54
	v_cndmask_b32_e32 v56, v56, v21, vcc
	v_cmp_eq_u32_e32 vcc, 8, v53
	v_cndmask_b32_e32 v56, v56, v22, vcc
	v_cmp_eq_u32_e32 vcc, 9, v53
	;; [unrolled: 2-line block ×4, first 2 shown]
	v_add_co_u32_e64 v53, s[2:3], 1, v53
	v_cndmask_b32_e32 v56, v56, v25, vcc
	v_add_u32_e32 v54, 4, v54
	v_addc_co_u32_e64 v55, s[2:3], 0, v55, s[2:3]
	s_waitcnt lgkmcnt(0)
	v_fmac_f32_e32 v51, v56, v57
	s_andn2_b64 exec, exec, s[10:11]
	s_cbranch_execnz .LBB11_29
; %bb.30:
	s_or_b64 exec, exec, s[10:11]
.LBB11_31:
	s_or_b64 exec, exec, s[8:9]
.LBB11_32:
	s_or_b64 exec, exec, s[6:7]
	v_mov_b32_e32 v22, 0
	ds_read_b32 v22, v22 offset:32
	s_waitcnt lgkmcnt(0)
	v_mul_f32_e32 v22, v51, v22
.LBB11_33:
	s_or_b64 exec, exec, s[4:5]
	v_cmp_lt_u32_e64 s[2:3], 7, v0
	ds_write_b32 v50, v21
	s_waitcnt lgkmcnt(0)
	; wave barrier
	s_and_saveexec_b64 s[4:5], s[2:3]
	s_cbranch_execz .LBB11_49
; %bb.34:
	s_andn2_b64 vcc, exec, s[26:27]
	s_cbranch_vccnz .LBB11_36
; %bb.35:
	v_cmp_eq_u32_e32 vcc, 1, v0
	v_cndmask_b32_e32 v51, v14, v15, vcc
	v_cmp_eq_u32_e32 vcc, 2, v0
	v_cndmask_b32_e32 v51, v51, v16, vcc
	v_cmp_eq_u32_e32 vcc, 3, v0
	v_cndmask_b32_e32 v51, v51, v17, vcc
	v_cmp_eq_u32_e32 vcc, 4, v0
	v_cndmask_b32_e32 v51, v51, v18, vcc
	v_cmp_eq_u32_e32 vcc, 5, v0
	v_cndmask_b32_e32 v51, v51, v19, vcc
	v_cmp_eq_u32_e32 vcc, 6, v0
	v_cndmask_b32_e32 v51, v51, v20, vcc
	v_cmp_eq_u32_e32 vcc, 7, v0
	v_cndmask_b32_e32 v51, v51, v21, vcc
	v_cmp_eq_u32_e32 vcc, 8, v0
	ds_read_b32 v52, v50
	v_cndmask_b32_e32 v51, v51, v22, vcc
	v_cmp_eq_u32_e32 vcc, 9, v0
	v_cndmask_b32_e32 v51, v51, v23, vcc
	v_cmp_eq_u32_e32 vcc, 10, v0
	v_cndmask_b32_e32 v51, v51, v24, vcc
	v_cmp_eq_u32_e32 vcc, 11, v0
	v_cndmask_b32_e32 v51, v51, v25, vcc
	s_waitcnt lgkmcnt(0)
	v_mul_f32_e32 v51, v51, v52
	s_cbranch_execz .LBB11_37
	s_branch .LBB11_38
.LBB11_36:
                                        ; implicit-def: $vgpr51
.LBB11_37:
	ds_read_b32 v51, v50
.LBB11_38:
	s_and_saveexec_b64 s[6:7], s[0:1]
	s_cbranch_execz .LBB11_48
; %bb.39:
	v_add_u32_e32 v52, -9, v0
	v_cmp_lt_u32_e32 vcc, 6, v52
	v_mov_b32_e32 v52, 8
	s_and_saveexec_b64 s[0:1], vcc
	s_cbranch_execz .LBB11_43
; %bb.40:
	v_and_b32_e32 v52, 8, v0
	v_sub_u32_e32 v53, 0, v52
	s_mov_b64 s[8:9], 15
	s_movk_i32 s12, 0x50
	s_mov_b64 s[10:11], 0
.LBB11_41:                              ; =>This Inner Loop Header: Depth=1
	s_add_i32 s13, s8, -7
	v_mov_b32_e32 v58, s12
	s_set_gpr_idx_on s13, gpr_idx(SRC0)
	v_mov_b32_e32 v52, v14
	s_set_gpr_idx_off
	ds_read_b128 v[54:57], v58
	ds_read_b128 v[58:61], v58 offset:16
	s_add_i32 s13, s8, -6
	s_waitcnt lgkmcnt(1)
	v_fmac_f32_e32 v51, v52, v54
	s_set_gpr_idx_on s13, gpr_idx(SRC0)
	v_mov_b32_e32 v52, v14
	s_set_gpr_idx_off
	s_add_i32 s13, s8, -5
	v_fmac_f32_e32 v51, v52, v55
	s_set_gpr_idx_on s13, gpr_idx(SRC0)
	v_mov_b32_e32 v52, v14
	s_set_gpr_idx_off
	s_add_i32 s13, s8, -4
	;; [unrolled: 5-line block ×4, first 2 shown]
	s_waitcnt lgkmcnt(0)
	v_fmac_f32_e32 v51, v52, v58
	s_set_gpr_idx_on s13, gpr_idx(SRC0)
	v_mov_b32_e32 v52, v14
	s_set_gpr_idx_off
	s_add_i32 s13, s8, -1
	v_fmac_f32_e32 v51, v52, v59
	s_set_gpr_idx_on s13, gpr_idx(SRC0)
	v_mov_b32_e32 v52, v14
	s_set_gpr_idx_off
	v_fmac_f32_e32 v51, v52, v60
	s_set_gpr_idx_on s8, gpr_idx(SRC0)
	v_mov_b32_e32 v52, v14
	s_set_gpr_idx_off
	s_add_u32 s8, s8, 8
	v_fmac_f32_e32 v51, v52, v61
	v_add_u32_e32 v52, s8, v53
	s_addc_u32 s9, s9, 0
	s_add_i32 s12, s12, 32
	v_cmp_eq_u32_e32 vcc, 7, v52
	s_add_i32 s13, s8, -7
	s_or_b64 s[10:11], vcc, s[10:11]
	v_mov_b32_e32 v52, s13
	s_andn2_b64 exec, exec, s[10:11]
	s_cbranch_execnz .LBB11_41
; %bb.42:
	s_or_b64 exec, exec, s[10:11]
.LBB11_43:
	s_or_b64 exec, exec, s[0:1]
	v_and_b32_e32 v53, 7, v0
	v_cmp_ne_u32_e32 vcc, 0, v53
	s_and_saveexec_b64 s[8:9], vcc
	s_cbranch_execz .LBB11_47
; %bb.44:
	v_lshl_add_u32 v54, v52, 2, 48
	v_mov_b32_e32 v55, 0
	s_mov_b64 s[10:11], 0
.LBB11_45:                              ; =>This Inner Loop Header: Depth=1
	v_cmp_eq_u32_e32 vcc, 1, v52
	v_cndmask_b32_e32 v56, v14, v15, vcc
	v_add_u32_e32 v53, -1, v53
	v_cmp_eq_u32_e32 vcc, 2, v52
	v_cndmask_b32_e32 v56, v56, v16, vcc
	v_cmp_eq_u32_e32 vcc, 0, v53
	v_cmp_eq_u32_e64 s[0:1], 3, v52
	v_cndmask_b32_e64 v56, v56, v17, s[0:1]
	s_or_b64 s[10:11], vcc, s[10:11]
	v_cmp_eq_u32_e32 vcc, 4, v52
	v_cndmask_b32_e32 v56, v56, v18, vcc
	v_cmp_eq_u32_e32 vcc, 5, v52
	v_cndmask_b32_e32 v56, v56, v19, vcc
	;; [unrolled: 2-line block ×3, first 2 shown]
	v_cmp_eq_u32_e32 vcc, 7, v52
	ds_read_b32 v57, v54
	v_cndmask_b32_e32 v56, v56, v21, vcc
	v_cmp_eq_u32_e32 vcc, 8, v52
	v_cndmask_b32_e32 v56, v56, v22, vcc
	v_cmp_eq_u32_e32 vcc, 9, v52
	;; [unrolled: 2-line block ×4, first 2 shown]
	v_add_co_u32_e64 v52, s[0:1], 1, v52
	v_cndmask_b32_e32 v56, v56, v25, vcc
	v_add_u32_e32 v54, 4, v54
	v_addc_co_u32_e64 v55, s[0:1], 0, v55, s[0:1]
	s_waitcnt lgkmcnt(0)
	v_fmac_f32_e32 v51, v56, v57
	s_andn2_b64 exec, exec, s[10:11]
	s_cbranch_execnz .LBB11_45
; %bb.46:
	s_or_b64 exec, exec, s[10:11]
.LBB11_47:
	s_or_b64 exec, exec, s[8:9]
.LBB11_48:
	s_or_b64 exec, exec, s[6:7]
	v_mov_b32_e32 v21, 0
	ds_read_b32 v21, v21 offset:28
	s_waitcnt lgkmcnt(0)
	v_mul_f32_e32 v21, v51, v21
.LBB11_49:
	s_or_b64 exec, exec, s[4:5]
	v_cmp_lt_u32_e64 s[0:1], 6, v0
	ds_write_b32 v50, v20
	s_waitcnt lgkmcnt(0)
	; wave barrier
	s_and_saveexec_b64 s[4:5], s[0:1]
	s_cbranch_execz .LBB11_65
; %bb.50:
	s_andn2_b64 vcc, exec, s[26:27]
	s_cbranch_vccnz .LBB11_52
; %bb.51:
	v_cmp_eq_u32_e32 vcc, 1, v0
	v_cndmask_b32_e32 v51, v14, v15, vcc
	v_cmp_eq_u32_e32 vcc, 2, v0
	v_cndmask_b32_e32 v51, v51, v16, vcc
	;; [unrolled: 2-line block ×7, first 2 shown]
	v_cmp_eq_u32_e32 vcc, 8, v0
	ds_read_b32 v52, v50
	v_cndmask_b32_e32 v51, v51, v22, vcc
	v_cmp_eq_u32_e32 vcc, 9, v0
	v_cndmask_b32_e32 v51, v51, v23, vcc
	v_cmp_eq_u32_e32 vcc, 10, v0
	;; [unrolled: 2-line block ×3, first 2 shown]
	v_cndmask_b32_e32 v51, v51, v25, vcc
	s_waitcnt lgkmcnt(0)
	v_mul_f32_e32 v51, v51, v52
	s_cbranch_execz .LBB11_53
	s_branch .LBB11_54
.LBB11_52:
                                        ; implicit-def: $vgpr51
.LBB11_53:
	ds_read_b32 v51, v50
.LBB11_54:
	s_and_saveexec_b64 s[6:7], s[2:3]
	s_cbranch_execz .LBB11_64
; %bb.55:
	v_add_u32_e32 v53, -8, v0
	v_add_u32_e32 v52, -7, v0
	v_cmp_lt_u32_e32 vcc, 6, v53
	v_mov_b32_e32 v53, 7
	s_and_saveexec_b64 s[2:3], vcc
	s_cbranch_execz .LBB11_59
; %bb.56:
	v_and_b32_e32 v53, -8, v52
	v_sub_u32_e32 v54, 0, v53
	s_mov_b64 s[8:9], 14
	s_movk_i32 s12, 0x4c
	s_mov_b64 s[10:11], 0
.LBB11_57:                              ; =>This Inner Loop Header: Depth=1
	s_add_i32 s13, s8, -7
	v_mov_b32_e32 v57, s12
	s_set_gpr_idx_on s13, gpr_idx(SRC0)
	v_mov_b32_e32 v53, v14
	s_set_gpr_idx_off
	ds_read2_b32 v[55:56], v57 offset1:1
	s_add_i32 s13, s8, -6
	s_waitcnt lgkmcnt(0)
	v_fmac_f32_e32 v51, v53, v55
	s_set_gpr_idx_on s13, gpr_idx(SRC0)
	v_mov_b32_e32 v53, v14
	s_set_gpr_idx_off
	s_add_i32 s13, s8, -5
	v_fmac_f32_e32 v51, v53, v56
	s_set_gpr_idx_on s13, gpr_idx(SRC0)
	v_mov_b32_e32 v53, v14
	s_set_gpr_idx_off
	ds_read2_b32 v[55:56], v57 offset0:2 offset1:3
	s_add_i32 s13, s8, -4
	s_waitcnt lgkmcnt(0)
	v_fmac_f32_e32 v51, v53, v55
	s_set_gpr_idx_on s13, gpr_idx(SRC0)
	v_mov_b32_e32 v53, v14
	s_set_gpr_idx_off
	s_add_i32 s13, s8, -3
	v_fmac_f32_e32 v51, v53, v56
	s_set_gpr_idx_on s13, gpr_idx(SRC0)
	v_mov_b32_e32 v53, v14
	s_set_gpr_idx_off
	ds_read2_b32 v[55:56], v57 offset0:4 offset1:5
	;; [unrolled: 12-line block ×3, first 2 shown]
	s_waitcnt lgkmcnt(0)
	v_fmac_f32_e32 v51, v53, v55
	s_set_gpr_idx_on s8, gpr_idx(SRC0)
	v_mov_b32_e32 v53, v14
	s_set_gpr_idx_off
	s_add_u32 s8, s8, 8
	v_fmac_f32_e32 v51, v53, v56
	v_add_u32_e32 v53, s8, v54
	s_addc_u32 s9, s9, 0
	s_add_i32 s12, s12, 32
	v_cmp_eq_u32_e32 vcc, 14, v53
	s_add_i32 s13, s8, -7
	s_or_b64 s[10:11], vcc, s[10:11]
	v_mov_b32_e32 v53, s13
	s_andn2_b64 exec, exec, s[10:11]
	s_cbranch_execnz .LBB11_57
; %bb.58:
	s_or_b64 exec, exec, s[10:11]
.LBB11_59:
	s_or_b64 exec, exec, s[2:3]
	v_and_b32_e32 v52, 7, v52
	v_cmp_ne_u32_e32 vcc, 0, v52
	s_and_saveexec_b64 s[8:9], vcc
	s_cbranch_execz .LBB11_63
; %bb.60:
	v_lshl_add_u32 v54, v53, 2, 48
	v_mov_b32_e32 v55, 0
	s_mov_b64 s[10:11], 0
.LBB11_61:                              ; =>This Inner Loop Header: Depth=1
	v_cmp_eq_u32_e32 vcc, 1, v53
	v_cndmask_b32_e32 v56, v14, v15, vcc
	v_add_u32_e32 v52, -1, v52
	v_cmp_eq_u32_e32 vcc, 2, v53
	v_cndmask_b32_e32 v56, v56, v16, vcc
	v_cmp_eq_u32_e32 vcc, 0, v52
	v_cmp_eq_u32_e64 s[2:3], 3, v53
	v_cndmask_b32_e64 v56, v56, v17, s[2:3]
	s_or_b64 s[10:11], vcc, s[10:11]
	v_cmp_eq_u32_e32 vcc, 4, v53
	v_cndmask_b32_e32 v56, v56, v18, vcc
	v_cmp_eq_u32_e32 vcc, 5, v53
	v_cndmask_b32_e32 v56, v56, v19, vcc
	;; [unrolled: 2-line block ×3, first 2 shown]
	v_cmp_eq_u32_e32 vcc, 7, v53
	ds_read_b32 v57, v54
	v_cndmask_b32_e32 v56, v56, v21, vcc
	v_cmp_eq_u32_e32 vcc, 8, v53
	v_cndmask_b32_e32 v56, v56, v22, vcc
	v_cmp_eq_u32_e32 vcc, 9, v53
	;; [unrolled: 2-line block ×4, first 2 shown]
	v_add_co_u32_e64 v53, s[2:3], 1, v53
	v_cndmask_b32_e32 v56, v56, v25, vcc
	v_add_u32_e32 v54, 4, v54
	v_addc_co_u32_e64 v55, s[2:3], 0, v55, s[2:3]
	s_waitcnt lgkmcnt(0)
	v_fmac_f32_e32 v51, v56, v57
	s_andn2_b64 exec, exec, s[10:11]
	s_cbranch_execnz .LBB11_61
; %bb.62:
	s_or_b64 exec, exec, s[10:11]
.LBB11_63:
	s_or_b64 exec, exec, s[8:9]
.LBB11_64:
	s_or_b64 exec, exec, s[6:7]
	v_mov_b32_e32 v20, 0
	ds_read_b32 v20, v20 offset:24
	s_waitcnt lgkmcnt(0)
	v_mul_f32_e32 v20, v51, v20
.LBB11_65:
	s_or_b64 exec, exec, s[4:5]
	v_cmp_lt_u32_e64 s[2:3], 5, v0
	ds_write_b32 v50, v19
	s_waitcnt lgkmcnt(0)
	; wave barrier
	s_and_saveexec_b64 s[4:5], s[2:3]
	s_cbranch_execz .LBB11_81
; %bb.66:
	s_andn2_b64 vcc, exec, s[26:27]
	s_cbranch_vccnz .LBB11_68
; %bb.67:
	v_cmp_eq_u32_e32 vcc, 1, v0
	v_cndmask_b32_e32 v51, v14, v15, vcc
	v_cmp_eq_u32_e32 vcc, 2, v0
	v_cndmask_b32_e32 v51, v51, v16, vcc
	;; [unrolled: 2-line block ×7, first 2 shown]
	v_cmp_eq_u32_e32 vcc, 8, v0
	ds_read_b32 v52, v50
	v_cndmask_b32_e32 v51, v51, v22, vcc
	v_cmp_eq_u32_e32 vcc, 9, v0
	v_cndmask_b32_e32 v51, v51, v23, vcc
	v_cmp_eq_u32_e32 vcc, 10, v0
	;; [unrolled: 2-line block ×3, first 2 shown]
	v_cndmask_b32_e32 v51, v51, v25, vcc
	s_waitcnt lgkmcnt(0)
	v_mul_f32_e32 v51, v51, v52
	s_cbranch_execz .LBB11_69
	s_branch .LBB11_70
.LBB11_68:
                                        ; implicit-def: $vgpr51
.LBB11_69:
	ds_read_b32 v51, v50
.LBB11_70:
	s_and_saveexec_b64 s[6:7], s[0:1]
	s_cbranch_execz .LBB11_80
; %bb.71:
	v_add_u32_e32 v54, -7, v0
	v_add_u32_e32 v52, -6, v0
	v_mov_b32_e32 v53, 6
	v_cmp_lt_u32_e32 vcc, 6, v54
	s_and_saveexec_b64 s[0:1], vcc
	s_cbranch_execz .LBB11_75
; %bb.72:
	v_and_b32_e32 v53, -8, v52
	v_sub_u32_e32 v54, 0, v53
	s_mov_b64 s[8:9], 13
	s_movk_i32 s12, 0x48
	s_mov_b64 s[10:11], 0
.LBB11_73:                              ; =>This Inner Loop Header: Depth=1
	s_add_i32 s13, s8, -7
	v_mov_b32_e32 v59, s12
	s_set_gpr_idx_on s13, gpr_idx(SRC0)
	v_mov_b32_e32 v53, v14
	s_set_gpr_idx_off
	ds_read2_b64 v[55:58], v59 offset1:1
	s_add_i32 s13, s8, -6
	s_waitcnt lgkmcnt(0)
	v_fmac_f32_e32 v51, v53, v55
	s_set_gpr_idx_on s13, gpr_idx(SRC0)
	v_mov_b32_e32 v53, v14
	s_set_gpr_idx_off
	s_add_i32 s13, s8, -5
	v_fmac_f32_e32 v51, v53, v56
	s_set_gpr_idx_on s13, gpr_idx(SRC0)
	v_mov_b32_e32 v53, v14
	s_set_gpr_idx_off
	s_add_i32 s13, s8, -4
	;; [unrolled: 5-line block ×3, first 2 shown]
	v_fmac_f32_e32 v51, v53, v58
	s_set_gpr_idx_on s13, gpr_idx(SRC0)
	v_mov_b32_e32 v53, v14
	s_set_gpr_idx_off
	ds_read2_b64 v[55:58], v59 offset0:2 offset1:3
	s_add_i32 s13, s8, -2
	s_waitcnt lgkmcnt(0)
	v_fmac_f32_e32 v51, v53, v55
	s_set_gpr_idx_on s13, gpr_idx(SRC0)
	v_mov_b32_e32 v53, v14
	s_set_gpr_idx_off
	s_add_i32 s13, s8, -1
	v_fmac_f32_e32 v51, v53, v56
	s_set_gpr_idx_on s13, gpr_idx(SRC0)
	v_mov_b32_e32 v53, v14
	s_set_gpr_idx_off
	v_fmac_f32_e32 v51, v53, v57
	s_set_gpr_idx_on s8, gpr_idx(SRC0)
	v_mov_b32_e32 v53, v14
	s_set_gpr_idx_off
	s_add_u32 s8, s8, 8
	v_fmac_f32_e32 v51, v53, v58
	v_add_u32_e32 v53, s8, v54
	s_addc_u32 s9, s9, 0
	s_add_i32 s12, s12, 32
	v_cmp_eq_u32_e32 vcc, 13, v53
	s_add_i32 s13, s8, -7
	s_or_b64 s[10:11], vcc, s[10:11]
	v_mov_b32_e32 v53, s13
	s_andn2_b64 exec, exec, s[10:11]
	s_cbranch_execnz .LBB11_73
; %bb.74:
	s_or_b64 exec, exec, s[10:11]
.LBB11_75:
	s_or_b64 exec, exec, s[0:1]
	v_and_b32_e32 v52, 7, v52
	v_cmp_ne_u32_e32 vcc, 0, v52
	s_and_saveexec_b64 s[8:9], vcc
	s_cbranch_execz .LBB11_79
; %bb.76:
	v_lshl_add_u32 v54, v53, 2, 48
	v_mov_b32_e32 v55, 0
	s_mov_b64 s[10:11], 0
.LBB11_77:                              ; =>This Inner Loop Header: Depth=1
	v_cmp_eq_u32_e32 vcc, 1, v53
	v_cndmask_b32_e32 v56, v14, v15, vcc
	v_add_u32_e32 v52, -1, v52
	v_cmp_eq_u32_e32 vcc, 2, v53
	v_cndmask_b32_e32 v56, v56, v16, vcc
	v_cmp_eq_u32_e32 vcc, 0, v52
	v_cmp_eq_u32_e64 s[0:1], 3, v53
	v_cndmask_b32_e64 v56, v56, v17, s[0:1]
	s_or_b64 s[10:11], vcc, s[10:11]
	v_cmp_eq_u32_e32 vcc, 4, v53
	v_cndmask_b32_e32 v56, v56, v18, vcc
	v_cmp_eq_u32_e32 vcc, 5, v53
	v_cndmask_b32_e32 v56, v56, v19, vcc
	;; [unrolled: 2-line block ×3, first 2 shown]
	v_cmp_eq_u32_e32 vcc, 7, v53
	ds_read_b32 v57, v54
	v_cndmask_b32_e32 v56, v56, v21, vcc
	v_cmp_eq_u32_e32 vcc, 8, v53
	v_cndmask_b32_e32 v56, v56, v22, vcc
	v_cmp_eq_u32_e32 vcc, 9, v53
	;; [unrolled: 2-line block ×4, first 2 shown]
	v_add_co_u32_e64 v53, s[0:1], 1, v53
	v_cndmask_b32_e32 v56, v56, v25, vcc
	v_add_u32_e32 v54, 4, v54
	v_addc_co_u32_e64 v55, s[0:1], 0, v55, s[0:1]
	s_waitcnt lgkmcnt(0)
	v_fmac_f32_e32 v51, v56, v57
	s_andn2_b64 exec, exec, s[10:11]
	s_cbranch_execnz .LBB11_77
; %bb.78:
	s_or_b64 exec, exec, s[10:11]
.LBB11_79:
	s_or_b64 exec, exec, s[8:9]
.LBB11_80:
	s_or_b64 exec, exec, s[6:7]
	v_mov_b32_e32 v19, 0
	ds_read_b32 v19, v19 offset:20
	s_waitcnt lgkmcnt(0)
	v_mul_f32_e32 v19, v51, v19
.LBB11_81:
	s_or_b64 exec, exec, s[4:5]
	v_cmp_lt_u32_e64 s[0:1], 4, v0
	ds_write_b32 v50, v18
	s_waitcnt lgkmcnt(0)
	; wave barrier
	s_and_saveexec_b64 s[4:5], s[0:1]
	s_cbranch_execz .LBB11_97
; %bb.82:
	s_andn2_b64 vcc, exec, s[26:27]
	s_cbranch_vccnz .LBB11_84
; %bb.83:
	v_cmp_eq_u32_e32 vcc, 1, v0
	v_cndmask_b32_e32 v51, v14, v15, vcc
	v_cmp_eq_u32_e32 vcc, 2, v0
	v_cndmask_b32_e32 v51, v51, v16, vcc
	;; [unrolled: 2-line block ×7, first 2 shown]
	v_cmp_eq_u32_e32 vcc, 8, v0
	ds_read_b32 v52, v50
	v_cndmask_b32_e32 v51, v51, v22, vcc
	v_cmp_eq_u32_e32 vcc, 9, v0
	v_cndmask_b32_e32 v51, v51, v23, vcc
	v_cmp_eq_u32_e32 vcc, 10, v0
	;; [unrolled: 2-line block ×3, first 2 shown]
	v_cndmask_b32_e32 v51, v51, v25, vcc
	s_waitcnt lgkmcnt(0)
	v_mul_f32_e32 v51, v51, v52
	s_cbranch_execz .LBB11_85
	s_branch .LBB11_86
.LBB11_84:
                                        ; implicit-def: $vgpr51
.LBB11_85:
	ds_read_b32 v51, v50
.LBB11_86:
	s_and_saveexec_b64 s[6:7], s[2:3]
	s_cbranch_execz .LBB11_96
; %bb.87:
	v_add_u32_e32 v53, -6, v0
	v_add_u32_e32 v52, -5, v0
	v_cmp_lt_u32_e32 vcc, 6, v53
	v_mov_b32_e32 v53, 5
	s_and_saveexec_b64 s[2:3], vcc
	s_cbranch_execz .LBB11_91
; %bb.88:
	v_and_b32_e32 v53, -8, v52
	v_sub_u32_e32 v54, 0, v53
	s_mov_b64 s[8:9], 12
	s_movk_i32 s12, 0x44
	s_mov_b64 s[10:11], 0
.LBB11_89:                              ; =>This Inner Loop Header: Depth=1
	s_add_i32 s13, s8, -7
	v_mov_b32_e32 v57, s12
	s_set_gpr_idx_on s13, gpr_idx(SRC0)
	v_mov_b32_e32 v53, v14
	s_set_gpr_idx_off
	ds_read2_b32 v[55:56], v57 offset1:1
	s_add_i32 s13, s8, -6
	s_waitcnt lgkmcnt(0)
	v_fmac_f32_e32 v51, v53, v55
	s_set_gpr_idx_on s13, gpr_idx(SRC0)
	v_mov_b32_e32 v53, v14
	s_set_gpr_idx_off
	s_add_i32 s13, s8, -5
	v_fmac_f32_e32 v51, v53, v56
	s_set_gpr_idx_on s13, gpr_idx(SRC0)
	v_mov_b32_e32 v53, v14
	s_set_gpr_idx_off
	ds_read2_b32 v[55:56], v57 offset0:2 offset1:3
	s_add_i32 s13, s8, -4
	s_waitcnt lgkmcnt(0)
	v_fmac_f32_e32 v51, v53, v55
	s_set_gpr_idx_on s13, gpr_idx(SRC0)
	v_mov_b32_e32 v53, v14
	s_set_gpr_idx_off
	s_add_i32 s13, s8, -3
	v_fmac_f32_e32 v51, v53, v56
	s_set_gpr_idx_on s13, gpr_idx(SRC0)
	v_mov_b32_e32 v53, v14
	s_set_gpr_idx_off
	ds_read2_b32 v[55:56], v57 offset0:4 offset1:5
	;; [unrolled: 12-line block ×3, first 2 shown]
	s_waitcnt lgkmcnt(0)
	v_fmac_f32_e32 v51, v53, v55
	s_set_gpr_idx_on s8, gpr_idx(SRC0)
	v_mov_b32_e32 v53, v14
	s_set_gpr_idx_off
	s_add_u32 s8, s8, 8
	v_fmac_f32_e32 v51, v53, v56
	v_add_u32_e32 v53, s8, v54
	s_addc_u32 s9, s9, 0
	s_add_i32 s12, s12, 32
	v_cmp_eq_u32_e32 vcc, 12, v53
	s_add_i32 s13, s8, -7
	s_or_b64 s[10:11], vcc, s[10:11]
	v_mov_b32_e32 v53, s13
	s_andn2_b64 exec, exec, s[10:11]
	s_cbranch_execnz .LBB11_89
; %bb.90:
	s_or_b64 exec, exec, s[10:11]
.LBB11_91:
	s_or_b64 exec, exec, s[2:3]
	v_and_b32_e32 v52, 7, v52
	v_cmp_ne_u32_e32 vcc, 0, v52
	s_and_saveexec_b64 s[8:9], vcc
	s_cbranch_execz .LBB11_95
; %bb.92:
	v_lshl_add_u32 v54, v53, 2, 48
	v_mov_b32_e32 v55, 0
	s_mov_b64 s[10:11], 0
.LBB11_93:                              ; =>This Inner Loop Header: Depth=1
	v_cmp_eq_u32_e32 vcc, 1, v53
	v_cndmask_b32_e32 v56, v14, v15, vcc
	v_add_u32_e32 v52, -1, v52
	v_cmp_eq_u32_e32 vcc, 2, v53
	v_cndmask_b32_e32 v56, v56, v16, vcc
	v_cmp_eq_u32_e32 vcc, 0, v52
	v_cmp_eq_u32_e64 s[2:3], 3, v53
	v_cndmask_b32_e64 v56, v56, v17, s[2:3]
	s_or_b64 s[10:11], vcc, s[10:11]
	v_cmp_eq_u32_e32 vcc, 4, v53
	v_cndmask_b32_e32 v56, v56, v18, vcc
	v_cmp_eq_u32_e32 vcc, 5, v53
	v_cndmask_b32_e32 v56, v56, v19, vcc
	;; [unrolled: 2-line block ×3, first 2 shown]
	v_cmp_eq_u32_e32 vcc, 7, v53
	ds_read_b32 v57, v54
	v_cndmask_b32_e32 v56, v56, v21, vcc
	v_cmp_eq_u32_e32 vcc, 8, v53
	v_cndmask_b32_e32 v56, v56, v22, vcc
	v_cmp_eq_u32_e32 vcc, 9, v53
	;; [unrolled: 2-line block ×4, first 2 shown]
	v_add_co_u32_e64 v53, s[2:3], 1, v53
	v_cndmask_b32_e32 v56, v56, v25, vcc
	v_add_u32_e32 v54, 4, v54
	v_addc_co_u32_e64 v55, s[2:3], 0, v55, s[2:3]
	s_waitcnt lgkmcnt(0)
	v_fmac_f32_e32 v51, v56, v57
	s_andn2_b64 exec, exec, s[10:11]
	s_cbranch_execnz .LBB11_93
; %bb.94:
	s_or_b64 exec, exec, s[10:11]
.LBB11_95:
	s_or_b64 exec, exec, s[8:9]
.LBB11_96:
	s_or_b64 exec, exec, s[6:7]
	v_mov_b32_e32 v18, 0
	ds_read_b32 v18, v18 offset:16
	s_waitcnt lgkmcnt(0)
	v_mul_f32_e32 v18, v51, v18
.LBB11_97:
	s_or_b64 exec, exec, s[4:5]
	v_cmp_lt_u32_e64 s[2:3], 3, v0
	ds_write_b32 v50, v17
	s_waitcnt lgkmcnt(0)
	; wave barrier
	s_and_saveexec_b64 s[4:5], s[2:3]
	s_cbranch_execz .LBB11_113
; %bb.98:
	s_andn2_b64 vcc, exec, s[26:27]
	s_cbranch_vccnz .LBB11_100
; %bb.99:
	v_cmp_eq_u32_e32 vcc, 1, v0
	v_cndmask_b32_e32 v51, v14, v15, vcc
	v_cmp_eq_u32_e32 vcc, 2, v0
	v_cndmask_b32_e32 v51, v51, v16, vcc
	;; [unrolled: 2-line block ×7, first 2 shown]
	v_cmp_eq_u32_e32 vcc, 8, v0
	ds_read_b32 v52, v50
	v_cndmask_b32_e32 v51, v51, v22, vcc
	v_cmp_eq_u32_e32 vcc, 9, v0
	v_cndmask_b32_e32 v51, v51, v23, vcc
	v_cmp_eq_u32_e32 vcc, 10, v0
	;; [unrolled: 2-line block ×3, first 2 shown]
	v_cndmask_b32_e32 v51, v51, v25, vcc
	s_waitcnt lgkmcnt(0)
	v_mul_f32_e32 v51, v51, v52
	s_cbranch_execz .LBB11_101
	s_branch .LBB11_102
.LBB11_100:
                                        ; implicit-def: $vgpr51
.LBB11_101:
	ds_read_b32 v51, v50
.LBB11_102:
	s_and_saveexec_b64 s[6:7], s[0:1]
	s_cbranch_execz .LBB11_112
; %bb.103:
	v_add_u32_e32 v53, -5, v0
	v_add_u32_e32 v52, -4, v0
	v_cmp_lt_u32_e32 vcc, 6, v53
	v_mov_b32_e32 v53, 4
	s_and_saveexec_b64 s[0:1], vcc
	s_cbranch_execz .LBB11_107
; %bb.104:
	v_and_b32_e32 v53, -8, v52
	v_sub_u32_e32 v54, 0, v53
	s_mov_b64 s[8:9], 5
	s_mov_b32 s12, 64
	s_mov_b64 s[10:11], 0
.LBB11_105:                             ; =>This Inner Loop Header: Depth=1
	s_add_i32 s13, s8, -1
	v_mov_b32_e32 v59, s12
	s_set_gpr_idx_on s13, gpr_idx(SRC0)
	v_mov_b32_e32 v53, v14
	s_set_gpr_idx_off
	ds_read_b128 v[55:58], v59
	ds_read_b128 v[59:62], v59 offset:16
	s_add_i32 s13, s8, 1
	s_waitcnt lgkmcnt(1)
	v_fmac_f32_e32 v51, v53, v55
	s_set_gpr_idx_on s8, gpr_idx(SRC0)
	v_mov_b32_e32 v53, v14
	s_set_gpr_idx_off
	v_fmac_f32_e32 v51, v53, v56
	s_set_gpr_idx_on s13, gpr_idx(SRC0)
	v_mov_b32_e32 v53, v14
	s_set_gpr_idx_off
	s_add_i32 s13, s8, 2
	v_fmac_f32_e32 v51, v53, v57
	s_set_gpr_idx_on s13, gpr_idx(SRC0)
	v_mov_b32_e32 v53, v14
	s_set_gpr_idx_off
	s_add_i32 s13, s8, 3
	;; [unrolled: 5-line block ×3, first 2 shown]
	s_waitcnt lgkmcnt(0)
	v_fmac_f32_e32 v51, v53, v59
	s_set_gpr_idx_on s13, gpr_idx(SRC0)
	v_mov_b32_e32 v53, v14
	s_set_gpr_idx_off
	s_add_i32 s13, s8, 5
	v_fmac_f32_e32 v51, v53, v60
	s_set_gpr_idx_on s13, gpr_idx(SRC0)
	v_mov_b32_e32 v53, v14
	s_set_gpr_idx_off
	s_add_i32 s13, s8, 6
	v_fmac_f32_e32 v51, v53, v61
	s_set_gpr_idx_on s13, gpr_idx(SRC0)
	v_mov_b32_e32 v53, v14
	s_set_gpr_idx_off
	s_add_u32 s8, s8, 8
	v_fmac_f32_e32 v51, v53, v62
	v_add_u32_e32 v53, s8, v54
	s_addc_u32 s9, s9, 0
	s_add_i32 s12, s12, 32
	v_cmp_eq_u32_e32 vcc, 5, v53
	s_add_i32 s13, s8, -1
	s_or_b64 s[10:11], vcc, s[10:11]
	v_mov_b32_e32 v53, s13
	s_andn2_b64 exec, exec, s[10:11]
	s_cbranch_execnz .LBB11_105
; %bb.106:
	s_or_b64 exec, exec, s[10:11]
.LBB11_107:
	s_or_b64 exec, exec, s[0:1]
	v_and_b32_e32 v52, 7, v52
	v_cmp_ne_u32_e32 vcc, 0, v52
	s_and_saveexec_b64 s[8:9], vcc
	s_cbranch_execz .LBB11_111
; %bb.108:
	v_lshl_add_u32 v54, v53, 2, 48
	v_mov_b32_e32 v55, 0
	s_mov_b64 s[10:11], 0
.LBB11_109:                             ; =>This Inner Loop Header: Depth=1
	v_cmp_eq_u32_e32 vcc, 1, v53
	v_cndmask_b32_e32 v56, v14, v15, vcc
	v_add_u32_e32 v52, -1, v52
	v_cmp_eq_u32_e32 vcc, 2, v53
	v_cndmask_b32_e32 v56, v56, v16, vcc
	v_cmp_eq_u32_e32 vcc, 0, v52
	v_cmp_eq_u32_e64 s[0:1], 3, v53
	v_cndmask_b32_e64 v56, v56, v17, s[0:1]
	s_or_b64 s[10:11], vcc, s[10:11]
	v_cmp_eq_u32_e32 vcc, 4, v53
	v_cndmask_b32_e32 v56, v56, v18, vcc
	v_cmp_eq_u32_e32 vcc, 5, v53
	v_cndmask_b32_e32 v56, v56, v19, vcc
	;; [unrolled: 2-line block ×3, first 2 shown]
	v_cmp_eq_u32_e32 vcc, 7, v53
	ds_read_b32 v57, v54
	v_cndmask_b32_e32 v56, v56, v21, vcc
	v_cmp_eq_u32_e32 vcc, 8, v53
	v_cndmask_b32_e32 v56, v56, v22, vcc
	v_cmp_eq_u32_e32 vcc, 9, v53
	;; [unrolled: 2-line block ×4, first 2 shown]
	v_add_co_u32_e64 v53, s[0:1], 1, v53
	v_cndmask_b32_e32 v56, v56, v25, vcc
	v_add_u32_e32 v54, 4, v54
	v_addc_co_u32_e64 v55, s[0:1], 0, v55, s[0:1]
	s_waitcnt lgkmcnt(0)
	v_fmac_f32_e32 v51, v56, v57
	s_andn2_b64 exec, exec, s[10:11]
	s_cbranch_execnz .LBB11_109
; %bb.110:
	s_or_b64 exec, exec, s[10:11]
.LBB11_111:
	s_or_b64 exec, exec, s[8:9]
.LBB11_112:
	s_or_b64 exec, exec, s[6:7]
	v_mov_b32_e32 v17, 0
	ds_read_b32 v17, v17 offset:12
	s_waitcnt lgkmcnt(0)
	v_mul_f32_e32 v17, v51, v17
.LBB11_113:
	s_or_b64 exec, exec, s[4:5]
	v_cmp_lt_u32_e64 s[0:1], 2, v0
	ds_write_b32 v50, v16
	s_waitcnt lgkmcnt(0)
	; wave barrier
	s_and_saveexec_b64 s[4:5], s[0:1]
	s_cbranch_execz .LBB11_129
; %bb.114:
	s_andn2_b64 vcc, exec, s[26:27]
	s_cbranch_vccnz .LBB11_116
; %bb.115:
	v_cmp_eq_u32_e32 vcc, 1, v0
	v_cndmask_b32_e32 v51, v14, v15, vcc
	v_cmp_eq_u32_e32 vcc, 2, v0
	v_cndmask_b32_e32 v51, v51, v16, vcc
	;; [unrolled: 2-line block ×7, first 2 shown]
	v_cmp_eq_u32_e32 vcc, 8, v0
	ds_read_b32 v52, v50
	v_cndmask_b32_e32 v51, v51, v22, vcc
	v_cmp_eq_u32_e32 vcc, 9, v0
	v_cndmask_b32_e32 v51, v51, v23, vcc
	v_cmp_eq_u32_e32 vcc, 10, v0
	;; [unrolled: 2-line block ×3, first 2 shown]
	v_cndmask_b32_e32 v51, v51, v25, vcc
	s_waitcnt lgkmcnt(0)
	v_mul_f32_e32 v51, v51, v52
	s_cbranch_execz .LBB11_117
	s_branch .LBB11_118
.LBB11_116:
                                        ; implicit-def: $vgpr51
.LBB11_117:
	ds_read_b32 v51, v50
.LBB11_118:
	s_and_saveexec_b64 s[6:7], s[2:3]
	s_cbranch_execz .LBB11_128
; %bb.119:
	v_add_u32_e32 v53, -4, v0
	v_add_u32_e32 v52, -3, v0
	v_cmp_lt_u32_e32 vcc, 6, v53
	v_mov_b32_e32 v53, 3
	s_and_saveexec_b64 s[2:3], vcc
	s_cbranch_execz .LBB11_123
; %bb.120:
	v_and_b32_e32 v53, -8, v52
	v_sub_u32_e32 v54, 0, v53
	s_mov_b64 s[8:9], 10
	s_mov_b32 s12, 60
	s_mov_b64 s[10:11], 0
.LBB11_121:                             ; =>This Inner Loop Header: Depth=1
	s_add_i32 s13, s8, -7
	v_mov_b32_e32 v57, s12
	s_set_gpr_idx_on s13, gpr_idx(SRC0)
	v_mov_b32_e32 v53, v14
	s_set_gpr_idx_off
	ds_read2_b32 v[55:56], v57 offset1:1
	s_add_i32 s13, s8, -6
	s_waitcnt lgkmcnt(0)
	v_fmac_f32_e32 v51, v53, v55
	s_set_gpr_idx_on s13, gpr_idx(SRC0)
	v_mov_b32_e32 v53, v14
	s_set_gpr_idx_off
	s_add_i32 s13, s8, -5
	v_fmac_f32_e32 v51, v53, v56
	s_set_gpr_idx_on s13, gpr_idx(SRC0)
	v_mov_b32_e32 v53, v14
	s_set_gpr_idx_off
	ds_read2_b32 v[55:56], v57 offset0:2 offset1:3
	s_add_i32 s13, s8, -4
	s_waitcnt lgkmcnt(0)
	v_fmac_f32_e32 v51, v53, v55
	s_set_gpr_idx_on s13, gpr_idx(SRC0)
	v_mov_b32_e32 v53, v14
	s_set_gpr_idx_off
	s_add_i32 s13, s8, -3
	v_fmac_f32_e32 v51, v53, v56
	s_set_gpr_idx_on s13, gpr_idx(SRC0)
	v_mov_b32_e32 v53, v14
	s_set_gpr_idx_off
	ds_read2_b32 v[55:56], v57 offset0:4 offset1:5
	s_add_i32 s13, s8, -2
	s_waitcnt lgkmcnt(0)
	v_fmac_f32_e32 v51, v53, v55
	s_set_gpr_idx_on s13, gpr_idx(SRC0)
	v_mov_b32_e32 v53, v14
	s_set_gpr_idx_off
	s_add_i32 s13, s8, -1
	v_fmac_f32_e32 v51, v53, v56
	s_set_gpr_idx_on s13, gpr_idx(SRC0)
	v_mov_b32_e32 v53, v14
	s_set_gpr_idx_off
	ds_read2_b32 v[55:56], v57 offset0:6 offset1:7
	s_waitcnt lgkmcnt(0)
	v_fmac_f32_e32 v51, v53, v55
	s_set_gpr_idx_on s8, gpr_idx(SRC0)
	v_mov_b32_e32 v53, v14
	s_set_gpr_idx_off
	s_add_u32 s8, s8, 8
	v_fmac_f32_e32 v51, v53, v56
	v_add_u32_e32 v53, s8, v54
	s_addc_u32 s9, s9, 0
	s_add_i32 s12, s12, 32
	v_cmp_eq_u32_e32 vcc, 10, v53
	s_add_i32 s13, s8, -7
	s_or_b64 s[10:11], vcc, s[10:11]
	v_mov_b32_e32 v53, s13
	s_andn2_b64 exec, exec, s[10:11]
	s_cbranch_execnz .LBB11_121
; %bb.122:
	s_or_b64 exec, exec, s[10:11]
.LBB11_123:
	s_or_b64 exec, exec, s[2:3]
	v_and_b32_e32 v52, 7, v52
	v_cmp_ne_u32_e32 vcc, 0, v52
	s_and_saveexec_b64 s[8:9], vcc
	s_cbranch_execz .LBB11_127
; %bb.124:
	v_lshl_add_u32 v54, v53, 2, 48
	v_mov_b32_e32 v55, 0
	s_mov_b64 s[10:11], 0
.LBB11_125:                             ; =>This Inner Loop Header: Depth=1
	v_cmp_eq_u32_e32 vcc, 1, v53
	v_cndmask_b32_e32 v56, v14, v15, vcc
	v_add_u32_e32 v52, -1, v52
	v_cmp_eq_u32_e32 vcc, 2, v53
	v_cndmask_b32_e32 v56, v56, v16, vcc
	v_cmp_eq_u32_e32 vcc, 0, v52
	v_cmp_eq_u32_e64 s[2:3], 3, v53
	v_cndmask_b32_e64 v56, v56, v17, s[2:3]
	s_or_b64 s[10:11], vcc, s[10:11]
	v_cmp_eq_u32_e32 vcc, 4, v53
	v_cndmask_b32_e32 v56, v56, v18, vcc
	v_cmp_eq_u32_e32 vcc, 5, v53
	v_cndmask_b32_e32 v56, v56, v19, vcc
	;; [unrolled: 2-line block ×3, first 2 shown]
	v_cmp_eq_u32_e32 vcc, 7, v53
	ds_read_b32 v57, v54
	v_cndmask_b32_e32 v56, v56, v21, vcc
	v_cmp_eq_u32_e32 vcc, 8, v53
	v_cndmask_b32_e32 v56, v56, v22, vcc
	v_cmp_eq_u32_e32 vcc, 9, v53
	;; [unrolled: 2-line block ×4, first 2 shown]
	v_add_co_u32_e64 v53, s[2:3], 1, v53
	v_cndmask_b32_e32 v56, v56, v25, vcc
	v_add_u32_e32 v54, 4, v54
	v_addc_co_u32_e64 v55, s[2:3], 0, v55, s[2:3]
	s_waitcnt lgkmcnt(0)
	v_fmac_f32_e32 v51, v56, v57
	s_andn2_b64 exec, exec, s[10:11]
	s_cbranch_execnz .LBB11_125
; %bb.126:
	s_or_b64 exec, exec, s[10:11]
.LBB11_127:
	s_or_b64 exec, exec, s[8:9]
.LBB11_128:
	s_or_b64 exec, exec, s[6:7]
	v_mov_b32_e32 v16, 0
	ds_read_b32 v16, v16 offset:8
	s_waitcnt lgkmcnt(0)
	v_mul_f32_e32 v16, v51, v16
.LBB11_129:
	s_or_b64 exec, exec, s[4:5]
	v_cmp_lt_u32_e64 s[2:3], 1, v0
	ds_write_b32 v50, v15
	s_waitcnt lgkmcnt(0)
	; wave barrier
	s_and_saveexec_b64 s[4:5], s[2:3]
	s_cbranch_execz .LBB11_145
; %bb.130:
	s_andn2_b64 vcc, exec, s[26:27]
	s_cbranch_vccnz .LBB11_132
; %bb.131:
	v_cmp_eq_u32_e32 vcc, 1, v0
	v_cndmask_b32_e32 v51, v14, v15, vcc
	v_cmp_eq_u32_e32 vcc, 2, v0
	v_cndmask_b32_e32 v51, v51, v16, vcc
	;; [unrolled: 2-line block ×7, first 2 shown]
	v_cmp_eq_u32_e32 vcc, 8, v0
	ds_read_b32 v52, v50
	v_cndmask_b32_e32 v51, v51, v22, vcc
	v_cmp_eq_u32_e32 vcc, 9, v0
	v_cndmask_b32_e32 v51, v51, v23, vcc
	v_cmp_eq_u32_e32 vcc, 10, v0
	;; [unrolled: 2-line block ×3, first 2 shown]
	v_cndmask_b32_e32 v51, v51, v25, vcc
	s_waitcnt lgkmcnt(0)
	v_mul_f32_e32 v51, v51, v52
	s_cbranch_execz .LBB11_133
	s_branch .LBB11_134
.LBB11_132:
                                        ; implicit-def: $vgpr51
.LBB11_133:
	ds_read_b32 v51, v50
.LBB11_134:
	s_and_saveexec_b64 s[6:7], s[0:1]
	s_cbranch_execz .LBB11_144
; %bb.135:
	v_add_u32_e32 v53, -3, v0
	v_add_u32_e32 v52, -2, v0
	v_cmp_lt_u32_e32 vcc, 6, v53
	v_mov_b32_e32 v53, 2
	s_and_saveexec_b64 s[0:1], vcc
	s_cbranch_execz .LBB11_139
; %bb.136:
	v_and_b32_e32 v53, -8, v52
	v_sub_u32_e32 v54, 0, v53
	s_mov_b64 s[8:9], 9
	s_mov_b32 s12, 56
	s_mov_b64 s[10:11], 0
.LBB11_137:                             ; =>This Inner Loop Header: Depth=1
	s_add_i32 s13, s8, -7
	v_mov_b32_e32 v59, s12
	s_set_gpr_idx_on s13, gpr_idx(SRC0)
	v_mov_b32_e32 v53, v14
	s_set_gpr_idx_off
	ds_read2_b64 v[55:58], v59 offset1:1
	s_add_i32 s13, s8, -6
	s_waitcnt lgkmcnt(0)
	v_fmac_f32_e32 v51, v53, v55
	s_set_gpr_idx_on s13, gpr_idx(SRC0)
	v_mov_b32_e32 v53, v14
	s_set_gpr_idx_off
	s_add_i32 s13, s8, -5
	v_fmac_f32_e32 v51, v53, v56
	s_set_gpr_idx_on s13, gpr_idx(SRC0)
	v_mov_b32_e32 v53, v14
	s_set_gpr_idx_off
	s_add_i32 s13, s8, -4
	;; [unrolled: 5-line block ×3, first 2 shown]
	v_fmac_f32_e32 v51, v53, v58
	s_set_gpr_idx_on s13, gpr_idx(SRC0)
	v_mov_b32_e32 v53, v14
	s_set_gpr_idx_off
	ds_read2_b64 v[55:58], v59 offset0:2 offset1:3
	s_add_i32 s13, s8, -2
	s_waitcnt lgkmcnt(0)
	v_fmac_f32_e32 v51, v53, v55
	s_set_gpr_idx_on s13, gpr_idx(SRC0)
	v_mov_b32_e32 v53, v14
	s_set_gpr_idx_off
	s_add_i32 s13, s8, -1
	v_fmac_f32_e32 v51, v53, v56
	s_set_gpr_idx_on s13, gpr_idx(SRC0)
	v_mov_b32_e32 v53, v14
	s_set_gpr_idx_off
	v_fmac_f32_e32 v51, v53, v57
	s_set_gpr_idx_on s8, gpr_idx(SRC0)
	v_mov_b32_e32 v53, v14
	s_set_gpr_idx_off
	s_add_u32 s8, s8, 8
	v_fmac_f32_e32 v51, v53, v58
	v_add_u32_e32 v53, s8, v54
	s_addc_u32 s9, s9, 0
	s_add_i32 s12, s12, 32
	v_cmp_eq_u32_e32 vcc, 9, v53
	s_add_i32 s13, s8, -7
	s_or_b64 s[10:11], vcc, s[10:11]
	v_mov_b32_e32 v53, s13
	s_andn2_b64 exec, exec, s[10:11]
	s_cbranch_execnz .LBB11_137
; %bb.138:
	s_or_b64 exec, exec, s[10:11]
.LBB11_139:
	s_or_b64 exec, exec, s[0:1]
	v_and_b32_e32 v52, 7, v52
	v_cmp_ne_u32_e32 vcc, 0, v52
	s_and_saveexec_b64 s[8:9], vcc
	s_cbranch_execz .LBB11_143
; %bb.140:
	v_lshl_add_u32 v54, v53, 2, 48
	v_mov_b32_e32 v55, 0
	s_mov_b64 s[10:11], 0
.LBB11_141:                             ; =>This Inner Loop Header: Depth=1
	v_cmp_eq_u32_e32 vcc, 1, v53
	v_cndmask_b32_e32 v56, v14, v15, vcc
	v_add_u32_e32 v52, -1, v52
	v_cmp_eq_u32_e32 vcc, 2, v53
	v_cndmask_b32_e32 v56, v56, v16, vcc
	v_cmp_eq_u32_e32 vcc, 0, v52
	v_cmp_eq_u32_e64 s[0:1], 3, v53
	v_cndmask_b32_e64 v56, v56, v17, s[0:1]
	s_or_b64 s[10:11], vcc, s[10:11]
	v_cmp_eq_u32_e32 vcc, 4, v53
	v_cndmask_b32_e32 v56, v56, v18, vcc
	v_cmp_eq_u32_e32 vcc, 5, v53
	v_cndmask_b32_e32 v56, v56, v19, vcc
	;; [unrolled: 2-line block ×3, first 2 shown]
	v_cmp_eq_u32_e32 vcc, 7, v53
	ds_read_b32 v57, v54
	v_cndmask_b32_e32 v56, v56, v21, vcc
	v_cmp_eq_u32_e32 vcc, 8, v53
	v_cndmask_b32_e32 v56, v56, v22, vcc
	v_cmp_eq_u32_e32 vcc, 9, v53
	;; [unrolled: 2-line block ×4, first 2 shown]
	v_add_co_u32_e64 v53, s[0:1], 1, v53
	v_cndmask_b32_e32 v56, v56, v25, vcc
	v_add_u32_e32 v54, 4, v54
	v_addc_co_u32_e64 v55, s[0:1], 0, v55, s[0:1]
	s_waitcnt lgkmcnt(0)
	v_fmac_f32_e32 v51, v56, v57
	s_andn2_b64 exec, exec, s[10:11]
	s_cbranch_execnz .LBB11_141
; %bb.142:
	s_or_b64 exec, exec, s[10:11]
.LBB11_143:
	s_or_b64 exec, exec, s[8:9]
.LBB11_144:
	s_or_b64 exec, exec, s[6:7]
	v_mov_b32_e32 v15, 0
	ds_read_b32 v15, v15 offset:4
	s_waitcnt lgkmcnt(0)
	v_mul_f32_e32 v15, v51, v15
.LBB11_145:
	s_or_b64 exec, exec, s[4:5]
	v_cmp_ne_u32_e32 vcc, 0, v0
	ds_write_b32 v50, v14
	s_waitcnt lgkmcnt(0)
	; wave barrier
	s_and_saveexec_b64 s[4:5], vcc
	s_cbranch_execz .LBB11_161
; %bb.146:
	s_andn2_b64 vcc, exec, s[26:27]
	s_cbranch_vccnz .LBB11_148
; %bb.147:
	v_cmp_eq_u32_e32 vcc, 1, v0
	v_cndmask_b32_e32 v51, v14, v15, vcc
	v_cmp_eq_u32_e32 vcc, 2, v0
	v_cndmask_b32_e32 v51, v51, v16, vcc
	;; [unrolled: 2-line block ×7, first 2 shown]
	v_cmp_eq_u32_e32 vcc, 8, v0
	ds_read_b32 v52, v50
	v_cndmask_b32_e32 v51, v51, v22, vcc
	v_cmp_eq_u32_e32 vcc, 9, v0
	v_cndmask_b32_e32 v51, v51, v23, vcc
	v_cmp_eq_u32_e32 vcc, 10, v0
	;; [unrolled: 2-line block ×3, first 2 shown]
	v_cndmask_b32_e32 v51, v51, v25, vcc
	s_waitcnt lgkmcnt(0)
	v_mul_f32_e32 v51, v51, v52
	s_cbranch_execz .LBB11_149
	s_branch .LBB11_150
.LBB11_148:
                                        ; implicit-def: $vgpr51
.LBB11_149:
	ds_read_b32 v51, v50
.LBB11_150:
	s_and_saveexec_b64 s[6:7], s[2:3]
	s_cbranch_execz .LBB11_160
; %bb.151:
	v_add_u32_e32 v53, -2, v0
	v_add_u32_e32 v52, -1, v0
	v_cmp_lt_u32_e32 vcc, 6, v53
	v_mov_b32_e32 v53, 1
	s_and_saveexec_b64 s[0:1], vcc
	s_cbranch_execz .LBB11_155
; %bb.152:
	v_and_b32_e32 v53, -8, v52
	v_sub_u32_e32 v54, 0, v53
	s_mov_b64 s[2:3], 8
	s_mov_b32 s10, 52
	s_mov_b64 s[8:9], 0
.LBB11_153:                             ; =>This Inner Loop Header: Depth=1
	s_add_i32 s11, s2, -7
	v_mov_b32_e32 v57, s10
	s_set_gpr_idx_on s11, gpr_idx(SRC0)
	v_mov_b32_e32 v53, v14
	s_set_gpr_idx_off
	ds_read2_b32 v[55:56], v57 offset1:1
	s_add_i32 s11, s2, -6
	s_waitcnt lgkmcnt(0)
	v_fmac_f32_e32 v51, v53, v55
	s_set_gpr_idx_on s11, gpr_idx(SRC0)
	v_mov_b32_e32 v53, v14
	s_set_gpr_idx_off
	s_add_i32 s11, s2, -5
	v_fmac_f32_e32 v51, v53, v56
	s_set_gpr_idx_on s11, gpr_idx(SRC0)
	v_mov_b32_e32 v53, v14
	s_set_gpr_idx_off
	ds_read2_b32 v[55:56], v57 offset0:2 offset1:3
	s_add_i32 s11, s2, -4
	s_waitcnt lgkmcnt(0)
	v_fmac_f32_e32 v51, v53, v55
	s_set_gpr_idx_on s11, gpr_idx(SRC0)
	v_mov_b32_e32 v53, v14
	s_set_gpr_idx_off
	s_add_i32 s11, s2, -3
	v_fmac_f32_e32 v51, v53, v56
	s_set_gpr_idx_on s11, gpr_idx(SRC0)
	v_mov_b32_e32 v53, v14
	s_set_gpr_idx_off
	ds_read2_b32 v[55:56], v57 offset0:4 offset1:5
	;; [unrolled: 12-line block ×3, first 2 shown]
	s_waitcnt lgkmcnt(0)
	v_fmac_f32_e32 v51, v53, v55
	s_set_gpr_idx_on s2, gpr_idx(SRC0)
	v_mov_b32_e32 v53, v14
	s_set_gpr_idx_off
	s_add_u32 s2, s2, 8
	v_fmac_f32_e32 v51, v53, v56
	v_add_u32_e32 v53, s2, v54
	s_addc_u32 s3, s3, 0
	s_add_i32 s10, s10, 32
	v_cmp_eq_u32_e32 vcc, 8, v53
	s_add_i32 s11, s2, -7
	s_or_b64 s[8:9], vcc, s[8:9]
	v_mov_b32_e32 v53, s11
	s_andn2_b64 exec, exec, s[8:9]
	s_cbranch_execnz .LBB11_153
; %bb.154:
	s_or_b64 exec, exec, s[8:9]
.LBB11_155:
	s_or_b64 exec, exec, s[0:1]
	v_and_b32_e32 v52, 7, v52
	v_cmp_ne_u32_e32 vcc, 0, v52
	s_and_saveexec_b64 s[2:3], vcc
	s_cbranch_execz .LBB11_159
; %bb.156:
	v_lshl_add_u32 v54, v53, 2, 48
	v_mov_b32_e32 v55, 0
	s_mov_b64 s[8:9], 0
.LBB11_157:                             ; =>This Inner Loop Header: Depth=1
	v_cmp_eq_u32_e32 vcc, 1, v53
	v_cndmask_b32_e32 v56, v14, v15, vcc
	v_add_u32_e32 v52, -1, v52
	v_cmp_eq_u32_e32 vcc, 2, v53
	v_cndmask_b32_e32 v56, v56, v16, vcc
	v_cmp_eq_u32_e32 vcc, 0, v52
	v_cmp_eq_u32_e64 s[0:1], 3, v53
	v_cndmask_b32_e64 v56, v56, v17, s[0:1]
	s_or_b64 s[8:9], vcc, s[8:9]
	v_cmp_eq_u32_e32 vcc, 4, v53
	v_cndmask_b32_e32 v56, v56, v18, vcc
	v_cmp_eq_u32_e32 vcc, 5, v53
	v_cndmask_b32_e32 v56, v56, v19, vcc
	;; [unrolled: 2-line block ×3, first 2 shown]
	v_cmp_eq_u32_e32 vcc, 7, v53
	ds_read_b32 v57, v54
	v_cndmask_b32_e32 v56, v56, v21, vcc
	v_cmp_eq_u32_e32 vcc, 8, v53
	v_cndmask_b32_e32 v56, v56, v22, vcc
	v_cmp_eq_u32_e32 vcc, 9, v53
	;; [unrolled: 2-line block ×4, first 2 shown]
	v_add_co_u32_e64 v53, s[0:1], 1, v53
	v_cndmask_b32_e32 v56, v56, v25, vcc
	v_add_u32_e32 v54, 4, v54
	v_addc_co_u32_e64 v55, s[0:1], 0, v55, s[0:1]
	s_waitcnt lgkmcnt(0)
	v_fmac_f32_e32 v51, v56, v57
	s_andn2_b64 exec, exec, s[8:9]
	s_cbranch_execnz .LBB11_157
; %bb.158:
	s_or_b64 exec, exec, s[8:9]
.LBB11_159:
	s_or_b64 exec, exec, s[2:3]
.LBB11_160:
	s_or_b64 exec, exec, s[6:7]
	v_mov_b32_e32 v14, 0
	ds_read_b32 v14, v14
	s_waitcnt lgkmcnt(0)
	v_mul_f32_e32 v14, v51, v14
.LBB11_161:
	s_or_b64 exec, exec, s[4:5]
	s_branch .LBB11_275
.LBB11_162:
	v_cmp_eq_u32_e64 s[2:3], 0, v0
	s_waitcnt vmcnt(11)
	ds_write_b32 v50, v3
	s_waitcnt lgkmcnt(0)
	; wave barrier
	s_and_saveexec_b64 s[0:1], s[2:3]
	s_cbranch_execz .LBB11_168
; %bb.163:
	s_and_b64 vcc, exec, s[26:27]
	s_cbranch_vccz .LBB11_165
; %bb.164:
	v_cmp_eq_u32_e32 vcc, 1, v0
	s_waitcnt vmcnt(3)
	v_cndmask_b32_e32 v3, v2, v3, vcc
	v_cmp_eq_u32_e32 vcc, 2, v0
	v_cndmask_b32_e32 v3, v3, v4, vcc
	v_cmp_eq_u32_e32 vcc, 3, v0
	;; [unrolled: 2-line block ×7, first 2 shown]
	ds_read_b32 v14, v50
	v_cndmask_b32_e32 v3, v3, v10, vcc
	v_cmp_eq_u32_e32 vcc, 9, v0
	s_waitcnt vmcnt(2)
	v_cndmask_b32_e32 v3, v3, v11, vcc
	v_cmp_eq_u32_e32 vcc, 10, v0
	s_waitcnt vmcnt(1)
	;; [unrolled: 3-line block ×3, first 2 shown]
	v_cndmask_b32_e32 v3, v3, v13, vcc
	s_waitcnt lgkmcnt(0)
	v_mul_f32_e32 v3, v3, v14
	s_cbranch_execz .LBB11_166
	s_branch .LBB11_167
.LBB11_165:
                                        ; implicit-def: $vgpr3
.LBB11_166:
	ds_read_b32 v3, v50
.LBB11_167:
	v_mov_b32_e32 v14, 0
	ds_read_b32 v14, v14 offset:4
	s_waitcnt lgkmcnt(0)
	v_mul_f32_e32 v3, v3, v14
.LBB11_168:
	s_or_b64 exec, exec, s[0:1]
	v_cndmask_b32_e64 v14, 0, 1, s[26:27]
	v_cmp_gt_u32_e32 vcc, 2, v0
	v_cmp_ne_u32_e64 s[0:1], 1, v14
	s_waitcnt vmcnt(10)
	ds_write_b32 v50, v4
	s_waitcnt lgkmcnt(0)
	; wave barrier
	s_and_saveexec_b64 s[4:5], vcc
	s_cbranch_execz .LBB11_174
; %bb.169:
	s_and_b64 vcc, exec, s[0:1]
	s_cbranch_vccnz .LBB11_171
; %bb.170:
	v_cmp_eq_u32_e32 vcc, 1, v0
	s_waitcnt vmcnt(3)
	v_cndmask_b32_e32 v14, v2, v3, vcc
	v_cmp_eq_u32_e32 vcc, 2, v0
	v_cndmask_b32_e32 v4, v14, v4, vcc
	v_cmp_eq_u32_e32 vcc, 3, v0
	;; [unrolled: 2-line block ×7, first 2 shown]
	ds_read_b32 v14, v50
	v_cndmask_b32_e32 v4, v4, v10, vcc
	v_cmp_eq_u32_e32 vcc, 9, v0
	s_waitcnt vmcnt(2)
	v_cndmask_b32_e32 v4, v4, v11, vcc
	v_cmp_eq_u32_e32 vcc, 10, v0
	s_waitcnt vmcnt(1)
	;; [unrolled: 3-line block ×3, first 2 shown]
	v_cndmask_b32_e32 v4, v4, v13, vcc
	s_waitcnt lgkmcnt(0)
	v_mul_f32_e32 v4, v4, v14
	s_cbranch_execz .LBB11_172
	s_branch .LBB11_173
.LBB11_171:
                                        ; implicit-def: $vgpr4
.LBB11_172:
	ds_read_b32 v4, v50
.LBB11_173:
	v_mov_b32_e32 v14, 0
	ds_read2_b32 v[14:15], v14 offset0:2 offset1:13
	s_waitcnt lgkmcnt(0)
	v_fma_f32 v15, v3, v15, v4
	v_cndmask_b32_e64 v4, v4, v15, s[2:3]
	v_mul_f32_e32 v4, v4, v14
.LBB11_174:
	s_or_b64 exec, exec, s[4:5]
	v_add_u32_e32 v16, 1, v0
	v_cmp_gt_u32_e64 s[4:5], 3, v0
	s_waitcnt vmcnt(9)
	ds_write_b32 v50, v5
	s_waitcnt lgkmcnt(0)
	; wave barrier
	s_and_saveexec_b64 s[6:7], s[4:5]
	s_cbranch_execz .LBB11_182
; %bb.175:
	s_and_b64 vcc, exec, s[0:1]
	s_cbranch_vccnz .LBB11_177
; %bb.176:
	v_cmp_eq_u32_e32 vcc, 1, v0
	s_waitcnt vmcnt(3)
	v_cndmask_b32_e32 v14, v2, v3, vcc
	v_cmp_eq_u32_e32 vcc, 2, v0
	v_cndmask_b32_e32 v14, v14, v4, vcc
	v_cmp_eq_u32_e32 vcc, 3, v0
	;; [unrolled: 2-line block ×7, first 2 shown]
	ds_read_b32 v15, v50
	v_cndmask_b32_e32 v14, v14, v10, vcc
	v_cmp_eq_u32_e32 vcc, 9, v0
	s_waitcnt vmcnt(2)
	v_cndmask_b32_e32 v14, v14, v11, vcc
	v_cmp_eq_u32_e32 vcc, 10, v0
	s_waitcnt vmcnt(1)
	;; [unrolled: 3-line block ×3, first 2 shown]
	v_cndmask_b32_e32 v14, v14, v13, vcc
	s_waitcnt lgkmcnt(0)
	v_mul_f32_e32 v14, v14, v15
	s_cbranch_execz .LBB11_178
	s_branch .LBB11_179
.LBB11_177:
                                        ; implicit-def: $vgpr14
.LBB11_178:
	ds_read_b32 v14, v50
.LBB11_179:
	v_cmp_ne_u32_e32 vcc, 2, v0
	s_and_saveexec_b64 s[8:9], vcc
	s_cbranch_execz .LBB11_181
; %bb.180:
	v_cmp_eq_u32_e32 vcc, 1, v16
	s_waitcnt vmcnt(3)
	v_cndmask_b32_e32 v15, v2, v3, vcc
	v_cmp_eq_u32_e32 vcc, 2, v16
	v_cndmask_b32_e32 v15, v15, v4, vcc
	v_cmp_eq_u32_e32 vcc, 3, v16
	v_cndmask_b32_e32 v5, v15, v5, vcc
	v_cmp_eq_u32_e32 vcc, 4, v16
	v_cndmask_b32_e32 v5, v5, v6, vcc
	v_cmp_eq_u32_e32 vcc, 5, v16
	v_cndmask_b32_e32 v5, v5, v7, vcc
	v_cmp_eq_u32_e32 vcc, 6, v16
	v_cndmask_b32_e32 v5, v5, v8, vcc
	v_cmp_eq_u32_e32 vcc, 7, v16
	v_cndmask_b32_e32 v5, v5, v9, vcc
	v_cmp_eq_u32_e32 vcc, 8, v16
	v_mov_b32_e32 v15, 0
	v_cndmask_b32_e32 v5, v5, v10, vcc
	v_cmp_eq_u32_e32 vcc, 9, v16
	ds_read_b32 v17, v50 offset:4
	ds_read_b32 v15, v15 offset:56
	s_waitcnt vmcnt(2)
	v_cndmask_b32_e32 v5, v5, v11, vcc
	v_cmp_eq_u32_e32 vcc, 10, v16
	s_waitcnt vmcnt(1)
	v_cndmask_b32_e32 v5, v5, v12, vcc
	v_cmp_eq_u32_e32 vcc, 11, v16
	s_waitcnt vmcnt(0)
	v_cndmask_b32_e32 v5, v5, v13, vcc
	s_waitcnt lgkmcnt(1)
	v_fmac_f32_e32 v14, v5, v17
	s_waitcnt lgkmcnt(0)
	v_fma_f32 v5, v4, v15, v14
	v_cndmask_b32_e64 v14, v14, v5, s[2:3]
.LBB11_181:
	s_or_b64 exec, exec, s[8:9]
	v_mov_b32_e32 v5, 0
	ds_read_b32 v5, v5 offset:12
	s_waitcnt lgkmcnt(0)
	v_mul_f32_e32 v5, v14, v5
.LBB11_182:
	s_or_b64 exec, exec, s[6:7]
	v_cmp_gt_u32_e32 vcc, 4, v0
	s_waitcnt vmcnt(8)
	ds_write_b32 v50, v6
	s_waitcnt lgkmcnt(0)
	; wave barrier
	s_and_saveexec_b64 s[8:9], vcc
	s_cbranch_execz .LBB11_192
; %bb.183:
	s_and_b64 vcc, exec, s[0:1]
	s_cbranch_vccnz .LBB11_185
; %bb.184:
	v_cmp_eq_u32_e32 vcc, 1, v0
	s_waitcnt vmcnt(3)
	v_cndmask_b32_e32 v14, v2, v3, vcc
	v_cmp_eq_u32_e32 vcc, 2, v0
	v_cndmask_b32_e32 v14, v14, v4, vcc
	v_cmp_eq_u32_e32 vcc, 3, v0
	;; [unrolled: 2-line block ×7, first 2 shown]
	ds_read_b32 v15, v50
	v_cndmask_b32_e32 v14, v14, v10, vcc
	v_cmp_eq_u32_e32 vcc, 9, v0
	s_waitcnt vmcnt(2)
	v_cndmask_b32_e32 v14, v14, v11, vcc
	v_cmp_eq_u32_e32 vcc, 10, v0
	s_waitcnt vmcnt(1)
	;; [unrolled: 3-line block ×3, first 2 shown]
	v_cndmask_b32_e32 v14, v14, v13, vcc
	s_waitcnt lgkmcnt(0)
	v_mul_f32_e32 v17, v14, v15
	s_cbranch_execz .LBB11_186
	s_branch .LBB11_187
.LBB11_185:
                                        ; implicit-def: $vgpr17
.LBB11_186:
	ds_read_b32 v17, v50
.LBB11_187:
	v_cmp_ne_u32_e32 vcc, 3, v0
	s_and_saveexec_b64 s[10:11], vcc
	s_cbranch_execz .LBB11_191
; %bb.188:
	v_mov_b32_e32 v15, v1
	v_lshl_add_u32 v18, v0, 2, 52
	s_mov_b64 s[12:13], 0
	v_mov_b32_e32 v14, v0
.LBB11_189:                             ; =>This Inner Loop Header: Depth=1
	v_add_co_u32_e32 v14, vcc, 1, v14
	v_addc_co_u32_e32 v15, vcc, 0, v15, vcc
	v_cmp_eq_u32_e32 vcc, 1, v14
	s_waitcnt vmcnt(3)
	v_cndmask_b32_e32 v20, v2, v3, vcc
	v_cmp_lt_u32_e32 vcc, 2, v14
	v_cmp_eq_u32_e64 s[6:7], 2, v14
	v_cndmask_b32_e64 v20, v20, v4, s[6:7]
	s_or_b64 s[12:13], vcc, s[12:13]
	v_cmp_eq_u32_e32 vcc, 3, v14
	v_cndmask_b32_e32 v20, v20, v5, vcc
	v_cmp_eq_u32_e32 vcc, 4, v14
	v_cndmask_b32_e32 v20, v20, v6, vcc
	;; [unrolled: 2-line block ×4, first 2 shown]
	v_cmp_eq_u32_e32 vcc, 7, v14
	ds_read_b32 v19, v18
	v_cndmask_b32_e32 v20, v20, v9, vcc
	v_cmp_eq_u32_e32 vcc, 8, v14
	v_cndmask_b32_e32 v20, v20, v10, vcc
	v_cmp_eq_u32_e32 vcc, 9, v14
	s_waitcnt vmcnt(2)
	v_cndmask_b32_e32 v20, v20, v11, vcc
	v_cmp_eq_u32_e32 vcc, 10, v14
	s_waitcnt vmcnt(1)
	;; [unrolled: 3-line block ×3, first 2 shown]
	v_cndmask_b32_e32 v20, v20, v13, vcc
	v_add_u32_e32 v18, 4, v18
	s_waitcnt lgkmcnt(0)
	v_fmac_f32_e32 v17, v20, v19
	s_andn2_b64 exec, exec, s[12:13]
	s_cbranch_execnz .LBB11_189
; %bb.190:
	s_or_b64 exec, exec, s[12:13]
.LBB11_191:
	s_or_b64 exec, exec, s[10:11]
	v_mov_b32_e32 v6, 0
	ds_read_b32 v6, v6 offset:16
	s_waitcnt lgkmcnt(0)
	v_mul_f32_e32 v6, v17, v6
.LBB11_192:
	s_or_b64 exec, exec, s[8:9]
	v_cmp_gt_u32_e64 s[6:7], 5, v0
	s_waitcnt vmcnt(7)
	ds_write_b32 v50, v7
	s_waitcnt lgkmcnt(0)
	; wave barrier
	s_and_saveexec_b64 s[10:11], s[6:7]
	s_cbranch_execz .LBB11_202
; %bb.193:
	s_and_b64 vcc, exec, s[0:1]
	s_cbranch_vccnz .LBB11_195
; %bb.194:
	v_cmp_eq_u32_e32 vcc, 1, v0
	s_waitcnt vmcnt(3)
	v_cndmask_b32_e32 v14, v2, v3, vcc
	v_cmp_eq_u32_e32 vcc, 2, v0
	v_cndmask_b32_e32 v14, v14, v4, vcc
	v_cmp_eq_u32_e32 vcc, 3, v0
	;; [unrolled: 2-line block ×7, first 2 shown]
	ds_read_b32 v15, v50
	v_cndmask_b32_e32 v14, v14, v10, vcc
	v_cmp_eq_u32_e32 vcc, 9, v0
	s_waitcnt vmcnt(2)
	v_cndmask_b32_e32 v14, v14, v11, vcc
	v_cmp_eq_u32_e32 vcc, 10, v0
	s_waitcnt vmcnt(1)
	;; [unrolled: 3-line block ×3, first 2 shown]
	v_cndmask_b32_e32 v14, v14, v13, vcc
	s_waitcnt lgkmcnt(0)
	v_mul_f32_e32 v17, v14, v15
	s_cbranch_execz .LBB11_196
	s_branch .LBB11_197
.LBB11_195:
                                        ; implicit-def: $vgpr17
.LBB11_196:
	ds_read_b32 v17, v50
.LBB11_197:
	v_cmp_ne_u32_e32 vcc, 4, v0
	s_and_saveexec_b64 s[12:13], vcc
	s_cbranch_execz .LBB11_201
; %bb.198:
	v_mov_b32_e32 v15, v1
	v_lshl_add_u32 v18, v0, 2, 52
	s_mov_b64 s[14:15], 0
	v_mov_b32_e32 v14, v0
.LBB11_199:                             ; =>This Inner Loop Header: Depth=1
	v_add_co_u32_e32 v14, vcc, 1, v14
	v_addc_co_u32_e32 v15, vcc, 0, v15, vcc
	v_cmp_eq_u32_e32 vcc, 1, v14
	s_waitcnt vmcnt(3)
	v_cndmask_b32_e32 v20, v2, v3, vcc
	v_cmp_lt_u32_e32 vcc, 3, v14
	v_cmp_eq_u32_e64 s[8:9], 2, v14
	v_cndmask_b32_e64 v20, v20, v4, s[8:9]
	s_or_b64 s[14:15], vcc, s[14:15]
	v_cmp_eq_u32_e32 vcc, 3, v14
	v_cndmask_b32_e32 v20, v20, v5, vcc
	v_cmp_eq_u32_e32 vcc, 4, v14
	v_cndmask_b32_e32 v20, v20, v6, vcc
	;; [unrolled: 2-line block ×4, first 2 shown]
	v_cmp_eq_u32_e32 vcc, 7, v14
	ds_read_b32 v19, v18
	v_cndmask_b32_e32 v20, v20, v9, vcc
	v_cmp_eq_u32_e32 vcc, 8, v14
	v_cndmask_b32_e32 v20, v20, v10, vcc
	v_cmp_eq_u32_e32 vcc, 9, v14
	s_waitcnt vmcnt(2)
	v_cndmask_b32_e32 v20, v20, v11, vcc
	v_cmp_eq_u32_e32 vcc, 10, v14
	s_waitcnt vmcnt(1)
	;; [unrolled: 3-line block ×3, first 2 shown]
	v_cndmask_b32_e32 v20, v20, v13, vcc
	v_add_u32_e32 v18, 4, v18
	s_waitcnt lgkmcnt(0)
	v_fmac_f32_e32 v17, v20, v19
	s_andn2_b64 exec, exec, s[14:15]
	s_cbranch_execnz .LBB11_199
; %bb.200:
	s_or_b64 exec, exec, s[14:15]
.LBB11_201:
	s_or_b64 exec, exec, s[12:13]
	v_mov_b32_e32 v7, 0
	ds_read_b32 v7, v7 offset:20
	s_waitcnt lgkmcnt(0)
	v_mul_f32_e32 v7, v17, v7
.LBB11_202:
	s_or_b64 exec, exec, s[10:11]
	v_cmp_gt_u32_e32 vcc, 6, v0
	s_waitcnt vmcnt(6)
	ds_write_b32 v50, v8
	s_waitcnt lgkmcnt(0)
	; wave barrier
	s_and_saveexec_b64 s[10:11], vcc
	s_cbranch_execz .LBB11_212
; %bb.203:
	s_and_b64 vcc, exec, s[0:1]
	s_cbranch_vccnz .LBB11_205
; %bb.204:
	v_cmp_eq_u32_e32 vcc, 1, v0
	s_waitcnt vmcnt(3)
	v_cndmask_b32_e32 v14, v2, v3, vcc
	v_cmp_eq_u32_e32 vcc, 2, v0
	v_cndmask_b32_e32 v14, v14, v4, vcc
	v_cmp_eq_u32_e32 vcc, 3, v0
	;; [unrolled: 2-line block ×7, first 2 shown]
	ds_read_b32 v15, v50
	v_cndmask_b32_e32 v14, v14, v10, vcc
	v_cmp_eq_u32_e32 vcc, 9, v0
	s_waitcnt vmcnt(2)
	v_cndmask_b32_e32 v14, v14, v11, vcc
	v_cmp_eq_u32_e32 vcc, 10, v0
	s_waitcnt vmcnt(1)
	;; [unrolled: 3-line block ×3, first 2 shown]
	v_cndmask_b32_e32 v14, v14, v13, vcc
	s_waitcnt lgkmcnt(0)
	v_mul_f32_e32 v17, v14, v15
	s_cbranch_execz .LBB11_206
	s_branch .LBB11_207
.LBB11_205:
                                        ; implicit-def: $vgpr17
.LBB11_206:
	ds_read_b32 v17, v50
.LBB11_207:
	v_cmp_ne_u32_e32 vcc, 5, v0
	s_and_saveexec_b64 s[12:13], vcc
	s_cbranch_execz .LBB11_211
; %bb.208:
	v_mov_b32_e32 v15, v1
	v_lshl_add_u32 v18, v0, 2, 52
	s_mov_b64 s[14:15], 0
	v_mov_b32_e32 v14, v0
.LBB11_209:                             ; =>This Inner Loop Header: Depth=1
	v_add_co_u32_e32 v14, vcc, 1, v14
	v_addc_co_u32_e32 v15, vcc, 0, v15, vcc
	v_cmp_eq_u32_e32 vcc, 1, v14
	s_waitcnt vmcnt(3)
	v_cndmask_b32_e32 v20, v2, v3, vcc
	v_cmp_lt_u32_e32 vcc, 4, v14
	v_cmp_eq_u32_e64 s[8:9], 2, v14
	v_cndmask_b32_e64 v20, v20, v4, s[8:9]
	s_or_b64 s[14:15], vcc, s[14:15]
	v_cmp_eq_u32_e32 vcc, 3, v14
	v_cndmask_b32_e32 v20, v20, v5, vcc
	v_cmp_eq_u32_e32 vcc, 4, v14
	v_cndmask_b32_e32 v20, v20, v6, vcc
	;; [unrolled: 2-line block ×4, first 2 shown]
	v_cmp_eq_u32_e32 vcc, 7, v14
	ds_read_b32 v19, v18
	v_cndmask_b32_e32 v20, v20, v9, vcc
	v_cmp_eq_u32_e32 vcc, 8, v14
	v_cndmask_b32_e32 v20, v20, v10, vcc
	v_cmp_eq_u32_e32 vcc, 9, v14
	s_waitcnt vmcnt(2)
	v_cndmask_b32_e32 v20, v20, v11, vcc
	v_cmp_eq_u32_e32 vcc, 10, v14
	s_waitcnt vmcnt(1)
	;; [unrolled: 3-line block ×3, first 2 shown]
	v_cndmask_b32_e32 v20, v20, v13, vcc
	v_add_u32_e32 v18, 4, v18
	s_waitcnt lgkmcnt(0)
	v_fmac_f32_e32 v17, v20, v19
	s_andn2_b64 exec, exec, s[14:15]
	s_cbranch_execnz .LBB11_209
; %bb.210:
	s_or_b64 exec, exec, s[14:15]
.LBB11_211:
	s_or_b64 exec, exec, s[12:13]
	v_mov_b32_e32 v8, 0
	ds_read_b32 v8, v8 offset:24
	s_waitcnt lgkmcnt(0)
	v_mul_f32_e32 v8, v17, v8
.LBB11_212:
	s_or_b64 exec, exec, s[10:11]
	v_cmp_gt_u32_e64 s[8:9], 7, v0
	s_waitcnt vmcnt(5)
	ds_write_b32 v50, v9
	s_waitcnt lgkmcnt(0)
	; wave barrier
	s_and_saveexec_b64 s[12:13], s[8:9]
	s_cbranch_execz .LBB11_222
; %bb.213:
	s_and_b64 vcc, exec, s[0:1]
	s_cbranch_vccnz .LBB11_215
; %bb.214:
	v_cmp_eq_u32_e32 vcc, 1, v0
	s_waitcnt vmcnt(3)
	v_cndmask_b32_e32 v14, v2, v3, vcc
	v_cmp_eq_u32_e32 vcc, 2, v0
	v_cndmask_b32_e32 v14, v14, v4, vcc
	v_cmp_eq_u32_e32 vcc, 3, v0
	;; [unrolled: 2-line block ×7, first 2 shown]
	ds_read_b32 v15, v50
	v_cndmask_b32_e32 v14, v14, v10, vcc
	v_cmp_eq_u32_e32 vcc, 9, v0
	s_waitcnt vmcnt(2)
	v_cndmask_b32_e32 v14, v14, v11, vcc
	v_cmp_eq_u32_e32 vcc, 10, v0
	s_waitcnt vmcnt(1)
	;; [unrolled: 3-line block ×3, first 2 shown]
	v_cndmask_b32_e32 v14, v14, v13, vcc
	s_waitcnt lgkmcnt(0)
	v_mul_f32_e32 v17, v14, v15
	s_cbranch_execz .LBB11_216
	s_branch .LBB11_217
.LBB11_215:
                                        ; implicit-def: $vgpr17
.LBB11_216:
	ds_read_b32 v17, v50
.LBB11_217:
	v_cmp_ne_u32_e32 vcc, 6, v0
	s_and_saveexec_b64 s[14:15], vcc
	s_cbranch_execz .LBB11_221
; %bb.218:
	v_mov_b32_e32 v15, v1
	v_lshl_add_u32 v18, v0, 2, 52
	s_mov_b64 s[16:17], 0
	v_mov_b32_e32 v14, v0
.LBB11_219:                             ; =>This Inner Loop Header: Depth=1
	v_add_co_u32_e32 v14, vcc, 1, v14
	v_addc_co_u32_e32 v15, vcc, 0, v15, vcc
	v_cmp_eq_u32_e32 vcc, 1, v14
	s_waitcnt vmcnt(3)
	v_cndmask_b32_e32 v20, v2, v3, vcc
	v_cmp_lt_u32_e32 vcc, 5, v14
	v_cmp_eq_u32_e64 s[10:11], 2, v14
	v_cndmask_b32_e64 v20, v20, v4, s[10:11]
	s_or_b64 s[16:17], vcc, s[16:17]
	v_cmp_eq_u32_e32 vcc, 3, v14
	v_cndmask_b32_e32 v20, v20, v5, vcc
	v_cmp_eq_u32_e32 vcc, 4, v14
	v_cndmask_b32_e32 v20, v20, v6, vcc
	;; [unrolled: 2-line block ×4, first 2 shown]
	v_cmp_eq_u32_e32 vcc, 7, v14
	ds_read_b32 v19, v18
	v_cndmask_b32_e32 v20, v20, v9, vcc
	v_cmp_eq_u32_e32 vcc, 8, v14
	v_cndmask_b32_e32 v20, v20, v10, vcc
	v_cmp_eq_u32_e32 vcc, 9, v14
	s_waitcnt vmcnt(2)
	v_cndmask_b32_e32 v20, v20, v11, vcc
	v_cmp_eq_u32_e32 vcc, 10, v14
	s_waitcnt vmcnt(1)
	;; [unrolled: 3-line block ×3, first 2 shown]
	v_cndmask_b32_e32 v20, v20, v13, vcc
	v_add_u32_e32 v18, 4, v18
	s_waitcnt lgkmcnt(0)
	v_fmac_f32_e32 v17, v20, v19
	s_andn2_b64 exec, exec, s[16:17]
	s_cbranch_execnz .LBB11_219
; %bb.220:
	s_or_b64 exec, exec, s[16:17]
.LBB11_221:
	s_or_b64 exec, exec, s[14:15]
	v_mov_b32_e32 v9, 0
	ds_read_b32 v9, v9 offset:28
	s_waitcnt lgkmcnt(0)
	v_mul_f32_e32 v9, v17, v9
.LBB11_222:
	s_or_b64 exec, exec, s[12:13]
	v_cmp_gt_u32_e32 vcc, 8, v0
	s_waitcnt vmcnt(4)
	ds_write_b32 v50, v10
	s_waitcnt lgkmcnt(0)
	; wave barrier
	s_and_saveexec_b64 s[12:13], vcc
	s_cbranch_execz .LBB11_232
; %bb.223:
	s_and_b64 vcc, exec, s[0:1]
	s_cbranch_vccnz .LBB11_225
; %bb.224:
	v_cmp_eq_u32_e32 vcc, 1, v0
	s_waitcnt vmcnt(3)
	v_cndmask_b32_e32 v14, v2, v3, vcc
	v_cmp_eq_u32_e32 vcc, 2, v0
	v_cndmask_b32_e32 v14, v14, v4, vcc
	v_cmp_eq_u32_e32 vcc, 3, v0
	;; [unrolled: 2-line block ×7, first 2 shown]
	ds_read_b32 v15, v50
	v_cndmask_b32_e32 v14, v14, v10, vcc
	v_cmp_eq_u32_e32 vcc, 9, v0
	s_waitcnt vmcnt(2)
	v_cndmask_b32_e32 v14, v14, v11, vcc
	v_cmp_eq_u32_e32 vcc, 10, v0
	s_waitcnt vmcnt(1)
	;; [unrolled: 3-line block ×3, first 2 shown]
	v_cndmask_b32_e32 v14, v14, v13, vcc
	s_waitcnt lgkmcnt(0)
	v_mul_f32_e32 v17, v14, v15
	s_cbranch_execz .LBB11_226
	s_branch .LBB11_227
.LBB11_225:
                                        ; implicit-def: $vgpr17
.LBB11_226:
	ds_read_b32 v17, v50
.LBB11_227:
	v_cmp_ne_u32_e32 vcc, 7, v0
	s_and_saveexec_b64 s[14:15], vcc
	s_cbranch_execz .LBB11_231
; %bb.228:
	v_mov_b32_e32 v15, v1
	v_lshl_add_u32 v18, v0, 2, 52
	s_mov_b64 s[16:17], 0
	v_mov_b32_e32 v14, v0
.LBB11_229:                             ; =>This Inner Loop Header: Depth=1
	v_add_co_u32_e32 v14, vcc, 1, v14
	v_addc_co_u32_e32 v15, vcc, 0, v15, vcc
	v_cmp_eq_u32_e32 vcc, 1, v14
	s_waitcnt vmcnt(3)
	v_cndmask_b32_e32 v20, v2, v3, vcc
	v_cmp_lt_u32_e32 vcc, 6, v14
	v_cmp_eq_u32_e64 s[10:11], 2, v14
	v_cndmask_b32_e64 v20, v20, v4, s[10:11]
	s_or_b64 s[16:17], vcc, s[16:17]
	v_cmp_eq_u32_e32 vcc, 3, v14
	v_cndmask_b32_e32 v20, v20, v5, vcc
	v_cmp_eq_u32_e32 vcc, 4, v14
	v_cndmask_b32_e32 v20, v20, v6, vcc
	;; [unrolled: 2-line block ×4, first 2 shown]
	v_cmp_eq_u32_e32 vcc, 7, v14
	ds_read_b32 v19, v18
	v_cndmask_b32_e32 v20, v20, v9, vcc
	v_cmp_eq_u32_e32 vcc, 8, v14
	v_cndmask_b32_e32 v20, v20, v10, vcc
	v_cmp_eq_u32_e32 vcc, 9, v14
	s_waitcnt vmcnt(2)
	v_cndmask_b32_e32 v20, v20, v11, vcc
	v_cmp_eq_u32_e32 vcc, 10, v14
	s_waitcnt vmcnt(1)
	;; [unrolled: 3-line block ×3, first 2 shown]
	v_cndmask_b32_e32 v20, v20, v13, vcc
	v_add_u32_e32 v18, 4, v18
	s_waitcnt lgkmcnt(0)
	v_fmac_f32_e32 v17, v20, v19
	s_andn2_b64 exec, exec, s[16:17]
	s_cbranch_execnz .LBB11_229
; %bb.230:
	s_or_b64 exec, exec, s[16:17]
.LBB11_231:
	s_or_b64 exec, exec, s[14:15]
	v_mov_b32_e32 v10, 0
	ds_read_b32 v10, v10 offset:32
	s_waitcnt lgkmcnt(0)
	v_mul_f32_e32 v10, v17, v10
.LBB11_232:
	s_or_b64 exec, exec, s[12:13]
	v_cmp_gt_u32_e32 vcc, 9, v0
	s_waitcnt vmcnt(2)
	ds_write_b32 v50, v11
	s_waitcnt lgkmcnt(0)
	; wave barrier
	s_and_saveexec_b64 s[10:11], vcc
	s_cbranch_execz .LBB11_254
; %bb.233:
	s_and_b64 vcc, exec, s[0:1]
	s_cbranch_vccnz .LBB11_235
; %bb.234:
	v_cmp_eq_u32_e32 vcc, 1, v0
	v_cndmask_b32_e32 v14, v2, v3, vcc
	v_cmp_eq_u32_e32 vcc, 2, v0
	v_cndmask_b32_e32 v14, v14, v4, vcc
	;; [unrolled: 2-line block ×7, first 2 shown]
	v_cmp_eq_u32_e32 vcc, 8, v0
	ds_read_b32 v15, v50
	v_cndmask_b32_e32 v14, v14, v10, vcc
	v_cmp_eq_u32_e32 vcc, 9, v0
	v_cndmask_b32_e32 v14, v14, v11, vcc
	v_cmp_eq_u32_e32 vcc, 10, v0
	s_waitcnt vmcnt(1)
	v_cndmask_b32_e32 v14, v14, v12, vcc
	v_cmp_eq_u32_e32 vcc, 11, v0
	s_waitcnt vmcnt(0)
	v_cndmask_b32_e32 v14, v14, v13, vcc
	s_waitcnt lgkmcnt(0)
	v_mul_f32_e32 v14, v14, v15
	s_cbranch_execz .LBB11_236
	s_branch .LBB11_237
.LBB11_235:
                                        ; implicit-def: $vgpr14
.LBB11_236:
	ds_read_b32 v14, v50
.LBB11_237:
	v_cmp_ne_u32_e32 vcc, 8, v0
	s_and_saveexec_b64 s[12:13], vcc
	s_cbranch_execz .LBB11_253
; %bb.238:
	v_cmp_eq_u32_e32 vcc, 1, v16
	v_cndmask_b32_e32 v15, v2, v3, vcc
	v_cmp_eq_u32_e32 vcc, 2, v16
	v_cndmask_b32_e32 v15, v15, v4, vcc
	;; [unrolled: 2-line block ×7, first 2 shown]
	v_cmp_eq_u32_e32 vcc, 8, v16
	ds_read_b32 v17, v50 offset:4
	v_cndmask_b32_e32 v15, v15, v10, vcc
	v_cmp_eq_u32_e32 vcc, 9, v16
	v_cndmask_b32_e32 v15, v15, v11, vcc
	v_cmp_eq_u32_e32 vcc, 10, v16
	s_waitcnt vmcnt(1)
	v_cndmask_b32_e32 v15, v15, v12, vcc
	v_cmp_eq_u32_e32 vcc, 11, v16
	s_waitcnt vmcnt(0)
	v_cndmask_b32_e32 v15, v15, v13, vcc
	s_waitcnt lgkmcnt(0)
	v_fmac_f32_e32 v14, v15, v17
	s_and_saveexec_b64 s[14:15], s[8:9]
	s_cbranch_execz .LBB11_252
; %bb.239:
	v_add_u32_e32 v15, 2, v0
	v_cmp_eq_u32_e32 vcc, 1, v15
	v_cndmask_b32_e32 v16, v2, v3, vcc
	v_cmp_eq_u32_e32 vcc, 2, v15
	v_cndmask_b32_e32 v16, v16, v4, vcc
	;; [unrolled: 2-line block ×7, first 2 shown]
	v_cmp_eq_u32_e32 vcc, 8, v15
	ds_read_b32 v17, v50 offset:8
	v_cndmask_b32_e32 v16, v16, v10, vcc
	v_cmp_eq_u32_e32 vcc, 9, v15
	v_cndmask_b32_e32 v16, v16, v11, vcc
	v_cmp_eq_u32_e32 vcc, 10, v15
	;; [unrolled: 2-line block ×3, first 2 shown]
	v_cndmask_b32_e32 v15, v16, v13, vcc
	s_waitcnt lgkmcnt(0)
	v_fmac_f32_e32 v14, v15, v17
	v_cmp_ne_u32_e32 vcc, 6, v0
	s_and_saveexec_b64 s[8:9], vcc
	s_cbranch_execz .LBB11_251
; %bb.240:
	v_add_u32_e32 v15, 3, v0
	v_cmp_eq_u32_e32 vcc, 1, v15
	v_cndmask_b32_e32 v16, v2, v3, vcc
	v_cmp_eq_u32_e32 vcc, 2, v15
	v_cndmask_b32_e32 v16, v16, v4, vcc
	;; [unrolled: 2-line block ×7, first 2 shown]
	v_cmp_eq_u32_e32 vcc, 8, v15
	ds_read_b32 v17, v50 offset:12
	v_cndmask_b32_e32 v16, v16, v10, vcc
	v_cmp_eq_u32_e32 vcc, 9, v15
	v_cndmask_b32_e32 v16, v16, v11, vcc
	v_cmp_eq_u32_e32 vcc, 10, v15
	v_cndmask_b32_e32 v16, v16, v12, vcc
	v_cmp_eq_u32_e32 vcc, 11, v15
	v_cndmask_b32_e32 v15, v16, v13, vcc
	s_waitcnt lgkmcnt(0)
	v_fmac_f32_e32 v14, v15, v17
	s_and_saveexec_b64 s[16:17], s[6:7]
	s_cbranch_execz .LBB11_250
; %bb.241:
	v_add_u32_e32 v15, 4, v0
	v_cmp_eq_u32_e32 vcc, 1, v15
	v_cndmask_b32_e32 v16, v2, v3, vcc
	v_cmp_eq_u32_e32 vcc, 2, v15
	v_cndmask_b32_e32 v16, v16, v4, vcc
	v_cmp_eq_u32_e32 vcc, 3, v15
	v_cndmask_b32_e32 v16, v16, v5, vcc
	v_cmp_eq_u32_e32 vcc, 4, v15
	v_cndmask_b32_e32 v16, v16, v6, vcc
	v_cmp_eq_u32_e32 vcc, 5, v15
	v_cndmask_b32_e32 v16, v16, v7, vcc
	v_cmp_eq_u32_e32 vcc, 6, v15
	v_cndmask_b32_e32 v16, v16, v8, vcc
	v_cmp_eq_u32_e32 vcc, 7, v15
	v_cndmask_b32_e32 v16, v16, v9, vcc
	v_cmp_eq_u32_e32 vcc, 8, v15
	ds_read_b32 v17, v50 offset:16
	v_cndmask_b32_e32 v16, v16, v10, vcc
	v_cmp_eq_u32_e32 vcc, 9, v15
	v_cndmask_b32_e32 v16, v16, v11, vcc
	v_cmp_eq_u32_e32 vcc, 10, v15
	;; [unrolled: 2-line block ×3, first 2 shown]
	v_cndmask_b32_e32 v15, v16, v13, vcc
	s_waitcnt lgkmcnt(0)
	v_fmac_f32_e32 v14, v15, v17
	v_cmp_ne_u32_e32 vcc, 4, v0
	s_and_saveexec_b64 s[6:7], vcc
	s_cbranch_execz .LBB11_249
; %bb.242:
	v_add_u32_e32 v15, 5, v0
	v_cmp_eq_u32_e32 vcc, 1, v15
	v_cndmask_b32_e32 v16, v2, v3, vcc
	v_cmp_eq_u32_e32 vcc, 2, v15
	v_cndmask_b32_e32 v16, v16, v4, vcc
	;; [unrolled: 2-line block ×7, first 2 shown]
	v_cmp_eq_u32_e32 vcc, 8, v15
	ds_read_b32 v17, v50 offset:20
	v_cndmask_b32_e32 v16, v16, v10, vcc
	v_cmp_eq_u32_e32 vcc, 9, v15
	v_cndmask_b32_e32 v16, v16, v11, vcc
	v_cmp_eq_u32_e32 vcc, 10, v15
	;; [unrolled: 2-line block ×3, first 2 shown]
	v_cndmask_b32_e32 v15, v16, v13, vcc
	s_waitcnt lgkmcnt(0)
	v_fmac_f32_e32 v14, v15, v17
	s_and_saveexec_b64 s[18:19], s[4:5]
	s_cbranch_execz .LBB11_248
; %bb.243:
	v_add_u32_e32 v15, 6, v0
	v_cmp_eq_u32_e32 vcc, 1, v15
	v_cndmask_b32_e32 v16, v2, v3, vcc
	v_cmp_eq_u32_e32 vcc, 2, v15
	v_cndmask_b32_e32 v16, v16, v4, vcc
	;; [unrolled: 2-line block ×7, first 2 shown]
	v_cmp_eq_u32_e32 vcc, 8, v15
	ds_read_b32 v17, v50 offset:24
	v_cndmask_b32_e32 v16, v16, v10, vcc
	v_cmp_eq_u32_e32 vcc, 9, v15
	v_cndmask_b32_e32 v16, v16, v11, vcc
	v_cmp_eq_u32_e32 vcc, 10, v15
	;; [unrolled: 2-line block ×3, first 2 shown]
	v_cndmask_b32_e32 v15, v16, v13, vcc
	s_waitcnt lgkmcnt(0)
	v_fmac_f32_e32 v14, v15, v17
	v_cmp_ne_u32_e32 vcc, 2, v0
	s_and_saveexec_b64 s[4:5], vcc
	s_cbranch_execz .LBB11_247
; %bb.244:
	v_add_u32_e32 v15, 7, v0
	v_cmp_eq_u32_e32 vcc, 1, v15
	v_cndmask_b32_e32 v16, v2, v3, vcc
	v_cmp_eq_u32_e32 vcc, 2, v15
	v_cndmask_b32_e32 v16, v16, v4, vcc
	v_cmp_eq_u32_e32 vcc, 3, v15
	v_cndmask_b32_e32 v16, v16, v5, vcc
	v_cmp_eq_u32_e32 vcc, 4, v15
	v_cndmask_b32_e32 v16, v16, v6, vcc
	v_cmp_eq_u32_e32 vcc, 5, v15
	v_cndmask_b32_e32 v16, v16, v7, vcc
	v_cmp_eq_u32_e32 vcc, 6, v15
	v_cndmask_b32_e32 v16, v16, v8, vcc
	v_cmp_eq_u32_e32 vcc, 7, v15
	v_cndmask_b32_e32 v16, v16, v9, vcc
	v_cmp_eq_u32_e32 vcc, 8, v15
	v_cndmask_b32_e32 v16, v16, v10, vcc
	v_cmp_eq_u32_e32 vcc, 9, v15
	v_cndmask_b32_e32 v11, v16, v11, vcc
	ds_read_b32 v16, v50 offset:28
	v_cmp_eq_u32_e32 vcc, 10, v15
	v_cndmask_b32_e32 v11, v11, v12, vcc
	v_cmp_eq_u32_e32 vcc, 11, v15
	v_cndmask_b32_e32 v11, v11, v13, vcc
	s_waitcnt lgkmcnt(0)
	v_fmac_f32_e32 v14, v11, v16
	s_and_saveexec_b64 s[20:21], s[2:3]
	s_cbranch_execz .LBB11_246
; %bb.245:
	ds_read_b32 v11, v50 offset:32
	s_waitcnt lgkmcnt(0)
	v_fmac_f32_e32 v14, v10, v11
.LBB11_246:
	s_or_b64 exec, exec, s[20:21]
.LBB11_247:
	s_or_b64 exec, exec, s[4:5]
.LBB11_248:
	s_or_b64 exec, exec, s[18:19]
.LBB11_249:
	s_or_b64 exec, exec, s[6:7]
.LBB11_250:
	s_or_b64 exec, exec, s[16:17]
.LBB11_251:
	s_or_b64 exec, exec, s[8:9]
.LBB11_252:
	s_or_b64 exec, exec, s[14:15]
.LBB11_253:
	s_or_b64 exec, exec, s[12:13]
	v_mov_b32_e32 v11, 0
	ds_read_b32 v11, v11 offset:36
	s_waitcnt lgkmcnt(0)
	v_mul_f32_e32 v11, v14, v11
.LBB11_254:
	s_or_b64 exec, exec, s[10:11]
	v_cmp_gt_u32_e64 s[2:3], 10, v0
	s_waitcnt vmcnt(1)
	ds_write_b32 v50, v12
	s_waitcnt lgkmcnt(0)
	; wave barrier
	s_and_saveexec_b64 s[6:7], s[2:3]
	s_cbranch_execz .LBB11_264
; %bb.255:
	s_and_b64 vcc, exec, s[0:1]
	s_cbranch_vccnz .LBB11_257
; %bb.256:
	v_cmp_eq_u32_e32 vcc, 1, v0
	v_cndmask_b32_e32 v14, v2, v3, vcc
	v_cmp_eq_u32_e32 vcc, 2, v0
	v_cndmask_b32_e32 v14, v14, v4, vcc
	;; [unrolled: 2-line block ×7, first 2 shown]
	v_cmp_eq_u32_e32 vcc, 8, v0
	ds_read_b32 v15, v50
	v_cndmask_b32_e32 v14, v14, v10, vcc
	v_cmp_eq_u32_e32 vcc, 9, v0
	v_cndmask_b32_e32 v14, v14, v11, vcc
	v_cmp_eq_u32_e32 vcc, 10, v0
	;; [unrolled: 2-line block ×3, first 2 shown]
	s_waitcnt vmcnt(0)
	v_cndmask_b32_e32 v14, v14, v13, vcc
	s_waitcnt lgkmcnt(0)
	v_mul_f32_e32 v16, v14, v15
	s_cbranch_execz .LBB11_258
	s_branch .LBB11_259
.LBB11_257:
                                        ; implicit-def: $vgpr16
.LBB11_258:
	ds_read_b32 v16, v50
.LBB11_259:
	v_cmp_ne_u32_e32 vcc, 9, v0
	s_and_saveexec_b64 s[8:9], vcc
	s_cbranch_execz .LBB11_263
; %bb.260:
	v_mov_b32_e32 v15, v1
	v_lshl_add_u32 v17, v0, 2, 52
	s_mov_b64 s[10:11], 0
	v_mov_b32_e32 v14, v0
.LBB11_261:                             ; =>This Inner Loop Header: Depth=1
	v_add_co_u32_e32 v14, vcc, 1, v14
	v_addc_co_u32_e32 v15, vcc, 0, v15, vcc
	v_cmp_eq_u32_e32 vcc, 1, v14
	v_cndmask_b32_e32 v19, v2, v3, vcc
	v_cmp_lt_u32_e32 vcc, 8, v14
	v_cmp_eq_u32_e64 s[4:5], 2, v14
	v_cndmask_b32_e64 v19, v19, v4, s[4:5]
	s_or_b64 s[10:11], vcc, s[10:11]
	v_cmp_eq_u32_e32 vcc, 3, v14
	v_cndmask_b32_e32 v19, v19, v5, vcc
	v_cmp_eq_u32_e32 vcc, 4, v14
	v_cndmask_b32_e32 v19, v19, v6, vcc
	;; [unrolled: 2-line block ×4, first 2 shown]
	v_cmp_eq_u32_e32 vcc, 7, v14
	ds_read_b32 v18, v17
	v_cndmask_b32_e32 v19, v19, v9, vcc
	v_cmp_eq_u32_e32 vcc, 8, v14
	v_cndmask_b32_e32 v19, v19, v10, vcc
	v_cmp_eq_u32_e32 vcc, 9, v14
	;; [unrolled: 2-line block ×4, first 2 shown]
	s_waitcnt vmcnt(0)
	v_cndmask_b32_e32 v19, v19, v13, vcc
	v_add_u32_e32 v17, 4, v17
	s_waitcnt lgkmcnt(0)
	v_fmac_f32_e32 v16, v19, v18
	s_andn2_b64 exec, exec, s[10:11]
	s_cbranch_execnz .LBB11_261
; %bb.262:
	s_or_b64 exec, exec, s[10:11]
.LBB11_263:
	s_or_b64 exec, exec, s[8:9]
	v_mov_b32_e32 v12, 0
	ds_read_b32 v12, v12 offset:40
	s_waitcnt lgkmcnt(0)
	v_mul_f32_e32 v12, v16, v12
.LBB11_264:
	s_or_b64 exec, exec, s[6:7]
	v_cmp_ne_u32_e32 vcc, 11, v0
	s_waitcnt vmcnt(0)
	ds_write_b32 v50, v13
	s_waitcnt lgkmcnt(0)
	; wave barrier
	s_and_saveexec_b64 s[4:5], vcc
	s_cbranch_execz .LBB11_274
; %bb.265:
	s_and_b64 vcc, exec, s[0:1]
	s_cbranch_vccnz .LBB11_267
; %bb.266:
	v_cmp_eq_u32_e32 vcc, 1, v0
	v_cndmask_b32_e32 v14, v2, v3, vcc
	v_cmp_eq_u32_e32 vcc, 2, v0
	v_cndmask_b32_e32 v14, v14, v4, vcc
	;; [unrolled: 2-line block ×7, first 2 shown]
	v_cmp_eq_u32_e32 vcc, 8, v0
	ds_read_b32 v15, v50
	v_cndmask_b32_e32 v14, v14, v10, vcc
	v_cmp_eq_u32_e32 vcc, 9, v0
	v_cndmask_b32_e32 v14, v14, v11, vcc
	v_cmp_eq_u32_e32 vcc, 10, v0
	;; [unrolled: 2-line block ×3, first 2 shown]
	v_cndmask_b32_e32 v14, v14, v13, vcc
	s_waitcnt lgkmcnt(0)
	v_mul_f32_e32 v14, v14, v15
	s_cbranch_execz .LBB11_268
	s_branch .LBB11_269
.LBB11_267:
                                        ; implicit-def: $vgpr14
.LBB11_268:
	ds_read_b32 v14, v50
.LBB11_269:
	s_and_saveexec_b64 s[6:7], s[2:3]
	s_cbranch_execz .LBB11_273
; %bb.270:
	v_lshl_add_u32 v15, v0, 2, 52
	s_mov_b64 s[2:3], 0
.LBB11_271:                             ; =>This Inner Loop Header: Depth=1
	v_add_co_u32_e32 v0, vcc, 1, v0
	v_addc_co_u32_e32 v1, vcc, 0, v1, vcc
	v_cmp_eq_u32_e32 vcc, 1, v0
	v_cndmask_b32_e32 v17, v2, v3, vcc
	v_cmp_lt_u32_e32 vcc, 9, v0
	v_cmp_eq_u32_e64 s[0:1], 2, v0
	v_cndmask_b32_e64 v17, v17, v4, s[0:1]
	s_or_b64 s[2:3], vcc, s[2:3]
	v_cmp_eq_u32_e32 vcc, 3, v0
	v_cndmask_b32_e32 v17, v17, v5, vcc
	v_cmp_eq_u32_e32 vcc, 4, v0
	v_cndmask_b32_e32 v17, v17, v6, vcc
	v_cmp_eq_u32_e32 vcc, 5, v0
	v_cndmask_b32_e32 v17, v17, v7, vcc
	v_cmp_eq_u32_e32 vcc, 6, v0
	v_cndmask_b32_e32 v17, v17, v8, vcc
	v_cmp_eq_u32_e32 vcc, 7, v0
	ds_read_b32 v16, v15
	v_cndmask_b32_e32 v17, v17, v9, vcc
	v_cmp_eq_u32_e32 vcc, 8, v0
	v_cndmask_b32_e32 v17, v17, v10, vcc
	v_cmp_eq_u32_e32 vcc, 9, v0
	;; [unrolled: 2-line block ×4, first 2 shown]
	v_cndmask_b32_e32 v17, v17, v13, vcc
	v_add_u32_e32 v15, 4, v15
	s_waitcnt lgkmcnt(0)
	v_fmac_f32_e32 v14, v17, v16
	s_andn2_b64 exec, exec, s[2:3]
	s_cbranch_execnz .LBB11_271
; %bb.272:
	s_or_b64 exec, exec, s[2:3]
.LBB11_273:
	s_or_b64 exec, exec, s[6:7]
	v_mov_b32_e32 v0, 0
	ds_read_b32 v0, v0 offset:44
	s_waitcnt lgkmcnt(0)
	v_mul_f32_e32 v13, v14, v0
.LBB11_274:
	s_or_b64 exec, exec, s[4:5]
	v_mov_b32_e32 v25, v13
	v_mov_b32_e32 v24, v12
	;; [unrolled: 1-line block ×12, first 2 shown]
.LBB11_275:
	global_store_dword v[46:47], v14, off
	global_store_dword v[48:49], v15, off
	global_store_dword v[26:27], v16, off
	global_store_dword v[28:29], v17, off
	global_store_dword v[30:31], v18, off
	global_store_dword v[32:33], v19, off
	global_store_dword v[34:35], v20, off
	global_store_dword v[36:37], v21, off
	global_store_dword v[38:39], v22, off
	global_store_dword v[40:41], v23, off
	global_store_dword v[42:43], v24, off
	global_store_dword v[44:45], v25, off
.LBB11_276:
	s_endpgm
	.section	.rodata,"a",@progbits
	.p2align	6, 0x0
	.amdhsa_kernel _ZN9rocsolver6v33100L18trti2_kernel_smallILi12EfPfEEv13rocblas_fill_17rocblas_diagonal_T1_iil
		.amdhsa_group_segment_fixed_size 96
		.amdhsa_private_segment_fixed_size 0
		.amdhsa_kernarg_size 32
		.amdhsa_user_sgpr_count 6
		.amdhsa_user_sgpr_private_segment_buffer 1
		.amdhsa_user_sgpr_dispatch_ptr 0
		.amdhsa_user_sgpr_queue_ptr 0
		.amdhsa_user_sgpr_kernarg_segment_ptr 1
		.amdhsa_user_sgpr_dispatch_id 0
		.amdhsa_user_sgpr_flat_scratch_init 0
		.amdhsa_user_sgpr_private_segment_size 0
		.amdhsa_uses_dynamic_stack 0
		.amdhsa_system_sgpr_private_segment_wavefront_offset 0
		.amdhsa_system_sgpr_workgroup_id_x 1
		.amdhsa_system_sgpr_workgroup_id_y 0
		.amdhsa_system_sgpr_workgroup_id_z 0
		.amdhsa_system_sgpr_workgroup_info 0
		.amdhsa_system_vgpr_workitem_id 0
		.amdhsa_next_free_vgpr 63
		.amdhsa_next_free_sgpr 32
		.amdhsa_reserve_vcc 1
		.amdhsa_reserve_flat_scratch 0
		.amdhsa_float_round_mode_32 0
		.amdhsa_float_round_mode_16_64 0
		.amdhsa_float_denorm_mode_32 3
		.amdhsa_float_denorm_mode_16_64 3
		.amdhsa_dx10_clamp 1
		.amdhsa_ieee_mode 1
		.amdhsa_fp16_overflow 0
		.amdhsa_exception_fp_ieee_invalid_op 0
		.amdhsa_exception_fp_denorm_src 0
		.amdhsa_exception_fp_ieee_div_zero 0
		.amdhsa_exception_fp_ieee_overflow 0
		.amdhsa_exception_fp_ieee_underflow 0
		.amdhsa_exception_fp_ieee_inexact 0
		.amdhsa_exception_int_div_zero 0
	.end_amdhsa_kernel
	.section	.text._ZN9rocsolver6v33100L18trti2_kernel_smallILi12EfPfEEv13rocblas_fill_17rocblas_diagonal_T1_iil,"axG",@progbits,_ZN9rocsolver6v33100L18trti2_kernel_smallILi12EfPfEEv13rocblas_fill_17rocblas_diagonal_T1_iil,comdat
.Lfunc_end11:
	.size	_ZN9rocsolver6v33100L18trti2_kernel_smallILi12EfPfEEv13rocblas_fill_17rocblas_diagonal_T1_iil, .Lfunc_end11-_ZN9rocsolver6v33100L18trti2_kernel_smallILi12EfPfEEv13rocblas_fill_17rocblas_diagonal_T1_iil
                                        ; -- End function
	.set _ZN9rocsolver6v33100L18trti2_kernel_smallILi12EfPfEEv13rocblas_fill_17rocblas_diagonal_T1_iil.num_vgpr, 63
	.set _ZN9rocsolver6v33100L18trti2_kernel_smallILi12EfPfEEv13rocblas_fill_17rocblas_diagonal_T1_iil.num_agpr, 0
	.set _ZN9rocsolver6v33100L18trti2_kernel_smallILi12EfPfEEv13rocblas_fill_17rocblas_diagonal_T1_iil.numbered_sgpr, 32
	.set _ZN9rocsolver6v33100L18trti2_kernel_smallILi12EfPfEEv13rocblas_fill_17rocblas_diagonal_T1_iil.num_named_barrier, 0
	.set _ZN9rocsolver6v33100L18trti2_kernel_smallILi12EfPfEEv13rocblas_fill_17rocblas_diagonal_T1_iil.private_seg_size, 0
	.set _ZN9rocsolver6v33100L18trti2_kernel_smallILi12EfPfEEv13rocblas_fill_17rocblas_diagonal_T1_iil.uses_vcc, 1
	.set _ZN9rocsolver6v33100L18trti2_kernel_smallILi12EfPfEEv13rocblas_fill_17rocblas_diagonal_T1_iil.uses_flat_scratch, 0
	.set _ZN9rocsolver6v33100L18trti2_kernel_smallILi12EfPfEEv13rocblas_fill_17rocblas_diagonal_T1_iil.has_dyn_sized_stack, 0
	.set _ZN9rocsolver6v33100L18trti2_kernel_smallILi12EfPfEEv13rocblas_fill_17rocblas_diagonal_T1_iil.has_recursion, 0
	.set _ZN9rocsolver6v33100L18trti2_kernel_smallILi12EfPfEEv13rocblas_fill_17rocblas_diagonal_T1_iil.has_indirect_call, 0
	.section	.AMDGPU.csdata,"",@progbits
; Kernel info:
; codeLenInByte = 12148
; TotalNumSgprs: 36
; NumVgprs: 63
; ScratchSize: 0
; MemoryBound: 0
; FloatMode: 240
; IeeeMode: 1
; LDSByteSize: 96 bytes/workgroup (compile time only)
; SGPRBlocks: 4
; VGPRBlocks: 15
; NumSGPRsForWavesPerEU: 36
; NumVGPRsForWavesPerEU: 63
; Occupancy: 4
; WaveLimiterHint : 0
; COMPUTE_PGM_RSRC2:SCRATCH_EN: 0
; COMPUTE_PGM_RSRC2:USER_SGPR: 6
; COMPUTE_PGM_RSRC2:TRAP_HANDLER: 0
; COMPUTE_PGM_RSRC2:TGID_X_EN: 1
; COMPUTE_PGM_RSRC2:TGID_Y_EN: 0
; COMPUTE_PGM_RSRC2:TGID_Z_EN: 0
; COMPUTE_PGM_RSRC2:TIDIG_COMP_CNT: 0
	.section	.text._ZN9rocsolver6v33100L18trti2_kernel_smallILi13EfPfEEv13rocblas_fill_17rocblas_diagonal_T1_iil,"axG",@progbits,_ZN9rocsolver6v33100L18trti2_kernel_smallILi13EfPfEEv13rocblas_fill_17rocblas_diagonal_T1_iil,comdat
	.globl	_ZN9rocsolver6v33100L18trti2_kernel_smallILi13EfPfEEv13rocblas_fill_17rocblas_diagonal_T1_iil ; -- Begin function _ZN9rocsolver6v33100L18trti2_kernel_smallILi13EfPfEEv13rocblas_fill_17rocblas_diagonal_T1_iil
	.p2align	8
	.type	_ZN9rocsolver6v33100L18trti2_kernel_smallILi13EfPfEEv13rocblas_fill_17rocblas_diagonal_T1_iil,@function
_ZN9rocsolver6v33100L18trti2_kernel_smallILi13EfPfEEv13rocblas_fill_17rocblas_diagonal_T1_iil: ; @_ZN9rocsolver6v33100L18trti2_kernel_smallILi13EfPfEEv13rocblas_fill_17rocblas_diagonal_T1_iil
; %bb.0:
	v_cmp_gt_u32_e32 vcc, 13, v0
	s_and_saveexec_b64 s[0:1], vcc
	s_cbranch_execz .LBB12_302
; %bb.1:
	s_load_dwordx8 s[36:43], s[4:5], 0x0
	s_ashr_i32 s2, s6, 31
	v_lshlrev_b32_e32 v15, 2, v0
	v_mov_b32_e32 v16, -1.0
	s_waitcnt lgkmcnt(0)
	s_mul_hi_u32 s3, s42, s6
	s_mul_i32 s2, s42, s2
	s_add_i32 s2, s3, s2
	s_mul_i32 s3, s43, s6
	s_add_i32 s3, s2, s3
	s_mul_i32 s2, s42, s6
	s_ashr_i32 s1, s40, 31
	s_lshl_b64 s[2:3], s[2:3], 2
	s_mov_b32 s0, s40
	s_add_u32 s2, s38, s2
	s_addc_u32 s3, s39, s3
	s_lshl_b64 s[0:1], s[0:1], 2
	s_add_u32 s0, s2, s0
	s_addc_u32 s1, s3, s1
	s_add_i32 s2, s41, s41
	v_add_u32_e32 v1, s2, v0
	v_ashrrev_i32_e32 v2, 31, v1
	v_lshlrev_b64 v[2:3], 2, v[1:2]
	v_add_u32_e32 v1, s41, v1
	v_mov_b32_e32 v4, s1
	v_add_co_u32_e32 v31, vcc, s0, v2
	v_ashrrev_i32_e32 v2, 31, v1
	v_addc_co_u32_e32 v32, vcc, v4, v3, vcc
	v_lshlrev_b64 v[2:3], 2, v[1:2]
	v_add_u32_e32 v1, s41, v1
	v_add_co_u32_e32 v33, vcc, s0, v2
	v_ashrrev_i32_e32 v2, 31, v1
	v_addc_co_u32_e32 v34, vcc, v4, v3, vcc
	v_lshlrev_b64 v[2:3], 2, v[1:2]
	v_add_u32_e32 v1, s41, v1
	;; [unrolled: 5-line block ×9, first 2 shown]
	v_add_co_u32_e32 v49, vcc, s0, v2
	v_ashrrev_i32_e32 v2, 31, v1
	v_lshlrev_b64 v[1:2], 2, v[1:2]
	v_addc_co_u32_e32 v50, vcc, v4, v3, vcc
	v_mov_b32_e32 v3, s1
	v_add_co_u32_e32 v51, vcc, s0, v1
	v_addc_co_u32_e32 v52, vcc, v3, v2, vcc
	v_mov_b32_e32 v1, s1
	v_add_co_u32_e32 v53, vcc, s0, v15
	s_ashr_i32 s3, s41, 31
	s_mov_b32 s2, s41
	v_addc_co_u32_e32 v54, vcc, 0, v1, vcc
	s_lshl_b64 s[2:3], s[2:3], 2
	v_mov_b32_e32 v1, s3
	v_add_co_u32_e32 v55, vcc, s2, v53
	v_addc_co_u32_e32 v56, vcc, v54, v1, vcc
	global_load_dword v3, v[55:56], off
	global_load_dword v4, v[31:32], off
	;; [unrolled: 1-line block ×8, first 2 shown]
	global_load_dword v2, v15, s[0:1]
	global_load_dword v11, v[45:46], off
	global_load_dword v12, v[47:48], off
	;; [unrolled: 1-line block ×4, first 2 shown]
	s_cmpk_lg_i32 s37, 0x84
	v_mov_b32_e32 v1, 0
	s_cselect_b64 s[26:27], -1, 0
	s_cmpk_eq_i32 s37, 0x84
	v_cmp_eq_u32_e64 s[0:1], 0, v0
	s_cbranch_scc1 .LBB12_3
; %bb.2:
	v_cmp_eq_u32_e64 s[2:3], 1, v0
	s_waitcnt vmcnt(4)
	v_cndmask_b32_e64 v16, v2, v3, s[2:3]
	v_cmp_eq_u32_e64 s[4:5], 2, v0
	v_cndmask_b32_e64 v16, v16, v4, s[4:5]
	v_cmp_eq_u32_e64 s[6:7], 3, v0
	;; [unrolled: 2-line block ×8, first 2 shown]
	s_waitcnt vmcnt(3)
	v_cndmask_b32_e64 v16, v16, v11, s[18:19]
	v_cmp_eq_u32_e64 s[20:21], 10, v0
	s_waitcnt vmcnt(2)
	v_cndmask_b32_e64 v16, v16, v12, s[20:21]
	v_cmp_eq_u32_e64 s[22:23], 11, v0
	;; [unrolled: 3-line block ×3, first 2 shown]
	s_waitcnt vmcnt(0)
	v_cndmask_b32_e64 v16, v16, v14, s[24:25]
	v_div_scale_f32 v17, s[28:29], v16, v16, 1.0
	v_div_scale_f32 v18, vcc, 1.0, v16, 1.0
	v_rcp_f32_e32 v19, v17
	v_fma_f32 v20, -v17, v19, 1.0
	v_fmac_f32_e32 v19, v20, v19
	v_mul_f32_e32 v20, v18, v19
	v_fma_f32 v21, -v17, v20, v18
	v_fmac_f32_e32 v20, v21, v19
	v_fma_f32 v17, -v17, v20, v18
	v_div_fmas_f32 v17, v17, v19, v20
	v_div_fixup_f32 v16, v17, v16, 1.0
	v_cndmask_b32_e64 v14, v14, v16, s[24:25]
	v_cndmask_b32_e64 v13, v13, v16, s[22:23]
	;; [unrolled: 1-line block ×13, first 2 shown]
	v_xor_b32_e32 v16, 0x80000000, v16
.LBB12_3:
	s_cmpk_eq_i32 s36, 0x79
	v_add_u32_e32 v57, 64, v15
	ds_write_b32 v15, v16
	s_cbranch_scc1 .LBB12_7
; %bb.4:
	s_waitcnt vmcnt(0)
	v_mov_b32_e32 v30, v17
	v_mov_b32_e32 v29, v16
	;; [unrolled: 1-line block ×16, first 2 shown]
	v_cmp_eq_u32_e64 s[2:3], 12, v0
	ds_write_b32 v57, v13
	s_waitcnt lgkmcnt(0)
	; wave barrier
	s_and_saveexec_b64 s[0:1], s[2:3]
	s_cbranch_execz .LBB12_11
; %bb.5:
	s_and_b64 vcc, exec, s[26:27]
	s_cbranch_vccz .LBB12_8
; %bb.6:
	v_cmp_eq_u32_e32 vcc, 1, v0
	v_cndmask_b32_e32 v15, v2, v3, vcc
	v_cmp_eq_u32_e32 vcc, 2, v0
	v_cndmask_b32_e32 v15, v15, v4, vcc
	;; [unrolled: 2-line block ×8, first 2 shown]
	v_cmp_eq_u32_e32 vcc, 9, v0
	ds_read_b32 v16, v57
	v_cndmask_b32_e32 v15, v15, v11, vcc
	v_cmp_eq_u32_e32 vcc, 10, v0
	v_cndmask_b32_e32 v15, v15, v12, vcc
	v_cmp_eq_u32_e32 vcc, 11, v0
	v_cndmask_b32_e32 v15, v15, v13, vcc
	v_cmp_eq_u32_e32 vcc, 12, v0
	v_cndmask_b32_e32 v15, v15, v14, vcc
	s_waitcnt lgkmcnt(0)
	v_mul_f32_e32 v19, v15, v16
	s_cbranch_execz .LBB12_9
	s_branch .LBB12_10
.LBB12_7:
                                        ; implicit-def: $vgpr15_vgpr16_vgpr17_vgpr18_vgpr19_vgpr20_vgpr21_vgpr22_vgpr23_vgpr24_vgpr25_vgpr26_vgpr27_vgpr28_vgpr29_vgpr30
	s_cbranch_execnz .LBB12_178
	s_branch .LBB12_301
.LBB12_8:
                                        ; implicit-def: $vgpr19
.LBB12_9:
	ds_read_b32 v19, v57
.LBB12_10:
	v_mov_b32_e32 v15, 0
	ds_read_b32 v20, v15 offset:44
	v_mov_b32_e32 v15, v2
	v_mov_b32_e32 v16, v3
	v_mov_b32_e32 v17, v4
	v_mov_b32_e32 v18, v5
	s_waitcnt lgkmcnt(0)
	v_mul_f32_e32 v26, v19, v20
	v_mov_b32_e32 v19, v6
	v_mov_b32_e32 v20, v7
	;; [unrolled: 1-line block ×8, first 2 shown]
.LBB12_11:
	s_or_b64 exec, exec, s[0:1]
	v_cmp_lt_u32_e64 s[0:1], 10, v0
	ds_write_b32 v57, v25
	s_waitcnt lgkmcnt(0)
	; wave barrier
	s_and_saveexec_b64 s[4:5], s[0:1]
	s_cbranch_execz .LBB12_17
; %bb.12:
	s_andn2_b64 vcc, exec, s[26:27]
	s_cbranch_vccnz .LBB12_14
; %bb.13:
	v_cmp_eq_u32_e32 vcc, 1, v0
	v_cndmask_b32_e32 v28, v15, v16, vcc
	v_cmp_eq_u32_e32 vcc, 2, v0
	v_cndmask_b32_e32 v28, v28, v17, vcc
	;; [unrolled: 2-line block ×10, first 2 shown]
	ds_read_b32 v28, v57
	v_cmp_eq_u32_e32 vcc, 11, v0
	v_cndmask_b32_e32 v25, v25, v26, vcc
	v_cmp_eq_u32_e32 vcc, 12, v0
	v_cndmask_b32_e32 v25, v25, v27, vcc
	s_waitcnt lgkmcnt(0)
	v_mul_f32_e32 v25, v25, v28
	s_cbranch_execz .LBB12_15
	s_branch .LBB12_16
.LBB12_14:
                                        ; implicit-def: $vgpr25
.LBB12_15:
	ds_read_b32 v25, v57
.LBB12_16:
	v_mov_b32_e32 v28, 0
	ds_read2_b32 v[28:29], v28 offset0:10 offset1:27
	s_waitcnt lgkmcnt(0)
	v_fma_f32 v29, v26, v29, v25
	v_cndmask_b32_e64 v25, v25, v29, s[2:3]
	v_mul_f32_e32 v25, v25, v28
.LBB12_17:
	s_or_b64 exec, exec, s[4:5]
	v_cmp_lt_u32_e64 s[2:3], 9, v0
	ds_write_b32 v57, v24
	s_waitcnt lgkmcnt(0)
	; wave barrier
	s_and_saveexec_b64 s[4:5], s[2:3]
	s_cbranch_execz .LBB12_33
; %bb.18:
	s_andn2_b64 vcc, exec, s[26:27]
	s_cbranch_vccnz .LBB12_20
; %bb.19:
	v_cmp_eq_u32_e32 vcc, 1, v0
	v_cndmask_b32_e32 v58, v15, v16, vcc
	v_cmp_eq_u32_e32 vcc, 2, v0
	v_cndmask_b32_e32 v58, v58, v17, vcc
	;; [unrolled: 2-line block ×8, first 2 shown]
	v_cmp_eq_u32_e32 vcc, 9, v0
	ds_read_b32 v59, v57
	v_cndmask_b32_e32 v58, v58, v24, vcc
	v_cmp_eq_u32_e32 vcc, 10, v0
	v_cndmask_b32_e32 v58, v58, v25, vcc
	v_cmp_eq_u32_e32 vcc, 11, v0
	;; [unrolled: 2-line block ×3, first 2 shown]
	v_cndmask_b32_e32 v58, v58, v27, vcc
	s_waitcnt lgkmcnt(0)
	v_mul_f32_e32 v58, v58, v59
	s_cbranch_execz .LBB12_21
	s_branch .LBB12_22
.LBB12_20:
                                        ; implicit-def: $vgpr58
.LBB12_21:
	ds_read_b32 v58, v57
.LBB12_22:
	s_and_saveexec_b64 s[6:7], s[0:1]
	s_cbranch_execz .LBB12_32
; %bb.23:
	v_add_u32_e32 v59, -11, v0
	v_add_u32_e32 v60, -10, v0
	v_cmp_lt_u32_e32 vcc, 6, v59
	v_mov_b32_e32 v59, 10
	s_and_saveexec_b64 s[0:1], vcc
	s_cbranch_execz .LBB12_27
; %bb.24:
	v_and_b32_e32 v59, -8, v60
	v_sub_u32_e32 v61, 0, v59
	s_mov_b64 s[8:9], 17
	s_movk_i32 s12, 0x68
	s_mov_b64 s[10:11], 0
.LBB12_25:                              ; =>This Inner Loop Header: Depth=1
	s_add_i32 s13, s8, -7
	v_mov_b32_e32 v59, s12
	s_add_i32 s14, s8, -6
	s_set_gpr_idx_on s13, gpr_idx(SRC0)
	v_mov_b32_e32 v70, v15
	s_set_gpr_idx_off
	ds_read2_b64 v[62:65], v59 offset1:1
	s_add_i32 s15, s8, -5
	s_set_gpr_idx_on s14, gpr_idx(SRC0)
	v_mov_b32_e32 v71, v15
	s_set_gpr_idx_off
	s_add_i32 s16, s8, -4
	s_set_gpr_idx_on s15, gpr_idx(SRC0)
	v_mov_b32_e32 v72, v15
	s_set_gpr_idx_off
	;; [unrolled: 4-line block ×4, first 2 shown]
	ds_read2_b64 v[66:69], v59 offset0:2 offset1:3
	s_add_i32 s19, s8, -1
	s_waitcnt lgkmcnt(1)
	v_fmac_f32_e32 v58, v70, v62
	s_set_gpr_idx_on s18, gpr_idx(SRC0)
	v_mov_b32_e32 v62, v15
	s_set_gpr_idx_off
	v_fmac_f32_e32 v58, v71, v63
	s_set_gpr_idx_on s19, gpr_idx(SRC0)
	v_mov_b32_e32 v63, v15
	s_set_gpr_idx_off
	;; [unrolled: 4-line block ×3, first 2 shown]
	v_fmac_f32_e32 v58, v73, v65
	s_add_u32 s8, s8, 8
	s_waitcnt lgkmcnt(0)
	v_fmac_f32_e32 v58, v74, v66
	v_add_u32_e32 v59, s8, v61
	v_fmac_f32_e32 v58, v62, v67
	s_addc_u32 s9, s9, 0
	s_add_i32 s12, s12, 32
	s_add_i32 s13, s8, -7
	v_cmp_eq_u32_e32 vcc, 17, v59
	v_fmac_f32_e32 v58, v63, v68
	v_mov_b32_e32 v59, s13
	s_or_b64 s[10:11], vcc, s[10:11]
	v_fmac_f32_e32 v58, v64, v69
	s_andn2_b64 exec, exec, s[10:11]
	s_cbranch_execnz .LBB12_25
; %bb.26:
	s_or_b64 exec, exec, s[10:11]
.LBB12_27:
	s_or_b64 exec, exec, s[0:1]
	v_and_b32_e32 v28, 7, v60
	v_cmp_ne_u32_e32 vcc, 0, v28
	s_and_saveexec_b64 s[8:9], vcc
	s_cbranch_execz .LBB12_31
; %bb.28:
	v_lshl_add_u32 v29, v59, 2, 64
	v_mov_b32_e32 v30, 0
	s_mov_b64 s[10:11], 0
.LBB12_29:                              ; =>This Inner Loop Header: Depth=1
	v_cmp_eq_u32_e32 vcc, 1, v59
	v_cndmask_b32_e32 v60, v15, v16, vcc
	v_add_u32_e32 v28, -1, v28
	v_cmp_eq_u32_e32 vcc, 2, v59
	v_cndmask_b32_e32 v60, v60, v17, vcc
	v_cmp_eq_u32_e32 vcc, 0, v28
	v_cmp_eq_u32_e64 s[0:1], 3, v59
	v_cndmask_b32_e64 v60, v60, v18, s[0:1]
	s_or_b64 s[10:11], vcc, s[10:11]
	v_cmp_eq_u32_e32 vcc, 4, v59
	v_cndmask_b32_e32 v60, v60, v19, vcc
	v_cmp_eq_u32_e32 vcc, 5, v59
	v_cndmask_b32_e32 v60, v60, v20, vcc
	;; [unrolled: 2-line block ×4, first 2 shown]
	v_cmp_eq_u32_e32 vcc, 8, v59
	ds_read_b32 v61, v29
	v_cndmask_b32_e32 v60, v60, v23, vcc
	v_cmp_eq_u32_e32 vcc, 9, v59
	v_cndmask_b32_e32 v60, v60, v24, vcc
	v_cmp_eq_u32_e32 vcc, 10, v59
	;; [unrolled: 2-line block ×4, first 2 shown]
	v_add_co_u32_e64 v59, s[0:1], 1, v59
	v_cndmask_b32_e32 v60, v60, v27, vcc
	v_add_u32_e32 v29, 4, v29
	v_addc_co_u32_e64 v30, s[0:1], 0, v30, s[0:1]
	s_waitcnt lgkmcnt(0)
	v_fmac_f32_e32 v58, v60, v61
	s_andn2_b64 exec, exec, s[10:11]
	s_cbranch_execnz .LBB12_29
; %bb.30:
	s_or_b64 exec, exec, s[10:11]
.LBB12_31:
	s_or_b64 exec, exec, s[8:9]
.LBB12_32:
	s_or_b64 exec, exec, s[6:7]
	v_mov_b32_e32 v24, 0
	ds_read_b32 v24, v24 offset:36
	s_waitcnt lgkmcnt(0)
	v_mul_f32_e32 v24, v58, v24
.LBB12_33:
	s_or_b64 exec, exec, s[4:5]
	v_cmp_lt_u32_e64 s[0:1], 8, v0
	ds_write_b32 v57, v23
	s_waitcnt lgkmcnt(0)
	; wave barrier
	s_and_saveexec_b64 s[4:5], s[0:1]
	s_cbranch_execz .LBB12_49
; %bb.34:
	s_andn2_b64 vcc, exec, s[26:27]
	s_cbranch_vccnz .LBB12_36
; %bb.35:
	v_cmp_eq_u32_e32 vcc, 1, v0
	v_cndmask_b32_e32 v58, v15, v16, vcc
	v_cmp_eq_u32_e32 vcc, 2, v0
	v_cndmask_b32_e32 v58, v58, v17, vcc
	;; [unrolled: 2-line block ×8, first 2 shown]
	v_cmp_eq_u32_e32 vcc, 9, v0
	ds_read_b32 v59, v57
	v_cndmask_b32_e32 v58, v58, v24, vcc
	v_cmp_eq_u32_e32 vcc, 10, v0
	v_cndmask_b32_e32 v58, v58, v25, vcc
	v_cmp_eq_u32_e32 vcc, 11, v0
	v_cndmask_b32_e32 v58, v58, v26, vcc
	v_cmp_eq_u32_e32 vcc, 12, v0
	v_cndmask_b32_e32 v58, v58, v27, vcc
	s_waitcnt lgkmcnt(0)
	v_mul_f32_e32 v58, v58, v59
	s_cbranch_execz .LBB12_37
	s_branch .LBB12_38
.LBB12_36:
                                        ; implicit-def: $vgpr58
.LBB12_37:
	ds_read_b32 v58, v57
.LBB12_38:
	s_and_saveexec_b64 s[6:7], s[2:3]
	s_cbranch_execz .LBB12_48
; %bb.39:
	v_add_u32_e32 v59, -10, v0
	v_add_u32_e32 v60, -9, v0
	v_cmp_lt_u32_e32 vcc, 6, v59
	v_mov_b32_e32 v59, 9
	s_and_saveexec_b64 s[2:3], vcc
	s_cbranch_execz .LBB12_43
; %bb.40:
	v_and_b32_e32 v59, -8, v60
	v_sub_u32_e32 v61, 0, v59
	s_mov_b64 s[8:9], 16
	s_movk_i32 s12, 0x64
	s_mov_b64 s[10:11], 0
.LBB12_41:                              ; =>This Inner Loop Header: Depth=1
	s_add_i32 s13, s8, -7
	v_mov_b32_e32 v59, s12
	s_add_i32 s14, s8, -6
	s_set_gpr_idx_on s13, gpr_idx(SRC0)
	v_mov_b32_e32 v68, v15
	s_set_gpr_idx_off
	ds_read2_b32 v[62:63], v59 offset1:1
	s_add_i32 s15, s8, -5
	s_set_gpr_idx_on s14, gpr_idx(SRC0)
	v_mov_b32_e32 v69, v15
	s_set_gpr_idx_off
	s_add_i32 s16, s8, -4
	s_set_gpr_idx_on s15, gpr_idx(SRC0)
	v_mov_b32_e32 v70, v15
	s_set_gpr_idx_off
	ds_read2_b32 v[64:65], v59 offset0:2 offset1:3
	s_add_i32 s17, s8, -3
	s_set_gpr_idx_on s16, gpr_idx(SRC0)
	v_mov_b32_e32 v71, v15
	s_set_gpr_idx_off
	s_add_i32 s18, s8, -2
	s_set_gpr_idx_on s17, gpr_idx(SRC0)
	v_mov_b32_e32 v72, v15
	s_set_gpr_idx_off
	ds_read2_b32 v[66:67], v59 offset0:4 offset1:5
	s_add_i32 s19, s8, -1
	s_waitcnt lgkmcnt(2)
	v_fmac_f32_e32 v58, v68, v62
	s_set_gpr_idx_on s18, gpr_idx(SRC0)
	v_mov_b32_e32 v68, v15
	s_set_gpr_idx_off
	v_fmac_f32_e32 v58, v69, v63
	s_set_gpr_idx_on s19, gpr_idx(SRC0)
	v_mov_b32_e32 v69, v15
	s_set_gpr_idx_off
	ds_read2_b32 v[62:63], v59 offset0:6 offset1:7
	s_waitcnt lgkmcnt(2)
	v_fmac_f32_e32 v58, v70, v64
	s_set_gpr_idx_on s8, gpr_idx(SRC0)
	v_mov_b32_e32 v64, v15
	s_set_gpr_idx_off
	v_fmac_f32_e32 v58, v71, v65
	s_add_u32 s8, s8, 8
	s_waitcnt lgkmcnt(1)
	v_fmac_f32_e32 v58, v72, v66
	v_add_u32_e32 v59, s8, v61
	v_fmac_f32_e32 v58, v68, v67
	s_addc_u32 s9, s9, 0
	s_add_i32 s12, s12, 32
	s_add_i32 s13, s8, -7
	v_cmp_eq_u32_e32 vcc, 16, v59
	s_waitcnt lgkmcnt(0)
	v_fmac_f32_e32 v58, v69, v62
	v_mov_b32_e32 v59, s13
	s_or_b64 s[10:11], vcc, s[10:11]
	v_fmac_f32_e32 v58, v64, v63
	s_andn2_b64 exec, exec, s[10:11]
	s_cbranch_execnz .LBB12_41
; %bb.42:
	s_or_b64 exec, exec, s[10:11]
.LBB12_43:
	s_or_b64 exec, exec, s[2:3]
	v_and_b32_e32 v28, 7, v60
	v_cmp_ne_u32_e32 vcc, 0, v28
	s_and_saveexec_b64 s[8:9], vcc
	s_cbranch_execz .LBB12_47
; %bb.44:
	v_lshl_add_u32 v29, v59, 2, 64
	v_mov_b32_e32 v30, 0
	s_mov_b64 s[10:11], 0
.LBB12_45:                              ; =>This Inner Loop Header: Depth=1
	v_cmp_eq_u32_e32 vcc, 1, v59
	v_cndmask_b32_e32 v60, v15, v16, vcc
	v_add_u32_e32 v28, -1, v28
	v_cmp_eq_u32_e32 vcc, 2, v59
	v_cndmask_b32_e32 v60, v60, v17, vcc
	v_cmp_eq_u32_e32 vcc, 0, v28
	v_cmp_eq_u32_e64 s[2:3], 3, v59
	v_cndmask_b32_e64 v60, v60, v18, s[2:3]
	s_or_b64 s[10:11], vcc, s[10:11]
	v_cmp_eq_u32_e32 vcc, 4, v59
	v_cndmask_b32_e32 v60, v60, v19, vcc
	v_cmp_eq_u32_e32 vcc, 5, v59
	v_cndmask_b32_e32 v60, v60, v20, vcc
	;; [unrolled: 2-line block ×4, first 2 shown]
	v_cmp_eq_u32_e32 vcc, 8, v59
	ds_read_b32 v61, v29
	v_cndmask_b32_e32 v60, v60, v23, vcc
	v_cmp_eq_u32_e32 vcc, 9, v59
	v_cndmask_b32_e32 v60, v60, v24, vcc
	v_cmp_eq_u32_e32 vcc, 10, v59
	;; [unrolled: 2-line block ×4, first 2 shown]
	v_add_co_u32_e64 v59, s[2:3], 1, v59
	v_cndmask_b32_e32 v60, v60, v27, vcc
	v_add_u32_e32 v29, 4, v29
	v_addc_co_u32_e64 v30, s[2:3], 0, v30, s[2:3]
	s_waitcnt lgkmcnt(0)
	v_fmac_f32_e32 v58, v60, v61
	s_andn2_b64 exec, exec, s[10:11]
	s_cbranch_execnz .LBB12_45
; %bb.46:
	s_or_b64 exec, exec, s[10:11]
.LBB12_47:
	s_or_b64 exec, exec, s[8:9]
.LBB12_48:
	s_or_b64 exec, exec, s[6:7]
	v_mov_b32_e32 v23, 0
	ds_read_b32 v23, v23 offset:32
	s_waitcnt lgkmcnt(0)
	v_mul_f32_e32 v23, v58, v23
.LBB12_49:
	s_or_b64 exec, exec, s[4:5]
	v_cmp_lt_u32_e64 s[2:3], 7, v0
	ds_write_b32 v57, v22
	s_waitcnt lgkmcnt(0)
	; wave barrier
	s_and_saveexec_b64 s[4:5], s[2:3]
	s_cbranch_execz .LBB12_65
; %bb.50:
	s_andn2_b64 vcc, exec, s[26:27]
	s_cbranch_vccnz .LBB12_52
; %bb.51:
	v_cmp_eq_u32_e32 vcc, 1, v0
	v_cndmask_b32_e32 v58, v15, v16, vcc
	v_cmp_eq_u32_e32 vcc, 2, v0
	v_cndmask_b32_e32 v58, v58, v17, vcc
	;; [unrolled: 2-line block ×8, first 2 shown]
	v_cmp_eq_u32_e32 vcc, 9, v0
	ds_read_b32 v59, v57
	v_cndmask_b32_e32 v58, v58, v24, vcc
	v_cmp_eq_u32_e32 vcc, 10, v0
	v_cndmask_b32_e32 v58, v58, v25, vcc
	v_cmp_eq_u32_e32 vcc, 11, v0
	;; [unrolled: 2-line block ×3, first 2 shown]
	v_cndmask_b32_e32 v58, v58, v27, vcc
	s_waitcnt lgkmcnt(0)
	v_mul_f32_e32 v58, v58, v59
	s_cbranch_execz .LBB12_53
	s_branch .LBB12_54
.LBB12_52:
                                        ; implicit-def: $vgpr58
.LBB12_53:
	ds_read_b32 v58, v57
.LBB12_54:
	s_and_saveexec_b64 s[6:7], s[0:1]
	s_cbranch_execz .LBB12_64
; %bb.55:
	v_add_u32_e32 v59, -9, v0
	v_cmp_lt_u32_e32 vcc, 6, v59
	v_mov_b32_e32 v59, 8
	s_and_saveexec_b64 s[0:1], vcc
	s_cbranch_execz .LBB12_59
; %bb.56:
	v_and_b32_e32 v59, 8, v0
	v_sub_u32_e32 v60, 0, v59
	s_mov_b64 s[8:9], 15
	s_movk_i32 s12, 0x60
	s_mov_b64 s[10:11], 0
.LBB12_57:                              ; =>This Inner Loop Header: Depth=1
	s_add_i32 s13, s8, -7
	v_mov_b32_e32 v59, s12
	s_add_i32 s14, s8, -6
	s_set_gpr_idx_on s13, gpr_idx(SRC0)
	v_mov_b32_e32 v69, v15
	s_set_gpr_idx_off
	s_add_i32 s15, s8, -5
	ds_read_b128 v[61:64], v59
	ds_read_b128 v[65:68], v59 offset:16
	s_set_gpr_idx_on s14, gpr_idx(SRC0)
	v_mov_b32_e32 v59, v15
	s_set_gpr_idx_off
	s_add_i32 s16, s8, -4
	s_set_gpr_idx_on s15, gpr_idx(SRC0)
	v_mov_b32_e32 v70, v15
	s_set_gpr_idx_off
	s_add_i32 s17, s8, -3
	;; [unrolled: 4-line block ×4, first 2 shown]
	s_waitcnt lgkmcnt(1)
	v_fmac_f32_e32 v58, v69, v61
	s_set_gpr_idx_on s18, gpr_idx(SRC0)
	v_mov_b32_e32 v61, v15
	s_set_gpr_idx_off
	v_fmac_f32_e32 v58, v59, v62
	s_set_gpr_idx_on s19, gpr_idx(SRC0)
	v_mov_b32_e32 v62, v15
	s_set_gpr_idx_off
	;; [unrolled: 4-line block ×3, first 2 shown]
	v_fmac_f32_e32 v58, v71, v64
	s_add_u32 s8, s8, 8
	s_waitcnt lgkmcnt(0)
	v_fmac_f32_e32 v58, v72, v65
	v_add_u32_e32 v59, s8, v60
	v_fmac_f32_e32 v58, v61, v66
	s_addc_u32 s9, s9, 0
	s_add_i32 s12, s12, 32
	s_add_i32 s13, s8, -7
	v_cmp_eq_u32_e32 vcc, 7, v59
	v_fmac_f32_e32 v58, v62, v67
	v_mov_b32_e32 v59, s13
	s_or_b64 s[10:11], vcc, s[10:11]
	v_fmac_f32_e32 v58, v63, v68
	s_andn2_b64 exec, exec, s[10:11]
	s_cbranch_execnz .LBB12_57
; %bb.58:
	s_or_b64 exec, exec, s[10:11]
.LBB12_59:
	s_or_b64 exec, exec, s[0:1]
	v_and_b32_e32 v28, 7, v0
	v_cmp_ne_u32_e32 vcc, 0, v28
	s_and_saveexec_b64 s[8:9], vcc
	s_cbranch_execz .LBB12_63
; %bb.60:
	v_lshl_add_u32 v29, v59, 2, 64
	v_mov_b32_e32 v30, 0
	s_mov_b64 s[10:11], 0
.LBB12_61:                              ; =>This Inner Loop Header: Depth=1
	v_cmp_eq_u32_e32 vcc, 1, v59
	v_cndmask_b32_e32 v60, v15, v16, vcc
	v_add_u32_e32 v28, -1, v28
	v_cmp_eq_u32_e32 vcc, 2, v59
	v_cndmask_b32_e32 v60, v60, v17, vcc
	v_cmp_eq_u32_e32 vcc, 0, v28
	v_cmp_eq_u32_e64 s[0:1], 3, v59
	v_cndmask_b32_e64 v60, v60, v18, s[0:1]
	s_or_b64 s[10:11], vcc, s[10:11]
	v_cmp_eq_u32_e32 vcc, 4, v59
	v_cndmask_b32_e32 v60, v60, v19, vcc
	v_cmp_eq_u32_e32 vcc, 5, v59
	v_cndmask_b32_e32 v60, v60, v20, vcc
	;; [unrolled: 2-line block ×4, first 2 shown]
	v_cmp_eq_u32_e32 vcc, 8, v59
	ds_read_b32 v61, v29
	v_cndmask_b32_e32 v60, v60, v23, vcc
	v_cmp_eq_u32_e32 vcc, 9, v59
	v_cndmask_b32_e32 v60, v60, v24, vcc
	v_cmp_eq_u32_e32 vcc, 10, v59
	;; [unrolled: 2-line block ×4, first 2 shown]
	v_add_co_u32_e64 v59, s[0:1], 1, v59
	v_cndmask_b32_e32 v60, v60, v27, vcc
	v_add_u32_e32 v29, 4, v29
	v_addc_co_u32_e64 v30, s[0:1], 0, v30, s[0:1]
	s_waitcnt lgkmcnt(0)
	v_fmac_f32_e32 v58, v60, v61
	s_andn2_b64 exec, exec, s[10:11]
	s_cbranch_execnz .LBB12_61
; %bb.62:
	s_or_b64 exec, exec, s[10:11]
.LBB12_63:
	s_or_b64 exec, exec, s[8:9]
.LBB12_64:
	s_or_b64 exec, exec, s[6:7]
	v_mov_b32_e32 v22, 0
	ds_read_b32 v22, v22 offset:28
	s_waitcnt lgkmcnt(0)
	v_mul_f32_e32 v22, v58, v22
.LBB12_65:
	s_or_b64 exec, exec, s[4:5]
	v_cmp_lt_u32_e64 s[0:1], 6, v0
	ds_write_b32 v57, v21
	s_waitcnt lgkmcnt(0)
	; wave barrier
	s_and_saveexec_b64 s[4:5], s[0:1]
	s_cbranch_execz .LBB12_81
; %bb.66:
	s_andn2_b64 vcc, exec, s[26:27]
	s_cbranch_vccnz .LBB12_68
; %bb.67:
	v_cmp_eq_u32_e32 vcc, 1, v0
	v_cndmask_b32_e32 v58, v15, v16, vcc
	v_cmp_eq_u32_e32 vcc, 2, v0
	v_cndmask_b32_e32 v58, v58, v17, vcc
	v_cmp_eq_u32_e32 vcc, 3, v0
	v_cndmask_b32_e32 v58, v58, v18, vcc
	v_cmp_eq_u32_e32 vcc, 4, v0
	v_cndmask_b32_e32 v58, v58, v19, vcc
	v_cmp_eq_u32_e32 vcc, 5, v0
	v_cndmask_b32_e32 v58, v58, v20, vcc
	v_cmp_eq_u32_e32 vcc, 6, v0
	v_cndmask_b32_e32 v58, v58, v21, vcc
	v_cmp_eq_u32_e32 vcc, 7, v0
	v_cndmask_b32_e32 v58, v58, v22, vcc
	v_cmp_eq_u32_e32 vcc, 8, v0
	v_cndmask_b32_e32 v58, v58, v23, vcc
	v_cmp_eq_u32_e32 vcc, 9, v0
	ds_read_b32 v59, v57
	v_cndmask_b32_e32 v58, v58, v24, vcc
	v_cmp_eq_u32_e32 vcc, 10, v0
	v_cndmask_b32_e32 v58, v58, v25, vcc
	v_cmp_eq_u32_e32 vcc, 11, v0
	;; [unrolled: 2-line block ×3, first 2 shown]
	v_cndmask_b32_e32 v58, v58, v27, vcc
	s_waitcnt lgkmcnt(0)
	v_mul_f32_e32 v58, v58, v59
	s_cbranch_execz .LBB12_69
	s_branch .LBB12_70
.LBB12_68:
                                        ; implicit-def: $vgpr58
.LBB12_69:
	ds_read_b32 v58, v57
.LBB12_70:
	s_and_saveexec_b64 s[6:7], s[2:3]
	s_cbranch_execz .LBB12_80
; %bb.71:
	v_add_u32_e32 v59, -8, v0
	v_add_u32_e32 v60, -7, v0
	v_cmp_lt_u32_e32 vcc, 6, v59
	v_mov_b32_e32 v59, 7
	s_and_saveexec_b64 s[2:3], vcc
	s_cbranch_execz .LBB12_75
; %bb.72:
	v_and_b32_e32 v59, -8, v60
	v_sub_u32_e32 v61, 0, v59
	s_mov_b64 s[8:9], 14
	s_movk_i32 s12, 0x5c
	s_mov_b64 s[10:11], 0
.LBB12_73:                              ; =>This Inner Loop Header: Depth=1
	s_add_i32 s13, s8, -7
	v_mov_b32_e32 v59, s12
	s_add_i32 s14, s8, -6
	s_set_gpr_idx_on s13, gpr_idx(SRC0)
	v_mov_b32_e32 v68, v15
	s_set_gpr_idx_off
	ds_read2_b32 v[62:63], v59 offset1:1
	s_add_i32 s15, s8, -5
	s_set_gpr_idx_on s14, gpr_idx(SRC0)
	v_mov_b32_e32 v69, v15
	s_set_gpr_idx_off
	s_add_i32 s16, s8, -4
	s_set_gpr_idx_on s15, gpr_idx(SRC0)
	v_mov_b32_e32 v70, v15
	s_set_gpr_idx_off
	ds_read2_b32 v[64:65], v59 offset0:2 offset1:3
	s_add_i32 s17, s8, -3
	s_set_gpr_idx_on s16, gpr_idx(SRC0)
	v_mov_b32_e32 v71, v15
	s_set_gpr_idx_off
	s_add_i32 s18, s8, -2
	s_set_gpr_idx_on s17, gpr_idx(SRC0)
	v_mov_b32_e32 v72, v15
	s_set_gpr_idx_off
	ds_read2_b32 v[66:67], v59 offset0:4 offset1:5
	s_add_i32 s19, s8, -1
	s_waitcnt lgkmcnt(2)
	v_fmac_f32_e32 v58, v68, v62
	s_set_gpr_idx_on s18, gpr_idx(SRC0)
	v_mov_b32_e32 v68, v15
	s_set_gpr_idx_off
	v_fmac_f32_e32 v58, v69, v63
	s_set_gpr_idx_on s19, gpr_idx(SRC0)
	v_mov_b32_e32 v69, v15
	s_set_gpr_idx_off
	ds_read2_b32 v[62:63], v59 offset0:6 offset1:7
	s_waitcnt lgkmcnt(2)
	v_fmac_f32_e32 v58, v70, v64
	s_set_gpr_idx_on s8, gpr_idx(SRC0)
	v_mov_b32_e32 v64, v15
	s_set_gpr_idx_off
	v_fmac_f32_e32 v58, v71, v65
	s_add_u32 s8, s8, 8
	s_waitcnt lgkmcnt(1)
	v_fmac_f32_e32 v58, v72, v66
	v_add_u32_e32 v59, s8, v61
	v_fmac_f32_e32 v58, v68, v67
	s_addc_u32 s9, s9, 0
	s_add_i32 s12, s12, 32
	s_add_i32 s13, s8, -7
	v_cmp_eq_u32_e32 vcc, 14, v59
	s_waitcnt lgkmcnt(0)
	v_fmac_f32_e32 v58, v69, v62
	v_mov_b32_e32 v59, s13
	s_or_b64 s[10:11], vcc, s[10:11]
	v_fmac_f32_e32 v58, v64, v63
	s_andn2_b64 exec, exec, s[10:11]
	s_cbranch_execnz .LBB12_73
; %bb.74:
	s_or_b64 exec, exec, s[10:11]
.LBB12_75:
	s_or_b64 exec, exec, s[2:3]
	v_and_b32_e32 v28, 7, v60
	v_cmp_ne_u32_e32 vcc, 0, v28
	s_and_saveexec_b64 s[8:9], vcc
	s_cbranch_execz .LBB12_79
; %bb.76:
	v_lshl_add_u32 v29, v59, 2, 64
	v_mov_b32_e32 v30, 0
	s_mov_b64 s[10:11], 0
.LBB12_77:                              ; =>This Inner Loop Header: Depth=1
	v_cmp_eq_u32_e32 vcc, 1, v59
	v_cndmask_b32_e32 v60, v15, v16, vcc
	v_add_u32_e32 v28, -1, v28
	v_cmp_eq_u32_e32 vcc, 2, v59
	v_cndmask_b32_e32 v60, v60, v17, vcc
	v_cmp_eq_u32_e32 vcc, 0, v28
	v_cmp_eq_u32_e64 s[2:3], 3, v59
	v_cndmask_b32_e64 v60, v60, v18, s[2:3]
	s_or_b64 s[10:11], vcc, s[10:11]
	v_cmp_eq_u32_e32 vcc, 4, v59
	v_cndmask_b32_e32 v60, v60, v19, vcc
	v_cmp_eq_u32_e32 vcc, 5, v59
	v_cndmask_b32_e32 v60, v60, v20, vcc
	;; [unrolled: 2-line block ×4, first 2 shown]
	v_cmp_eq_u32_e32 vcc, 8, v59
	ds_read_b32 v61, v29
	v_cndmask_b32_e32 v60, v60, v23, vcc
	v_cmp_eq_u32_e32 vcc, 9, v59
	v_cndmask_b32_e32 v60, v60, v24, vcc
	v_cmp_eq_u32_e32 vcc, 10, v59
	;; [unrolled: 2-line block ×4, first 2 shown]
	v_add_co_u32_e64 v59, s[2:3], 1, v59
	v_cndmask_b32_e32 v60, v60, v27, vcc
	v_add_u32_e32 v29, 4, v29
	v_addc_co_u32_e64 v30, s[2:3], 0, v30, s[2:3]
	s_waitcnt lgkmcnt(0)
	v_fmac_f32_e32 v58, v60, v61
	s_andn2_b64 exec, exec, s[10:11]
	s_cbranch_execnz .LBB12_77
; %bb.78:
	s_or_b64 exec, exec, s[10:11]
.LBB12_79:
	s_or_b64 exec, exec, s[8:9]
.LBB12_80:
	s_or_b64 exec, exec, s[6:7]
	v_mov_b32_e32 v21, 0
	ds_read_b32 v21, v21 offset:24
	s_waitcnt lgkmcnt(0)
	v_mul_f32_e32 v21, v58, v21
.LBB12_81:
	s_or_b64 exec, exec, s[4:5]
	v_cmp_lt_u32_e64 s[2:3], 5, v0
	ds_write_b32 v57, v20
	s_waitcnt lgkmcnt(0)
	; wave barrier
	s_and_saveexec_b64 s[4:5], s[2:3]
	s_cbranch_execz .LBB12_97
; %bb.82:
	s_andn2_b64 vcc, exec, s[26:27]
	s_cbranch_vccnz .LBB12_84
; %bb.83:
	v_cmp_eq_u32_e32 vcc, 1, v0
	v_cndmask_b32_e32 v58, v15, v16, vcc
	v_cmp_eq_u32_e32 vcc, 2, v0
	v_cndmask_b32_e32 v58, v58, v17, vcc
	;; [unrolled: 2-line block ×8, first 2 shown]
	v_cmp_eq_u32_e32 vcc, 9, v0
	ds_read_b32 v59, v57
	v_cndmask_b32_e32 v58, v58, v24, vcc
	v_cmp_eq_u32_e32 vcc, 10, v0
	v_cndmask_b32_e32 v58, v58, v25, vcc
	v_cmp_eq_u32_e32 vcc, 11, v0
	;; [unrolled: 2-line block ×3, first 2 shown]
	v_cndmask_b32_e32 v58, v58, v27, vcc
	s_waitcnt lgkmcnt(0)
	v_mul_f32_e32 v58, v58, v59
	s_cbranch_execz .LBB12_85
	s_branch .LBB12_86
.LBB12_84:
                                        ; implicit-def: $vgpr58
.LBB12_85:
	ds_read_b32 v58, v57
.LBB12_86:
	s_and_saveexec_b64 s[6:7], s[0:1]
	s_cbranch_execz .LBB12_96
; %bb.87:
	v_add_u32_e32 v61, -7, v0
	v_add_u32_e32 v60, -6, v0
	v_mov_b32_e32 v59, 6
	v_cmp_lt_u32_e32 vcc, 6, v61
	s_and_saveexec_b64 s[0:1], vcc
	s_cbranch_execz .LBB12_91
; %bb.88:
	v_and_b32_e32 v59, -8, v60
	v_sub_u32_e32 v61, 0, v59
	s_mov_b64 s[8:9], 13
	s_movk_i32 s12, 0x58
	s_mov_b64 s[10:11], 0
.LBB12_89:                              ; =>This Inner Loop Header: Depth=1
	s_add_i32 s13, s8, -7
	v_mov_b32_e32 v59, s12
	s_add_i32 s14, s8, -6
	s_set_gpr_idx_on s13, gpr_idx(SRC0)
	v_mov_b32_e32 v70, v15
	s_set_gpr_idx_off
	ds_read2_b64 v[62:65], v59 offset1:1
	s_add_i32 s15, s8, -5
	s_set_gpr_idx_on s14, gpr_idx(SRC0)
	v_mov_b32_e32 v71, v15
	s_set_gpr_idx_off
	s_add_i32 s16, s8, -4
	s_set_gpr_idx_on s15, gpr_idx(SRC0)
	v_mov_b32_e32 v72, v15
	s_set_gpr_idx_off
	;; [unrolled: 4-line block ×4, first 2 shown]
	ds_read2_b64 v[66:69], v59 offset0:2 offset1:3
	s_add_i32 s19, s8, -1
	s_waitcnt lgkmcnt(1)
	v_fmac_f32_e32 v58, v70, v62
	s_set_gpr_idx_on s18, gpr_idx(SRC0)
	v_mov_b32_e32 v62, v15
	s_set_gpr_idx_off
	v_fmac_f32_e32 v58, v71, v63
	s_set_gpr_idx_on s19, gpr_idx(SRC0)
	v_mov_b32_e32 v63, v15
	s_set_gpr_idx_off
	;; [unrolled: 4-line block ×3, first 2 shown]
	v_fmac_f32_e32 v58, v73, v65
	s_add_u32 s8, s8, 8
	s_waitcnt lgkmcnt(0)
	v_fmac_f32_e32 v58, v74, v66
	v_add_u32_e32 v59, s8, v61
	v_fmac_f32_e32 v58, v62, v67
	s_addc_u32 s9, s9, 0
	s_add_i32 s12, s12, 32
	s_add_i32 s13, s8, -7
	v_cmp_eq_u32_e32 vcc, 13, v59
	v_fmac_f32_e32 v58, v63, v68
	v_mov_b32_e32 v59, s13
	s_or_b64 s[10:11], vcc, s[10:11]
	v_fmac_f32_e32 v58, v64, v69
	s_andn2_b64 exec, exec, s[10:11]
	s_cbranch_execnz .LBB12_89
; %bb.90:
	s_or_b64 exec, exec, s[10:11]
.LBB12_91:
	s_or_b64 exec, exec, s[0:1]
	v_and_b32_e32 v28, 7, v60
	v_cmp_ne_u32_e32 vcc, 0, v28
	s_and_saveexec_b64 s[8:9], vcc
	s_cbranch_execz .LBB12_95
; %bb.92:
	v_lshl_add_u32 v29, v59, 2, 64
	v_mov_b32_e32 v30, 0
	s_mov_b64 s[10:11], 0
.LBB12_93:                              ; =>This Inner Loop Header: Depth=1
	v_cmp_eq_u32_e32 vcc, 1, v59
	v_cndmask_b32_e32 v60, v15, v16, vcc
	v_add_u32_e32 v28, -1, v28
	v_cmp_eq_u32_e32 vcc, 2, v59
	v_cndmask_b32_e32 v60, v60, v17, vcc
	v_cmp_eq_u32_e32 vcc, 0, v28
	v_cmp_eq_u32_e64 s[0:1], 3, v59
	v_cndmask_b32_e64 v60, v60, v18, s[0:1]
	s_or_b64 s[10:11], vcc, s[10:11]
	v_cmp_eq_u32_e32 vcc, 4, v59
	v_cndmask_b32_e32 v60, v60, v19, vcc
	v_cmp_eq_u32_e32 vcc, 5, v59
	v_cndmask_b32_e32 v60, v60, v20, vcc
	;; [unrolled: 2-line block ×4, first 2 shown]
	v_cmp_eq_u32_e32 vcc, 8, v59
	ds_read_b32 v61, v29
	v_cndmask_b32_e32 v60, v60, v23, vcc
	v_cmp_eq_u32_e32 vcc, 9, v59
	v_cndmask_b32_e32 v60, v60, v24, vcc
	v_cmp_eq_u32_e32 vcc, 10, v59
	;; [unrolled: 2-line block ×4, first 2 shown]
	v_add_co_u32_e64 v59, s[0:1], 1, v59
	v_cndmask_b32_e32 v60, v60, v27, vcc
	v_add_u32_e32 v29, 4, v29
	v_addc_co_u32_e64 v30, s[0:1], 0, v30, s[0:1]
	s_waitcnt lgkmcnt(0)
	v_fmac_f32_e32 v58, v60, v61
	s_andn2_b64 exec, exec, s[10:11]
	s_cbranch_execnz .LBB12_93
; %bb.94:
	s_or_b64 exec, exec, s[10:11]
.LBB12_95:
	s_or_b64 exec, exec, s[8:9]
.LBB12_96:
	s_or_b64 exec, exec, s[6:7]
	v_mov_b32_e32 v20, 0
	ds_read_b32 v20, v20 offset:20
	s_waitcnt lgkmcnt(0)
	v_mul_f32_e32 v20, v58, v20
.LBB12_97:
	s_or_b64 exec, exec, s[4:5]
	v_cmp_lt_u32_e64 s[0:1], 4, v0
	ds_write_b32 v57, v19
	s_waitcnt lgkmcnt(0)
	; wave barrier
	s_and_saveexec_b64 s[4:5], s[0:1]
	s_cbranch_execz .LBB12_113
; %bb.98:
	s_andn2_b64 vcc, exec, s[26:27]
	s_cbranch_vccnz .LBB12_100
; %bb.99:
	v_cmp_eq_u32_e32 vcc, 1, v0
	v_cndmask_b32_e32 v58, v15, v16, vcc
	v_cmp_eq_u32_e32 vcc, 2, v0
	v_cndmask_b32_e32 v58, v58, v17, vcc
	;; [unrolled: 2-line block ×8, first 2 shown]
	v_cmp_eq_u32_e32 vcc, 9, v0
	ds_read_b32 v59, v57
	v_cndmask_b32_e32 v58, v58, v24, vcc
	v_cmp_eq_u32_e32 vcc, 10, v0
	v_cndmask_b32_e32 v58, v58, v25, vcc
	v_cmp_eq_u32_e32 vcc, 11, v0
	;; [unrolled: 2-line block ×3, first 2 shown]
	v_cndmask_b32_e32 v58, v58, v27, vcc
	s_waitcnt lgkmcnt(0)
	v_mul_f32_e32 v58, v58, v59
	s_cbranch_execz .LBB12_101
	s_branch .LBB12_102
.LBB12_100:
                                        ; implicit-def: $vgpr58
.LBB12_101:
	ds_read_b32 v58, v57
.LBB12_102:
	s_and_saveexec_b64 s[6:7], s[2:3]
	s_cbranch_execz .LBB12_112
; %bb.103:
	v_add_u32_e32 v59, -6, v0
	v_add_u32_e32 v60, -5, v0
	v_cmp_lt_u32_e32 vcc, 6, v59
	v_mov_b32_e32 v59, 5
	s_and_saveexec_b64 s[2:3], vcc
	s_cbranch_execz .LBB12_107
; %bb.104:
	v_and_b32_e32 v59, -8, v60
	v_sub_u32_e32 v61, 0, v59
	s_mov_b64 s[8:9], 12
	s_movk_i32 s12, 0x54
	s_mov_b64 s[10:11], 0
.LBB12_105:                             ; =>This Inner Loop Header: Depth=1
	s_add_i32 s13, s8, -7
	v_mov_b32_e32 v59, s12
	s_add_i32 s14, s8, -6
	s_set_gpr_idx_on s13, gpr_idx(SRC0)
	v_mov_b32_e32 v68, v15
	s_set_gpr_idx_off
	ds_read2_b32 v[62:63], v59 offset1:1
	s_add_i32 s15, s8, -5
	s_set_gpr_idx_on s14, gpr_idx(SRC0)
	v_mov_b32_e32 v69, v15
	s_set_gpr_idx_off
	s_add_i32 s16, s8, -4
	s_set_gpr_idx_on s15, gpr_idx(SRC0)
	v_mov_b32_e32 v70, v15
	s_set_gpr_idx_off
	ds_read2_b32 v[64:65], v59 offset0:2 offset1:3
	s_add_i32 s17, s8, -3
	s_set_gpr_idx_on s16, gpr_idx(SRC0)
	v_mov_b32_e32 v71, v15
	s_set_gpr_idx_off
	s_add_i32 s18, s8, -2
	s_set_gpr_idx_on s17, gpr_idx(SRC0)
	v_mov_b32_e32 v72, v15
	s_set_gpr_idx_off
	ds_read2_b32 v[66:67], v59 offset0:4 offset1:5
	s_add_i32 s19, s8, -1
	s_waitcnt lgkmcnt(2)
	v_fmac_f32_e32 v58, v68, v62
	s_set_gpr_idx_on s18, gpr_idx(SRC0)
	v_mov_b32_e32 v68, v15
	s_set_gpr_idx_off
	v_fmac_f32_e32 v58, v69, v63
	s_set_gpr_idx_on s19, gpr_idx(SRC0)
	v_mov_b32_e32 v69, v15
	s_set_gpr_idx_off
	ds_read2_b32 v[62:63], v59 offset0:6 offset1:7
	s_waitcnt lgkmcnt(2)
	v_fmac_f32_e32 v58, v70, v64
	s_set_gpr_idx_on s8, gpr_idx(SRC0)
	v_mov_b32_e32 v64, v15
	s_set_gpr_idx_off
	v_fmac_f32_e32 v58, v71, v65
	s_add_u32 s8, s8, 8
	s_waitcnt lgkmcnt(1)
	v_fmac_f32_e32 v58, v72, v66
	v_add_u32_e32 v59, s8, v61
	v_fmac_f32_e32 v58, v68, v67
	s_addc_u32 s9, s9, 0
	s_add_i32 s12, s12, 32
	s_add_i32 s13, s8, -7
	v_cmp_eq_u32_e32 vcc, 12, v59
	s_waitcnt lgkmcnt(0)
	v_fmac_f32_e32 v58, v69, v62
	v_mov_b32_e32 v59, s13
	s_or_b64 s[10:11], vcc, s[10:11]
	v_fmac_f32_e32 v58, v64, v63
	s_andn2_b64 exec, exec, s[10:11]
	s_cbranch_execnz .LBB12_105
; %bb.106:
	s_or_b64 exec, exec, s[10:11]
.LBB12_107:
	s_or_b64 exec, exec, s[2:3]
	v_and_b32_e32 v28, 7, v60
	v_cmp_ne_u32_e32 vcc, 0, v28
	s_and_saveexec_b64 s[8:9], vcc
	s_cbranch_execz .LBB12_111
; %bb.108:
	v_lshl_add_u32 v29, v59, 2, 64
	v_mov_b32_e32 v30, 0
	s_mov_b64 s[10:11], 0
.LBB12_109:                             ; =>This Inner Loop Header: Depth=1
	v_cmp_eq_u32_e32 vcc, 1, v59
	v_cndmask_b32_e32 v60, v15, v16, vcc
	v_add_u32_e32 v28, -1, v28
	v_cmp_eq_u32_e32 vcc, 2, v59
	v_cndmask_b32_e32 v60, v60, v17, vcc
	v_cmp_eq_u32_e32 vcc, 0, v28
	v_cmp_eq_u32_e64 s[2:3], 3, v59
	v_cndmask_b32_e64 v60, v60, v18, s[2:3]
	s_or_b64 s[10:11], vcc, s[10:11]
	v_cmp_eq_u32_e32 vcc, 4, v59
	v_cndmask_b32_e32 v60, v60, v19, vcc
	v_cmp_eq_u32_e32 vcc, 5, v59
	v_cndmask_b32_e32 v60, v60, v20, vcc
	v_cmp_eq_u32_e32 vcc, 6, v59
	v_cndmask_b32_e32 v60, v60, v21, vcc
	v_cmp_eq_u32_e32 vcc, 7, v59
	v_cndmask_b32_e32 v60, v60, v22, vcc
	v_cmp_eq_u32_e32 vcc, 8, v59
	ds_read_b32 v61, v29
	v_cndmask_b32_e32 v60, v60, v23, vcc
	v_cmp_eq_u32_e32 vcc, 9, v59
	v_cndmask_b32_e32 v60, v60, v24, vcc
	v_cmp_eq_u32_e32 vcc, 10, v59
	;; [unrolled: 2-line block ×4, first 2 shown]
	v_add_co_u32_e64 v59, s[2:3], 1, v59
	v_cndmask_b32_e32 v60, v60, v27, vcc
	v_add_u32_e32 v29, 4, v29
	v_addc_co_u32_e64 v30, s[2:3], 0, v30, s[2:3]
	s_waitcnt lgkmcnt(0)
	v_fmac_f32_e32 v58, v60, v61
	s_andn2_b64 exec, exec, s[10:11]
	s_cbranch_execnz .LBB12_109
; %bb.110:
	s_or_b64 exec, exec, s[10:11]
.LBB12_111:
	s_or_b64 exec, exec, s[8:9]
.LBB12_112:
	s_or_b64 exec, exec, s[6:7]
	v_mov_b32_e32 v19, 0
	ds_read_b32 v19, v19 offset:16
	s_waitcnt lgkmcnt(0)
	v_mul_f32_e32 v19, v58, v19
.LBB12_113:
	s_or_b64 exec, exec, s[4:5]
	v_cmp_lt_u32_e64 s[2:3], 3, v0
	ds_write_b32 v57, v18
	s_waitcnt lgkmcnt(0)
	; wave barrier
	s_and_saveexec_b64 s[4:5], s[2:3]
	s_cbranch_execz .LBB12_129
; %bb.114:
	s_andn2_b64 vcc, exec, s[26:27]
	s_cbranch_vccnz .LBB12_116
; %bb.115:
	v_cmp_eq_u32_e32 vcc, 1, v0
	v_cndmask_b32_e32 v58, v15, v16, vcc
	v_cmp_eq_u32_e32 vcc, 2, v0
	v_cndmask_b32_e32 v58, v58, v17, vcc
	v_cmp_eq_u32_e32 vcc, 3, v0
	v_cndmask_b32_e32 v58, v58, v18, vcc
	v_cmp_eq_u32_e32 vcc, 4, v0
	v_cndmask_b32_e32 v58, v58, v19, vcc
	v_cmp_eq_u32_e32 vcc, 5, v0
	v_cndmask_b32_e32 v58, v58, v20, vcc
	v_cmp_eq_u32_e32 vcc, 6, v0
	v_cndmask_b32_e32 v58, v58, v21, vcc
	v_cmp_eq_u32_e32 vcc, 7, v0
	v_cndmask_b32_e32 v58, v58, v22, vcc
	v_cmp_eq_u32_e32 vcc, 8, v0
	v_cndmask_b32_e32 v58, v58, v23, vcc
	v_cmp_eq_u32_e32 vcc, 9, v0
	ds_read_b32 v59, v57
	v_cndmask_b32_e32 v58, v58, v24, vcc
	v_cmp_eq_u32_e32 vcc, 10, v0
	v_cndmask_b32_e32 v58, v58, v25, vcc
	v_cmp_eq_u32_e32 vcc, 11, v0
	;; [unrolled: 2-line block ×3, first 2 shown]
	v_cndmask_b32_e32 v58, v58, v27, vcc
	s_waitcnt lgkmcnt(0)
	v_mul_f32_e32 v58, v58, v59
	s_cbranch_execz .LBB12_117
	s_branch .LBB12_118
.LBB12_116:
                                        ; implicit-def: $vgpr58
.LBB12_117:
	ds_read_b32 v58, v57
.LBB12_118:
	s_and_saveexec_b64 s[6:7], s[0:1]
	s_cbranch_execz .LBB12_128
; %bb.119:
	v_add_u32_e32 v59, -5, v0
	v_add_u32_e32 v60, -4, v0
	v_cmp_lt_u32_e32 vcc, 6, v59
	v_mov_b32_e32 v59, 4
	s_and_saveexec_b64 s[0:1], vcc
	s_cbranch_execz .LBB12_123
; %bb.120:
	v_and_b32_e32 v59, -8, v60
	v_sub_u32_e32 v61, 0, v59
	s_mov_b64 s[8:9], 5
	s_movk_i32 s12, 0x50
	s_mov_b64 s[10:11], 0
.LBB12_121:                             ; =>This Inner Loop Header: Depth=1
	s_add_i32 s13, s8, -1
	v_mov_b32_e32 v59, s12
	s_set_gpr_idx_on s13, gpr_idx(SRC0)
	v_mov_b32_e32 v70, v15
	s_set_gpr_idx_off
	s_add_i32 s14, s8, 1
	ds_read_b128 v[62:65], v59
	ds_read_b128 v[66:69], v59 offset:16
	s_set_gpr_idx_on s8, gpr_idx(SRC0)
	v_mov_b32_e32 v71, v15
	s_set_gpr_idx_off
	s_add_i32 s15, s8, 2
	s_set_gpr_idx_on s14, gpr_idx(SRC0)
	v_mov_b32_e32 v72, v15
	s_set_gpr_idx_off
	s_add_i32 s16, s8, 3
	;; [unrolled: 4-line block ×4, first 2 shown]
	s_waitcnt lgkmcnt(1)
	v_fmac_f32_e32 v58, v70, v62
	s_set_gpr_idx_on s17, gpr_idx(SRC0)
	v_mov_b32_e32 v62, v15
	s_set_gpr_idx_off
	s_add_i32 s19, s8, 6
	v_fmac_f32_e32 v58, v71, v63
	s_set_gpr_idx_on s18, gpr_idx(SRC0)
	v_mov_b32_e32 v63, v15
	s_set_gpr_idx_off
	v_fmac_f32_e32 v58, v72, v64
	s_set_gpr_idx_on s19, gpr_idx(SRC0)
	v_mov_b32_e32 v64, v15
	s_set_gpr_idx_off
	v_fmac_f32_e32 v58, v73, v65
	s_add_u32 s8, s8, 8
	s_waitcnt lgkmcnt(0)
	v_fmac_f32_e32 v58, v74, v66
	v_add_u32_e32 v59, s8, v61
	v_fmac_f32_e32 v58, v62, v67
	s_addc_u32 s9, s9, 0
	s_add_i32 s12, s12, 32
	s_add_i32 s13, s8, -1
	v_cmp_eq_u32_e32 vcc, 5, v59
	v_fmac_f32_e32 v58, v63, v68
	v_mov_b32_e32 v59, s13
	s_or_b64 s[10:11], vcc, s[10:11]
	v_fmac_f32_e32 v58, v64, v69
	s_andn2_b64 exec, exec, s[10:11]
	s_cbranch_execnz .LBB12_121
; %bb.122:
	s_or_b64 exec, exec, s[10:11]
.LBB12_123:
	s_or_b64 exec, exec, s[0:1]
	v_and_b32_e32 v28, 7, v60
	v_cmp_ne_u32_e32 vcc, 0, v28
	s_and_saveexec_b64 s[8:9], vcc
	s_cbranch_execz .LBB12_127
; %bb.124:
	v_lshl_add_u32 v29, v59, 2, 64
	v_mov_b32_e32 v30, 0
	s_mov_b64 s[10:11], 0
.LBB12_125:                             ; =>This Inner Loop Header: Depth=1
	v_cmp_eq_u32_e32 vcc, 1, v59
	v_cndmask_b32_e32 v60, v15, v16, vcc
	v_add_u32_e32 v28, -1, v28
	v_cmp_eq_u32_e32 vcc, 2, v59
	v_cndmask_b32_e32 v60, v60, v17, vcc
	v_cmp_eq_u32_e32 vcc, 0, v28
	v_cmp_eq_u32_e64 s[0:1], 3, v59
	v_cndmask_b32_e64 v60, v60, v18, s[0:1]
	s_or_b64 s[10:11], vcc, s[10:11]
	v_cmp_eq_u32_e32 vcc, 4, v59
	v_cndmask_b32_e32 v60, v60, v19, vcc
	v_cmp_eq_u32_e32 vcc, 5, v59
	v_cndmask_b32_e32 v60, v60, v20, vcc
	;; [unrolled: 2-line block ×4, first 2 shown]
	v_cmp_eq_u32_e32 vcc, 8, v59
	ds_read_b32 v61, v29
	v_cndmask_b32_e32 v60, v60, v23, vcc
	v_cmp_eq_u32_e32 vcc, 9, v59
	v_cndmask_b32_e32 v60, v60, v24, vcc
	v_cmp_eq_u32_e32 vcc, 10, v59
	;; [unrolled: 2-line block ×4, first 2 shown]
	v_add_co_u32_e64 v59, s[0:1], 1, v59
	v_cndmask_b32_e32 v60, v60, v27, vcc
	v_add_u32_e32 v29, 4, v29
	v_addc_co_u32_e64 v30, s[0:1], 0, v30, s[0:1]
	s_waitcnt lgkmcnt(0)
	v_fmac_f32_e32 v58, v60, v61
	s_andn2_b64 exec, exec, s[10:11]
	s_cbranch_execnz .LBB12_125
; %bb.126:
	s_or_b64 exec, exec, s[10:11]
.LBB12_127:
	s_or_b64 exec, exec, s[8:9]
.LBB12_128:
	s_or_b64 exec, exec, s[6:7]
	v_mov_b32_e32 v18, 0
	ds_read_b32 v18, v18 offset:12
	s_waitcnt lgkmcnt(0)
	v_mul_f32_e32 v18, v58, v18
.LBB12_129:
	s_or_b64 exec, exec, s[4:5]
	v_cmp_lt_u32_e64 s[0:1], 2, v0
	ds_write_b32 v57, v17
	s_waitcnt lgkmcnt(0)
	; wave barrier
	s_and_saveexec_b64 s[4:5], s[0:1]
	s_cbranch_execz .LBB12_145
; %bb.130:
	s_andn2_b64 vcc, exec, s[26:27]
	s_cbranch_vccnz .LBB12_132
; %bb.131:
	v_cmp_eq_u32_e32 vcc, 1, v0
	v_cndmask_b32_e32 v58, v15, v16, vcc
	v_cmp_eq_u32_e32 vcc, 2, v0
	v_cndmask_b32_e32 v58, v58, v17, vcc
	;; [unrolled: 2-line block ×8, first 2 shown]
	v_cmp_eq_u32_e32 vcc, 9, v0
	ds_read_b32 v59, v57
	v_cndmask_b32_e32 v58, v58, v24, vcc
	v_cmp_eq_u32_e32 vcc, 10, v0
	v_cndmask_b32_e32 v58, v58, v25, vcc
	v_cmp_eq_u32_e32 vcc, 11, v0
	;; [unrolled: 2-line block ×3, first 2 shown]
	v_cndmask_b32_e32 v58, v58, v27, vcc
	s_waitcnt lgkmcnt(0)
	v_mul_f32_e32 v58, v58, v59
	s_cbranch_execz .LBB12_133
	s_branch .LBB12_134
.LBB12_132:
                                        ; implicit-def: $vgpr58
.LBB12_133:
	ds_read_b32 v58, v57
.LBB12_134:
	s_and_saveexec_b64 s[6:7], s[2:3]
	s_cbranch_execz .LBB12_144
; %bb.135:
	v_add_u32_e32 v59, -4, v0
	v_add_u32_e32 v60, -3, v0
	v_cmp_lt_u32_e32 vcc, 6, v59
	v_mov_b32_e32 v59, 3
	s_and_saveexec_b64 s[2:3], vcc
	s_cbranch_execz .LBB12_139
; %bb.136:
	v_and_b32_e32 v59, -8, v60
	v_sub_u32_e32 v61, 0, v59
	s_mov_b64 s[8:9], 10
	s_movk_i32 s12, 0x4c
	s_mov_b64 s[10:11], 0
.LBB12_137:                             ; =>This Inner Loop Header: Depth=1
	s_add_i32 s13, s8, -7
	v_mov_b32_e32 v59, s12
	s_add_i32 s14, s8, -6
	s_set_gpr_idx_on s13, gpr_idx(SRC0)
	v_mov_b32_e32 v68, v15
	s_set_gpr_idx_off
	ds_read2_b32 v[62:63], v59 offset1:1
	s_add_i32 s15, s8, -5
	s_set_gpr_idx_on s14, gpr_idx(SRC0)
	v_mov_b32_e32 v69, v15
	s_set_gpr_idx_off
	s_add_i32 s16, s8, -4
	s_set_gpr_idx_on s15, gpr_idx(SRC0)
	v_mov_b32_e32 v70, v15
	s_set_gpr_idx_off
	ds_read2_b32 v[64:65], v59 offset0:2 offset1:3
	s_add_i32 s17, s8, -3
	s_set_gpr_idx_on s16, gpr_idx(SRC0)
	v_mov_b32_e32 v71, v15
	s_set_gpr_idx_off
	s_add_i32 s18, s8, -2
	s_set_gpr_idx_on s17, gpr_idx(SRC0)
	v_mov_b32_e32 v72, v15
	s_set_gpr_idx_off
	ds_read2_b32 v[66:67], v59 offset0:4 offset1:5
	s_add_i32 s19, s8, -1
	s_waitcnt lgkmcnt(2)
	v_fmac_f32_e32 v58, v68, v62
	s_set_gpr_idx_on s18, gpr_idx(SRC0)
	v_mov_b32_e32 v68, v15
	s_set_gpr_idx_off
	v_fmac_f32_e32 v58, v69, v63
	s_set_gpr_idx_on s19, gpr_idx(SRC0)
	v_mov_b32_e32 v69, v15
	s_set_gpr_idx_off
	ds_read2_b32 v[62:63], v59 offset0:6 offset1:7
	s_waitcnt lgkmcnt(2)
	v_fmac_f32_e32 v58, v70, v64
	s_set_gpr_idx_on s8, gpr_idx(SRC0)
	v_mov_b32_e32 v64, v15
	s_set_gpr_idx_off
	v_fmac_f32_e32 v58, v71, v65
	s_add_u32 s8, s8, 8
	s_waitcnt lgkmcnt(1)
	v_fmac_f32_e32 v58, v72, v66
	v_add_u32_e32 v59, s8, v61
	v_fmac_f32_e32 v58, v68, v67
	s_addc_u32 s9, s9, 0
	s_add_i32 s12, s12, 32
	s_add_i32 s13, s8, -7
	v_cmp_eq_u32_e32 vcc, 10, v59
	s_waitcnt lgkmcnt(0)
	v_fmac_f32_e32 v58, v69, v62
	v_mov_b32_e32 v59, s13
	s_or_b64 s[10:11], vcc, s[10:11]
	v_fmac_f32_e32 v58, v64, v63
	s_andn2_b64 exec, exec, s[10:11]
	s_cbranch_execnz .LBB12_137
; %bb.138:
	s_or_b64 exec, exec, s[10:11]
.LBB12_139:
	s_or_b64 exec, exec, s[2:3]
	v_and_b32_e32 v28, 7, v60
	v_cmp_ne_u32_e32 vcc, 0, v28
	s_and_saveexec_b64 s[8:9], vcc
	s_cbranch_execz .LBB12_143
; %bb.140:
	v_lshl_add_u32 v29, v59, 2, 64
	v_mov_b32_e32 v30, 0
	s_mov_b64 s[10:11], 0
.LBB12_141:                             ; =>This Inner Loop Header: Depth=1
	v_cmp_eq_u32_e32 vcc, 1, v59
	v_cndmask_b32_e32 v60, v15, v16, vcc
	v_add_u32_e32 v28, -1, v28
	v_cmp_eq_u32_e32 vcc, 2, v59
	v_cndmask_b32_e32 v60, v60, v17, vcc
	v_cmp_eq_u32_e32 vcc, 0, v28
	v_cmp_eq_u32_e64 s[2:3], 3, v59
	v_cndmask_b32_e64 v60, v60, v18, s[2:3]
	s_or_b64 s[10:11], vcc, s[10:11]
	v_cmp_eq_u32_e32 vcc, 4, v59
	v_cndmask_b32_e32 v60, v60, v19, vcc
	v_cmp_eq_u32_e32 vcc, 5, v59
	v_cndmask_b32_e32 v60, v60, v20, vcc
	;; [unrolled: 2-line block ×4, first 2 shown]
	v_cmp_eq_u32_e32 vcc, 8, v59
	ds_read_b32 v61, v29
	v_cndmask_b32_e32 v60, v60, v23, vcc
	v_cmp_eq_u32_e32 vcc, 9, v59
	v_cndmask_b32_e32 v60, v60, v24, vcc
	v_cmp_eq_u32_e32 vcc, 10, v59
	;; [unrolled: 2-line block ×4, first 2 shown]
	v_add_co_u32_e64 v59, s[2:3], 1, v59
	v_cndmask_b32_e32 v60, v60, v27, vcc
	v_add_u32_e32 v29, 4, v29
	v_addc_co_u32_e64 v30, s[2:3], 0, v30, s[2:3]
	s_waitcnt lgkmcnt(0)
	v_fmac_f32_e32 v58, v60, v61
	s_andn2_b64 exec, exec, s[10:11]
	s_cbranch_execnz .LBB12_141
; %bb.142:
	s_or_b64 exec, exec, s[10:11]
.LBB12_143:
	s_or_b64 exec, exec, s[8:9]
.LBB12_144:
	s_or_b64 exec, exec, s[6:7]
	v_mov_b32_e32 v17, 0
	ds_read_b32 v17, v17 offset:8
	s_waitcnt lgkmcnt(0)
	v_mul_f32_e32 v17, v58, v17
.LBB12_145:
	s_or_b64 exec, exec, s[4:5]
	v_cmp_lt_u32_e64 s[2:3], 1, v0
	ds_write_b32 v57, v16
	s_waitcnt lgkmcnt(0)
	; wave barrier
	s_and_saveexec_b64 s[4:5], s[2:3]
	s_cbranch_execz .LBB12_161
; %bb.146:
	s_andn2_b64 vcc, exec, s[26:27]
	s_cbranch_vccnz .LBB12_148
; %bb.147:
	v_cmp_eq_u32_e32 vcc, 1, v0
	v_cndmask_b32_e32 v58, v15, v16, vcc
	v_cmp_eq_u32_e32 vcc, 2, v0
	v_cndmask_b32_e32 v58, v58, v17, vcc
	;; [unrolled: 2-line block ×8, first 2 shown]
	v_cmp_eq_u32_e32 vcc, 9, v0
	ds_read_b32 v59, v57
	v_cndmask_b32_e32 v58, v58, v24, vcc
	v_cmp_eq_u32_e32 vcc, 10, v0
	v_cndmask_b32_e32 v58, v58, v25, vcc
	v_cmp_eq_u32_e32 vcc, 11, v0
	;; [unrolled: 2-line block ×3, first 2 shown]
	v_cndmask_b32_e32 v58, v58, v27, vcc
	s_waitcnt lgkmcnt(0)
	v_mul_f32_e32 v58, v58, v59
	s_cbranch_execz .LBB12_149
	s_branch .LBB12_150
.LBB12_148:
                                        ; implicit-def: $vgpr58
.LBB12_149:
	ds_read_b32 v58, v57
.LBB12_150:
	s_and_saveexec_b64 s[6:7], s[0:1]
	s_cbranch_execz .LBB12_160
; %bb.151:
	v_add_u32_e32 v59, -3, v0
	v_add_u32_e32 v60, -2, v0
	v_cmp_lt_u32_e32 vcc, 6, v59
	v_mov_b32_e32 v59, 2
	s_and_saveexec_b64 s[0:1], vcc
	s_cbranch_execz .LBB12_155
; %bb.152:
	v_and_b32_e32 v59, -8, v60
	v_sub_u32_e32 v61, 0, v59
	s_mov_b64 s[8:9], 9
	s_movk_i32 s12, 0x48
	s_mov_b64 s[10:11], 0
.LBB12_153:                             ; =>This Inner Loop Header: Depth=1
	s_add_i32 s13, s8, -7
	v_mov_b32_e32 v59, s12
	s_add_i32 s14, s8, -6
	s_set_gpr_idx_on s13, gpr_idx(SRC0)
	v_mov_b32_e32 v70, v15
	s_set_gpr_idx_off
	ds_read2_b64 v[62:65], v59 offset1:1
	s_add_i32 s15, s8, -5
	s_set_gpr_idx_on s14, gpr_idx(SRC0)
	v_mov_b32_e32 v71, v15
	s_set_gpr_idx_off
	s_add_i32 s16, s8, -4
	s_set_gpr_idx_on s15, gpr_idx(SRC0)
	v_mov_b32_e32 v72, v15
	s_set_gpr_idx_off
	;; [unrolled: 4-line block ×4, first 2 shown]
	ds_read2_b64 v[66:69], v59 offset0:2 offset1:3
	s_add_i32 s19, s8, -1
	s_waitcnt lgkmcnt(1)
	v_fmac_f32_e32 v58, v70, v62
	s_set_gpr_idx_on s18, gpr_idx(SRC0)
	v_mov_b32_e32 v62, v15
	s_set_gpr_idx_off
	v_fmac_f32_e32 v58, v71, v63
	s_set_gpr_idx_on s19, gpr_idx(SRC0)
	v_mov_b32_e32 v63, v15
	s_set_gpr_idx_off
	;; [unrolled: 4-line block ×3, first 2 shown]
	v_fmac_f32_e32 v58, v73, v65
	s_add_u32 s8, s8, 8
	s_waitcnt lgkmcnt(0)
	v_fmac_f32_e32 v58, v74, v66
	v_add_u32_e32 v59, s8, v61
	v_fmac_f32_e32 v58, v62, v67
	s_addc_u32 s9, s9, 0
	s_add_i32 s12, s12, 32
	s_add_i32 s13, s8, -7
	v_cmp_eq_u32_e32 vcc, 9, v59
	v_fmac_f32_e32 v58, v63, v68
	v_mov_b32_e32 v59, s13
	s_or_b64 s[10:11], vcc, s[10:11]
	v_fmac_f32_e32 v58, v64, v69
	s_andn2_b64 exec, exec, s[10:11]
	s_cbranch_execnz .LBB12_153
; %bb.154:
	s_or_b64 exec, exec, s[10:11]
.LBB12_155:
	s_or_b64 exec, exec, s[0:1]
	v_and_b32_e32 v28, 7, v60
	v_cmp_ne_u32_e32 vcc, 0, v28
	s_and_saveexec_b64 s[8:9], vcc
	s_cbranch_execz .LBB12_159
; %bb.156:
	v_lshl_add_u32 v29, v59, 2, 64
	v_mov_b32_e32 v30, 0
	s_mov_b64 s[10:11], 0
.LBB12_157:                             ; =>This Inner Loop Header: Depth=1
	v_cmp_eq_u32_e32 vcc, 1, v59
	v_cndmask_b32_e32 v60, v15, v16, vcc
	v_add_u32_e32 v28, -1, v28
	v_cmp_eq_u32_e32 vcc, 2, v59
	v_cndmask_b32_e32 v60, v60, v17, vcc
	v_cmp_eq_u32_e32 vcc, 0, v28
	v_cmp_eq_u32_e64 s[0:1], 3, v59
	v_cndmask_b32_e64 v60, v60, v18, s[0:1]
	s_or_b64 s[10:11], vcc, s[10:11]
	v_cmp_eq_u32_e32 vcc, 4, v59
	v_cndmask_b32_e32 v60, v60, v19, vcc
	v_cmp_eq_u32_e32 vcc, 5, v59
	v_cndmask_b32_e32 v60, v60, v20, vcc
	v_cmp_eq_u32_e32 vcc, 6, v59
	v_cndmask_b32_e32 v60, v60, v21, vcc
	v_cmp_eq_u32_e32 vcc, 7, v59
	v_cndmask_b32_e32 v60, v60, v22, vcc
	v_cmp_eq_u32_e32 vcc, 8, v59
	ds_read_b32 v61, v29
	v_cndmask_b32_e32 v60, v60, v23, vcc
	v_cmp_eq_u32_e32 vcc, 9, v59
	v_cndmask_b32_e32 v60, v60, v24, vcc
	v_cmp_eq_u32_e32 vcc, 10, v59
	;; [unrolled: 2-line block ×4, first 2 shown]
	v_add_co_u32_e64 v59, s[0:1], 1, v59
	v_cndmask_b32_e32 v60, v60, v27, vcc
	v_add_u32_e32 v29, 4, v29
	v_addc_co_u32_e64 v30, s[0:1], 0, v30, s[0:1]
	s_waitcnt lgkmcnt(0)
	v_fmac_f32_e32 v58, v60, v61
	s_andn2_b64 exec, exec, s[10:11]
	s_cbranch_execnz .LBB12_157
; %bb.158:
	s_or_b64 exec, exec, s[10:11]
.LBB12_159:
	s_or_b64 exec, exec, s[8:9]
.LBB12_160:
	s_or_b64 exec, exec, s[6:7]
	v_mov_b32_e32 v16, 0
	ds_read_b32 v16, v16 offset:4
	s_waitcnt lgkmcnt(0)
	v_mul_f32_e32 v16, v58, v16
.LBB12_161:
	s_or_b64 exec, exec, s[4:5]
	v_cmp_ne_u32_e32 vcc, 0, v0
	ds_write_b32 v57, v15
	s_waitcnt lgkmcnt(0)
	; wave barrier
	s_and_saveexec_b64 s[4:5], vcc
	s_cbranch_execz .LBB12_177
; %bb.162:
	s_andn2_b64 vcc, exec, s[26:27]
	s_cbranch_vccnz .LBB12_164
; %bb.163:
	v_cmp_eq_u32_e32 vcc, 1, v0
	v_cndmask_b32_e32 v58, v15, v16, vcc
	v_cmp_eq_u32_e32 vcc, 2, v0
	v_cndmask_b32_e32 v58, v58, v17, vcc
	;; [unrolled: 2-line block ×8, first 2 shown]
	v_cmp_eq_u32_e32 vcc, 9, v0
	ds_read_b32 v59, v57
	v_cndmask_b32_e32 v58, v58, v24, vcc
	v_cmp_eq_u32_e32 vcc, 10, v0
	v_cndmask_b32_e32 v58, v58, v25, vcc
	v_cmp_eq_u32_e32 vcc, 11, v0
	;; [unrolled: 2-line block ×3, first 2 shown]
	v_cndmask_b32_e32 v58, v58, v27, vcc
	s_waitcnt lgkmcnt(0)
	v_mul_f32_e32 v58, v58, v59
	s_cbranch_execz .LBB12_165
	s_branch .LBB12_166
.LBB12_164:
                                        ; implicit-def: $vgpr58
.LBB12_165:
	ds_read_b32 v58, v57
.LBB12_166:
	s_and_saveexec_b64 s[6:7], s[2:3]
	s_cbranch_execz .LBB12_176
; %bb.167:
	v_add_u32_e32 v59, -2, v0
	v_add_u32_e32 v60, -1, v0
	v_cmp_lt_u32_e32 vcc, 6, v59
	v_mov_b32_e32 v59, 1
	s_and_saveexec_b64 s[0:1], vcc
	s_cbranch_execz .LBB12_171
; %bb.168:
	v_and_b32_e32 v59, -8, v60
	v_sub_u32_e32 v61, 0, v59
	s_mov_b64 s[2:3], 8
	s_movk_i32 s10, 0x44
	s_mov_b64 s[8:9], 0
.LBB12_169:                             ; =>This Inner Loop Header: Depth=1
	s_add_i32 s11, s2, -7
	v_mov_b32_e32 v59, s10
	s_add_i32 s12, s2, -6
	s_set_gpr_idx_on s11, gpr_idx(SRC0)
	v_mov_b32_e32 v68, v15
	s_set_gpr_idx_off
	ds_read2_b32 v[62:63], v59 offset1:1
	s_add_i32 s13, s2, -5
	s_set_gpr_idx_on s12, gpr_idx(SRC0)
	v_mov_b32_e32 v69, v15
	s_set_gpr_idx_off
	s_add_i32 s14, s2, -4
	s_set_gpr_idx_on s13, gpr_idx(SRC0)
	v_mov_b32_e32 v70, v15
	s_set_gpr_idx_off
	ds_read2_b32 v[64:65], v59 offset0:2 offset1:3
	s_add_i32 s15, s2, -3
	s_set_gpr_idx_on s14, gpr_idx(SRC0)
	v_mov_b32_e32 v71, v15
	s_set_gpr_idx_off
	s_add_i32 s16, s2, -2
	s_set_gpr_idx_on s15, gpr_idx(SRC0)
	v_mov_b32_e32 v72, v15
	s_set_gpr_idx_off
	ds_read2_b32 v[66:67], v59 offset0:4 offset1:5
	s_add_i32 s17, s2, -1
	s_waitcnt lgkmcnt(2)
	v_fmac_f32_e32 v58, v68, v62
	s_set_gpr_idx_on s16, gpr_idx(SRC0)
	v_mov_b32_e32 v68, v15
	s_set_gpr_idx_off
	v_fmac_f32_e32 v58, v69, v63
	s_set_gpr_idx_on s17, gpr_idx(SRC0)
	v_mov_b32_e32 v69, v15
	s_set_gpr_idx_off
	ds_read2_b32 v[62:63], v59 offset0:6 offset1:7
	s_waitcnt lgkmcnt(2)
	v_fmac_f32_e32 v58, v70, v64
	s_set_gpr_idx_on s2, gpr_idx(SRC0)
	v_mov_b32_e32 v64, v15
	s_set_gpr_idx_off
	v_fmac_f32_e32 v58, v71, v65
	s_add_u32 s2, s2, 8
	s_waitcnt lgkmcnt(1)
	v_fmac_f32_e32 v58, v72, v66
	v_add_u32_e32 v59, s2, v61
	v_fmac_f32_e32 v58, v68, v67
	s_addc_u32 s3, s3, 0
	s_add_i32 s10, s10, 32
	s_add_i32 s11, s2, -7
	v_cmp_eq_u32_e32 vcc, 8, v59
	s_waitcnt lgkmcnt(0)
	v_fmac_f32_e32 v58, v69, v62
	v_mov_b32_e32 v59, s11
	s_or_b64 s[8:9], vcc, s[8:9]
	v_fmac_f32_e32 v58, v64, v63
	s_andn2_b64 exec, exec, s[8:9]
	s_cbranch_execnz .LBB12_169
; %bb.170:
	s_or_b64 exec, exec, s[8:9]
.LBB12_171:
	s_or_b64 exec, exec, s[0:1]
	v_and_b32_e32 v28, 7, v60
	v_cmp_ne_u32_e32 vcc, 0, v28
	s_and_saveexec_b64 s[2:3], vcc
	s_cbranch_execz .LBB12_175
; %bb.172:
	v_lshl_add_u32 v29, v59, 2, 64
	v_mov_b32_e32 v30, 0
	s_mov_b64 s[8:9], 0
.LBB12_173:                             ; =>This Inner Loop Header: Depth=1
	v_cmp_eq_u32_e32 vcc, 1, v59
	v_cndmask_b32_e32 v60, v15, v16, vcc
	v_add_u32_e32 v28, -1, v28
	v_cmp_eq_u32_e32 vcc, 2, v59
	v_cndmask_b32_e32 v60, v60, v17, vcc
	v_cmp_eq_u32_e32 vcc, 0, v28
	v_cmp_eq_u32_e64 s[0:1], 3, v59
	v_cndmask_b32_e64 v60, v60, v18, s[0:1]
	s_or_b64 s[8:9], vcc, s[8:9]
	v_cmp_eq_u32_e32 vcc, 4, v59
	v_cndmask_b32_e32 v60, v60, v19, vcc
	v_cmp_eq_u32_e32 vcc, 5, v59
	v_cndmask_b32_e32 v60, v60, v20, vcc
	;; [unrolled: 2-line block ×4, first 2 shown]
	v_cmp_eq_u32_e32 vcc, 8, v59
	ds_read_b32 v61, v29
	v_cndmask_b32_e32 v60, v60, v23, vcc
	v_cmp_eq_u32_e32 vcc, 9, v59
	v_cndmask_b32_e32 v60, v60, v24, vcc
	v_cmp_eq_u32_e32 vcc, 10, v59
	;; [unrolled: 2-line block ×4, first 2 shown]
	v_add_co_u32_e64 v59, s[0:1], 1, v59
	v_cndmask_b32_e32 v60, v60, v27, vcc
	v_add_u32_e32 v29, 4, v29
	v_addc_co_u32_e64 v30, s[0:1], 0, v30, s[0:1]
	s_waitcnt lgkmcnt(0)
	v_fmac_f32_e32 v58, v60, v61
	s_andn2_b64 exec, exec, s[8:9]
	s_cbranch_execnz .LBB12_173
; %bb.174:
	s_or_b64 exec, exec, s[8:9]
.LBB12_175:
	s_or_b64 exec, exec, s[2:3]
.LBB12_176:
	s_or_b64 exec, exec, s[6:7]
	v_mov_b32_e32 v15, 0
	ds_read_b32 v15, v15
	s_waitcnt lgkmcnt(0)
	v_mul_f32_e32 v15, v58, v15
.LBB12_177:
	s_or_b64 exec, exec, s[4:5]
	s_branch .LBB12_301
.LBB12_178:
	v_cmp_eq_u32_e64 s[2:3], 0, v0
	s_waitcnt vmcnt(12)
	ds_write_b32 v57, v3
	s_waitcnt lgkmcnt(0)
	; wave barrier
	s_and_saveexec_b64 s[0:1], s[2:3]
	s_cbranch_execz .LBB12_184
; %bb.179:
	s_and_b64 vcc, exec, s[26:27]
	s_cbranch_vccz .LBB12_181
; %bb.180:
	v_cmp_eq_u32_e32 vcc, 1, v0
	s_waitcnt vmcnt(4)
	v_cndmask_b32_e32 v3, v2, v3, vcc
	v_cmp_eq_u32_e32 vcc, 2, v0
	v_cndmask_b32_e32 v3, v3, v4, vcc
	v_cmp_eq_u32_e32 vcc, 3, v0
	;; [unrolled: 2-line block ×8, first 2 shown]
	ds_read_b32 v15, v57
	s_waitcnt vmcnt(3)
	v_cndmask_b32_e32 v3, v3, v11, vcc
	v_cmp_eq_u32_e32 vcc, 10, v0
	s_waitcnt vmcnt(2)
	v_cndmask_b32_e32 v3, v3, v12, vcc
	v_cmp_eq_u32_e32 vcc, 11, v0
	;; [unrolled: 3-line block ×3, first 2 shown]
	s_waitcnt vmcnt(0)
	v_cndmask_b32_e32 v3, v3, v14, vcc
	s_waitcnt lgkmcnt(0)
	v_mul_f32_e32 v3, v3, v15
	s_cbranch_execz .LBB12_182
	s_branch .LBB12_183
.LBB12_181:
                                        ; implicit-def: $vgpr3
.LBB12_182:
	ds_read_b32 v3, v57
.LBB12_183:
	v_mov_b32_e32 v15, 0
	ds_read_b32 v15, v15 offset:4
	s_waitcnt lgkmcnt(0)
	v_mul_f32_e32 v3, v3, v15
.LBB12_184:
	s_or_b64 exec, exec, s[0:1]
	v_cndmask_b32_e64 v15, 0, 1, s[26:27]
	v_cmp_gt_u32_e32 vcc, 2, v0
	v_cmp_ne_u32_e64 s[0:1], 1, v15
	s_waitcnt vmcnt(11)
	ds_write_b32 v57, v4
	s_waitcnt lgkmcnt(0)
	; wave barrier
	s_and_saveexec_b64 s[4:5], vcc
	s_cbranch_execz .LBB12_190
; %bb.185:
	s_and_b64 vcc, exec, s[0:1]
	s_cbranch_vccnz .LBB12_187
; %bb.186:
	v_cmp_eq_u32_e32 vcc, 1, v0
	s_waitcnt vmcnt(4)
	v_cndmask_b32_e32 v15, v2, v3, vcc
	v_cmp_eq_u32_e32 vcc, 2, v0
	v_cndmask_b32_e32 v4, v15, v4, vcc
	v_cmp_eq_u32_e32 vcc, 3, v0
	;; [unrolled: 2-line block ×8, first 2 shown]
	ds_read_b32 v15, v57
	s_waitcnt vmcnt(3)
	v_cndmask_b32_e32 v4, v4, v11, vcc
	v_cmp_eq_u32_e32 vcc, 10, v0
	s_waitcnt vmcnt(2)
	v_cndmask_b32_e32 v4, v4, v12, vcc
	v_cmp_eq_u32_e32 vcc, 11, v0
	;; [unrolled: 3-line block ×3, first 2 shown]
	s_waitcnt vmcnt(0)
	v_cndmask_b32_e32 v4, v4, v14, vcc
	s_waitcnt lgkmcnt(0)
	v_mul_f32_e32 v4, v4, v15
	s_cbranch_execz .LBB12_188
	s_branch .LBB12_189
.LBB12_187:
                                        ; implicit-def: $vgpr4
.LBB12_188:
	ds_read_b32 v4, v57
.LBB12_189:
	v_mov_b32_e32 v15, 0
	ds_read2_b32 v[15:16], v15 offset0:2 offset1:17
	s_waitcnt lgkmcnt(0)
	v_fma_f32 v16, v3, v16, v4
	v_cndmask_b32_e64 v4, v4, v16, s[2:3]
	v_mul_f32_e32 v4, v4, v15
.LBB12_190:
	s_or_b64 exec, exec, s[4:5]
	v_add_u32_e32 v17, 1, v0
	v_cmp_gt_u32_e64 s[4:5], 3, v0
	s_waitcnt vmcnt(10)
	ds_write_b32 v57, v5
	s_waitcnt lgkmcnt(0)
	; wave barrier
	s_and_saveexec_b64 s[6:7], s[4:5]
	s_cbranch_execz .LBB12_198
; %bb.191:
	s_and_b64 vcc, exec, s[0:1]
	s_cbranch_vccnz .LBB12_193
; %bb.192:
	v_cmp_eq_u32_e32 vcc, 1, v0
	s_waitcnt vmcnt(4)
	v_cndmask_b32_e32 v15, v2, v3, vcc
	v_cmp_eq_u32_e32 vcc, 2, v0
	v_cndmask_b32_e32 v15, v15, v4, vcc
	v_cmp_eq_u32_e32 vcc, 3, v0
	;; [unrolled: 2-line block ×8, first 2 shown]
	ds_read_b32 v16, v57
	s_waitcnt vmcnt(3)
	v_cndmask_b32_e32 v15, v15, v11, vcc
	v_cmp_eq_u32_e32 vcc, 10, v0
	s_waitcnt vmcnt(2)
	v_cndmask_b32_e32 v15, v15, v12, vcc
	v_cmp_eq_u32_e32 vcc, 11, v0
	s_waitcnt vmcnt(1)
	v_cndmask_b32_e32 v15, v15, v13, vcc
	v_cmp_eq_u32_e32 vcc, 12, v0
	s_waitcnt vmcnt(0)
	v_cndmask_b32_e32 v15, v15, v14, vcc
	s_waitcnt lgkmcnt(0)
	v_mul_f32_e32 v15, v15, v16
	s_cbranch_execz .LBB12_194
	s_branch .LBB12_195
.LBB12_193:
                                        ; implicit-def: $vgpr15
.LBB12_194:
	ds_read_b32 v15, v57
.LBB12_195:
	v_cmp_ne_u32_e32 vcc, 2, v0
	s_and_saveexec_b64 s[8:9], vcc
	s_cbranch_execz .LBB12_197
; %bb.196:
	v_cmp_eq_u32_e32 vcc, 1, v17
	s_waitcnt vmcnt(4)
	v_cndmask_b32_e32 v16, v2, v3, vcc
	v_cmp_eq_u32_e32 vcc, 2, v17
	v_cndmask_b32_e32 v16, v16, v4, vcc
	v_cmp_eq_u32_e32 vcc, 3, v17
	;; [unrolled: 2-line block ×8, first 2 shown]
	v_mov_b32_e32 v16, 0
	s_waitcnt vmcnt(3)
	v_cndmask_b32_e32 v5, v5, v11, vcc
	v_cmp_eq_u32_e32 vcc, 10, v17
	ds_read_b32 v18, v57 offset:4
	ds_read_b32 v16, v16 offset:72
	s_waitcnt vmcnt(2)
	v_cndmask_b32_e32 v5, v5, v12, vcc
	v_cmp_eq_u32_e32 vcc, 11, v17
	s_waitcnt vmcnt(1)
	v_cndmask_b32_e32 v5, v5, v13, vcc
	v_cmp_eq_u32_e32 vcc, 12, v17
	s_waitcnt vmcnt(0)
	v_cndmask_b32_e32 v5, v5, v14, vcc
	s_waitcnt lgkmcnt(1)
	v_fmac_f32_e32 v15, v5, v18
	s_waitcnt lgkmcnt(0)
	v_fma_f32 v5, v4, v16, v15
	v_cndmask_b32_e64 v15, v15, v5, s[2:3]
.LBB12_197:
	s_or_b64 exec, exec, s[8:9]
	v_mov_b32_e32 v5, 0
	ds_read_b32 v5, v5 offset:12
	s_waitcnt lgkmcnt(0)
	v_mul_f32_e32 v5, v15, v5
.LBB12_198:
	s_or_b64 exec, exec, s[6:7]
	v_cmp_gt_u32_e32 vcc, 4, v0
	s_waitcnt vmcnt(9)
	ds_write_b32 v57, v6
	s_waitcnt lgkmcnt(0)
	; wave barrier
	s_and_saveexec_b64 s[8:9], vcc
	s_cbranch_execz .LBB12_208
; %bb.199:
	s_and_b64 vcc, exec, s[0:1]
	s_cbranch_vccnz .LBB12_201
; %bb.200:
	v_cmp_eq_u32_e32 vcc, 1, v0
	s_waitcnt vmcnt(4)
	v_cndmask_b32_e32 v15, v2, v3, vcc
	v_cmp_eq_u32_e32 vcc, 2, v0
	v_cndmask_b32_e32 v15, v15, v4, vcc
	v_cmp_eq_u32_e32 vcc, 3, v0
	v_cndmask_b32_e32 v15, v15, v5, vcc
	v_cmp_eq_u32_e32 vcc, 4, v0
	v_cndmask_b32_e32 v15, v15, v6, vcc
	v_cmp_eq_u32_e32 vcc, 5, v0
	v_cndmask_b32_e32 v15, v15, v7, vcc
	v_cmp_eq_u32_e32 vcc, 6, v0
	v_cndmask_b32_e32 v15, v15, v8, vcc
	v_cmp_eq_u32_e32 vcc, 7, v0
	v_cndmask_b32_e32 v15, v15, v9, vcc
	v_cmp_eq_u32_e32 vcc, 8, v0
	v_cndmask_b32_e32 v15, v15, v10, vcc
	v_cmp_eq_u32_e32 vcc, 9, v0
	ds_read_b32 v16, v57
	s_waitcnt vmcnt(3)
	v_cndmask_b32_e32 v15, v15, v11, vcc
	v_cmp_eq_u32_e32 vcc, 10, v0
	s_waitcnt vmcnt(2)
	v_cndmask_b32_e32 v15, v15, v12, vcc
	v_cmp_eq_u32_e32 vcc, 11, v0
	;; [unrolled: 3-line block ×3, first 2 shown]
	s_waitcnt vmcnt(0)
	v_cndmask_b32_e32 v15, v15, v14, vcc
	s_waitcnt lgkmcnt(0)
	v_mul_f32_e32 v18, v15, v16
	s_cbranch_execz .LBB12_202
	s_branch .LBB12_203
.LBB12_201:
                                        ; implicit-def: $vgpr18
.LBB12_202:
	ds_read_b32 v18, v57
.LBB12_203:
	v_cmp_ne_u32_e32 vcc, 3, v0
	s_and_saveexec_b64 s[10:11], vcc
	s_cbranch_execz .LBB12_207
; %bb.204:
	v_mov_b32_e32 v15, 0x44
	v_lshl_add_u32 v19, v0, 2, v15
	v_mov_b32_e32 v16, v1
	s_mov_b64 s[12:13], 0
	v_mov_b32_e32 v15, v0
.LBB12_205:                             ; =>This Inner Loop Header: Depth=1
	v_add_co_u32_e32 v15, vcc, 1, v15
	v_addc_co_u32_e32 v16, vcc, 0, v16, vcc
	v_cmp_eq_u32_e32 vcc, 1, v15
	s_waitcnt vmcnt(4)
	v_cndmask_b32_e32 v21, v2, v3, vcc
	v_cmp_lt_u32_e32 vcc, 2, v15
	v_cmp_eq_u32_e64 s[6:7], 2, v15
	v_cndmask_b32_e64 v21, v21, v4, s[6:7]
	s_or_b64 s[12:13], vcc, s[12:13]
	v_cmp_eq_u32_e32 vcc, 3, v15
	v_cndmask_b32_e32 v21, v21, v5, vcc
	v_cmp_eq_u32_e32 vcc, 4, v15
	v_cndmask_b32_e32 v21, v21, v6, vcc
	;; [unrolled: 2-line block ×5, first 2 shown]
	v_cmp_eq_u32_e32 vcc, 8, v15
	ds_read_b32 v20, v19
	v_cndmask_b32_e32 v21, v21, v10, vcc
	v_cmp_eq_u32_e32 vcc, 9, v15
	s_waitcnt vmcnt(3)
	v_cndmask_b32_e32 v21, v21, v11, vcc
	v_cmp_eq_u32_e32 vcc, 10, v15
	s_waitcnt vmcnt(2)
	;; [unrolled: 3-line block ×4, first 2 shown]
	v_cndmask_b32_e32 v21, v21, v14, vcc
	v_add_u32_e32 v19, 4, v19
	s_waitcnt lgkmcnt(0)
	v_fmac_f32_e32 v18, v21, v20
	s_andn2_b64 exec, exec, s[12:13]
	s_cbranch_execnz .LBB12_205
; %bb.206:
	s_or_b64 exec, exec, s[12:13]
.LBB12_207:
	s_or_b64 exec, exec, s[10:11]
	v_mov_b32_e32 v6, 0
	ds_read_b32 v6, v6 offset:16
	s_waitcnt lgkmcnt(0)
	v_mul_f32_e32 v6, v18, v6
.LBB12_208:
	s_or_b64 exec, exec, s[8:9]
	v_cmp_gt_u32_e64 s[6:7], 5, v0
	s_waitcnt vmcnt(8)
	ds_write_b32 v57, v7
	s_waitcnt lgkmcnt(0)
	; wave barrier
	s_and_saveexec_b64 s[10:11], s[6:7]
	s_cbranch_execz .LBB12_218
; %bb.209:
	s_and_b64 vcc, exec, s[0:1]
	s_cbranch_vccnz .LBB12_211
; %bb.210:
	v_cmp_eq_u32_e32 vcc, 1, v0
	s_waitcnt vmcnt(4)
	v_cndmask_b32_e32 v15, v2, v3, vcc
	v_cmp_eq_u32_e32 vcc, 2, v0
	v_cndmask_b32_e32 v15, v15, v4, vcc
	v_cmp_eq_u32_e32 vcc, 3, v0
	;; [unrolled: 2-line block ×8, first 2 shown]
	ds_read_b32 v16, v57
	s_waitcnt vmcnt(3)
	v_cndmask_b32_e32 v15, v15, v11, vcc
	v_cmp_eq_u32_e32 vcc, 10, v0
	s_waitcnt vmcnt(2)
	v_cndmask_b32_e32 v15, v15, v12, vcc
	v_cmp_eq_u32_e32 vcc, 11, v0
	;; [unrolled: 3-line block ×3, first 2 shown]
	s_waitcnt vmcnt(0)
	v_cndmask_b32_e32 v15, v15, v14, vcc
	s_waitcnt lgkmcnt(0)
	v_mul_f32_e32 v18, v15, v16
	s_cbranch_execz .LBB12_212
	s_branch .LBB12_213
.LBB12_211:
                                        ; implicit-def: $vgpr18
.LBB12_212:
	ds_read_b32 v18, v57
.LBB12_213:
	v_cmp_ne_u32_e32 vcc, 4, v0
	s_and_saveexec_b64 s[12:13], vcc
	s_cbranch_execz .LBB12_217
; %bb.214:
	v_mov_b32_e32 v15, 0x44
	v_lshl_add_u32 v19, v0, 2, v15
	v_mov_b32_e32 v16, v1
	s_mov_b64 s[14:15], 0
	v_mov_b32_e32 v15, v0
.LBB12_215:                             ; =>This Inner Loop Header: Depth=1
	v_add_co_u32_e32 v15, vcc, 1, v15
	v_addc_co_u32_e32 v16, vcc, 0, v16, vcc
	v_cmp_eq_u32_e32 vcc, 1, v15
	s_waitcnt vmcnt(4)
	v_cndmask_b32_e32 v21, v2, v3, vcc
	v_cmp_lt_u32_e32 vcc, 3, v15
	v_cmp_eq_u32_e64 s[8:9], 2, v15
	v_cndmask_b32_e64 v21, v21, v4, s[8:9]
	s_or_b64 s[14:15], vcc, s[14:15]
	v_cmp_eq_u32_e32 vcc, 3, v15
	v_cndmask_b32_e32 v21, v21, v5, vcc
	v_cmp_eq_u32_e32 vcc, 4, v15
	v_cndmask_b32_e32 v21, v21, v6, vcc
	;; [unrolled: 2-line block ×5, first 2 shown]
	v_cmp_eq_u32_e32 vcc, 8, v15
	ds_read_b32 v20, v19
	v_cndmask_b32_e32 v21, v21, v10, vcc
	v_cmp_eq_u32_e32 vcc, 9, v15
	s_waitcnt vmcnt(3)
	v_cndmask_b32_e32 v21, v21, v11, vcc
	v_cmp_eq_u32_e32 vcc, 10, v15
	s_waitcnt vmcnt(2)
	;; [unrolled: 3-line block ×4, first 2 shown]
	v_cndmask_b32_e32 v21, v21, v14, vcc
	v_add_u32_e32 v19, 4, v19
	s_waitcnt lgkmcnt(0)
	v_fmac_f32_e32 v18, v21, v20
	s_andn2_b64 exec, exec, s[14:15]
	s_cbranch_execnz .LBB12_215
; %bb.216:
	s_or_b64 exec, exec, s[14:15]
.LBB12_217:
	s_or_b64 exec, exec, s[12:13]
	v_mov_b32_e32 v7, 0
	ds_read_b32 v7, v7 offset:20
	s_waitcnt lgkmcnt(0)
	v_mul_f32_e32 v7, v18, v7
.LBB12_218:
	s_or_b64 exec, exec, s[10:11]
	v_cmp_gt_u32_e32 vcc, 6, v0
	s_waitcnt vmcnt(7)
	ds_write_b32 v57, v8
	s_waitcnt lgkmcnt(0)
	; wave barrier
	s_and_saveexec_b64 s[10:11], vcc
	s_cbranch_execz .LBB12_228
; %bb.219:
	s_and_b64 vcc, exec, s[0:1]
	s_cbranch_vccnz .LBB12_221
; %bb.220:
	v_cmp_eq_u32_e32 vcc, 1, v0
	s_waitcnt vmcnt(4)
	v_cndmask_b32_e32 v15, v2, v3, vcc
	v_cmp_eq_u32_e32 vcc, 2, v0
	v_cndmask_b32_e32 v15, v15, v4, vcc
	v_cmp_eq_u32_e32 vcc, 3, v0
	;; [unrolled: 2-line block ×8, first 2 shown]
	ds_read_b32 v16, v57
	s_waitcnt vmcnt(3)
	v_cndmask_b32_e32 v15, v15, v11, vcc
	v_cmp_eq_u32_e32 vcc, 10, v0
	s_waitcnt vmcnt(2)
	v_cndmask_b32_e32 v15, v15, v12, vcc
	v_cmp_eq_u32_e32 vcc, 11, v0
	;; [unrolled: 3-line block ×3, first 2 shown]
	s_waitcnt vmcnt(0)
	v_cndmask_b32_e32 v15, v15, v14, vcc
	s_waitcnt lgkmcnt(0)
	v_mul_f32_e32 v18, v15, v16
	s_cbranch_execz .LBB12_222
	s_branch .LBB12_223
.LBB12_221:
                                        ; implicit-def: $vgpr18
.LBB12_222:
	ds_read_b32 v18, v57
.LBB12_223:
	v_cmp_ne_u32_e32 vcc, 5, v0
	s_and_saveexec_b64 s[12:13], vcc
	s_cbranch_execz .LBB12_227
; %bb.224:
	v_mov_b32_e32 v15, 0x44
	v_lshl_add_u32 v19, v0, 2, v15
	v_mov_b32_e32 v16, v1
	s_mov_b64 s[14:15], 0
	v_mov_b32_e32 v15, v0
.LBB12_225:                             ; =>This Inner Loop Header: Depth=1
	v_add_co_u32_e32 v15, vcc, 1, v15
	v_addc_co_u32_e32 v16, vcc, 0, v16, vcc
	v_cmp_eq_u32_e32 vcc, 1, v15
	s_waitcnt vmcnt(4)
	v_cndmask_b32_e32 v21, v2, v3, vcc
	v_cmp_lt_u32_e32 vcc, 4, v15
	v_cmp_eq_u32_e64 s[8:9], 2, v15
	v_cndmask_b32_e64 v21, v21, v4, s[8:9]
	s_or_b64 s[14:15], vcc, s[14:15]
	v_cmp_eq_u32_e32 vcc, 3, v15
	v_cndmask_b32_e32 v21, v21, v5, vcc
	v_cmp_eq_u32_e32 vcc, 4, v15
	v_cndmask_b32_e32 v21, v21, v6, vcc
	;; [unrolled: 2-line block ×5, first 2 shown]
	v_cmp_eq_u32_e32 vcc, 8, v15
	ds_read_b32 v20, v19
	v_cndmask_b32_e32 v21, v21, v10, vcc
	v_cmp_eq_u32_e32 vcc, 9, v15
	s_waitcnt vmcnt(3)
	v_cndmask_b32_e32 v21, v21, v11, vcc
	v_cmp_eq_u32_e32 vcc, 10, v15
	s_waitcnt vmcnt(2)
	;; [unrolled: 3-line block ×4, first 2 shown]
	v_cndmask_b32_e32 v21, v21, v14, vcc
	v_add_u32_e32 v19, 4, v19
	s_waitcnt lgkmcnt(0)
	v_fmac_f32_e32 v18, v21, v20
	s_andn2_b64 exec, exec, s[14:15]
	s_cbranch_execnz .LBB12_225
; %bb.226:
	s_or_b64 exec, exec, s[14:15]
.LBB12_227:
	s_or_b64 exec, exec, s[12:13]
	v_mov_b32_e32 v8, 0
	ds_read_b32 v8, v8 offset:24
	s_waitcnt lgkmcnt(0)
	v_mul_f32_e32 v8, v18, v8
.LBB12_228:
	s_or_b64 exec, exec, s[10:11]
	v_cmp_gt_u32_e64 s[8:9], 7, v0
	s_waitcnt vmcnt(6)
	ds_write_b32 v57, v9
	s_waitcnt lgkmcnt(0)
	; wave barrier
	s_and_saveexec_b64 s[12:13], s[8:9]
	s_cbranch_execz .LBB12_238
; %bb.229:
	s_and_b64 vcc, exec, s[0:1]
	s_cbranch_vccnz .LBB12_231
; %bb.230:
	v_cmp_eq_u32_e32 vcc, 1, v0
	s_waitcnt vmcnt(4)
	v_cndmask_b32_e32 v15, v2, v3, vcc
	v_cmp_eq_u32_e32 vcc, 2, v0
	v_cndmask_b32_e32 v15, v15, v4, vcc
	v_cmp_eq_u32_e32 vcc, 3, v0
	;; [unrolled: 2-line block ×8, first 2 shown]
	ds_read_b32 v16, v57
	s_waitcnt vmcnt(3)
	v_cndmask_b32_e32 v15, v15, v11, vcc
	v_cmp_eq_u32_e32 vcc, 10, v0
	s_waitcnt vmcnt(2)
	v_cndmask_b32_e32 v15, v15, v12, vcc
	v_cmp_eq_u32_e32 vcc, 11, v0
	;; [unrolled: 3-line block ×3, first 2 shown]
	s_waitcnt vmcnt(0)
	v_cndmask_b32_e32 v15, v15, v14, vcc
	s_waitcnt lgkmcnt(0)
	v_mul_f32_e32 v18, v15, v16
	s_cbranch_execz .LBB12_232
	s_branch .LBB12_233
.LBB12_231:
                                        ; implicit-def: $vgpr18
.LBB12_232:
	ds_read_b32 v18, v57
.LBB12_233:
	v_cmp_ne_u32_e32 vcc, 6, v0
	s_and_saveexec_b64 s[14:15], vcc
	s_cbranch_execz .LBB12_237
; %bb.234:
	v_mov_b32_e32 v15, 0x44
	v_lshl_add_u32 v19, v0, 2, v15
	v_mov_b32_e32 v16, v1
	s_mov_b64 s[16:17], 0
	v_mov_b32_e32 v15, v0
.LBB12_235:                             ; =>This Inner Loop Header: Depth=1
	v_add_co_u32_e32 v15, vcc, 1, v15
	v_addc_co_u32_e32 v16, vcc, 0, v16, vcc
	v_cmp_eq_u32_e32 vcc, 1, v15
	s_waitcnt vmcnt(4)
	v_cndmask_b32_e32 v21, v2, v3, vcc
	v_cmp_lt_u32_e32 vcc, 5, v15
	v_cmp_eq_u32_e64 s[10:11], 2, v15
	v_cndmask_b32_e64 v21, v21, v4, s[10:11]
	s_or_b64 s[16:17], vcc, s[16:17]
	v_cmp_eq_u32_e32 vcc, 3, v15
	v_cndmask_b32_e32 v21, v21, v5, vcc
	v_cmp_eq_u32_e32 vcc, 4, v15
	v_cndmask_b32_e32 v21, v21, v6, vcc
	;; [unrolled: 2-line block ×5, first 2 shown]
	v_cmp_eq_u32_e32 vcc, 8, v15
	ds_read_b32 v20, v19
	v_cndmask_b32_e32 v21, v21, v10, vcc
	v_cmp_eq_u32_e32 vcc, 9, v15
	s_waitcnt vmcnt(3)
	v_cndmask_b32_e32 v21, v21, v11, vcc
	v_cmp_eq_u32_e32 vcc, 10, v15
	s_waitcnt vmcnt(2)
	;; [unrolled: 3-line block ×4, first 2 shown]
	v_cndmask_b32_e32 v21, v21, v14, vcc
	v_add_u32_e32 v19, 4, v19
	s_waitcnt lgkmcnt(0)
	v_fmac_f32_e32 v18, v21, v20
	s_andn2_b64 exec, exec, s[16:17]
	s_cbranch_execnz .LBB12_235
; %bb.236:
	s_or_b64 exec, exec, s[16:17]
.LBB12_237:
	s_or_b64 exec, exec, s[14:15]
	v_mov_b32_e32 v9, 0
	ds_read_b32 v9, v9 offset:28
	s_waitcnt lgkmcnt(0)
	v_mul_f32_e32 v9, v18, v9
.LBB12_238:
	s_or_b64 exec, exec, s[12:13]
	v_cmp_gt_u32_e32 vcc, 8, v0
	s_waitcnt vmcnt(5)
	ds_write_b32 v57, v10
	s_waitcnt lgkmcnt(0)
	; wave barrier
	s_and_saveexec_b64 s[12:13], vcc
	s_cbranch_execz .LBB12_248
; %bb.239:
	s_and_b64 vcc, exec, s[0:1]
	s_cbranch_vccnz .LBB12_241
; %bb.240:
	v_cmp_eq_u32_e32 vcc, 1, v0
	s_waitcnt vmcnt(4)
	v_cndmask_b32_e32 v15, v2, v3, vcc
	v_cmp_eq_u32_e32 vcc, 2, v0
	v_cndmask_b32_e32 v15, v15, v4, vcc
	v_cmp_eq_u32_e32 vcc, 3, v0
	;; [unrolled: 2-line block ×8, first 2 shown]
	ds_read_b32 v16, v57
	s_waitcnt vmcnt(3)
	v_cndmask_b32_e32 v15, v15, v11, vcc
	v_cmp_eq_u32_e32 vcc, 10, v0
	s_waitcnt vmcnt(2)
	v_cndmask_b32_e32 v15, v15, v12, vcc
	v_cmp_eq_u32_e32 vcc, 11, v0
	;; [unrolled: 3-line block ×3, first 2 shown]
	s_waitcnt vmcnt(0)
	v_cndmask_b32_e32 v15, v15, v14, vcc
	s_waitcnt lgkmcnt(0)
	v_mul_f32_e32 v18, v15, v16
	s_cbranch_execz .LBB12_242
	s_branch .LBB12_243
.LBB12_241:
                                        ; implicit-def: $vgpr18
.LBB12_242:
	ds_read_b32 v18, v57
.LBB12_243:
	v_cmp_ne_u32_e32 vcc, 7, v0
	s_and_saveexec_b64 s[14:15], vcc
	s_cbranch_execz .LBB12_247
; %bb.244:
	v_mov_b32_e32 v15, 0x44
	v_lshl_add_u32 v19, v0, 2, v15
	v_mov_b32_e32 v16, v1
	s_mov_b64 s[16:17], 0
	v_mov_b32_e32 v15, v0
.LBB12_245:                             ; =>This Inner Loop Header: Depth=1
	v_add_co_u32_e32 v15, vcc, 1, v15
	v_addc_co_u32_e32 v16, vcc, 0, v16, vcc
	v_cmp_eq_u32_e32 vcc, 1, v15
	s_waitcnt vmcnt(4)
	v_cndmask_b32_e32 v21, v2, v3, vcc
	v_cmp_lt_u32_e32 vcc, 6, v15
	v_cmp_eq_u32_e64 s[10:11], 2, v15
	v_cndmask_b32_e64 v21, v21, v4, s[10:11]
	s_or_b64 s[16:17], vcc, s[16:17]
	v_cmp_eq_u32_e32 vcc, 3, v15
	v_cndmask_b32_e32 v21, v21, v5, vcc
	v_cmp_eq_u32_e32 vcc, 4, v15
	v_cndmask_b32_e32 v21, v21, v6, vcc
	v_cmp_eq_u32_e32 vcc, 5, v15
	v_cndmask_b32_e32 v21, v21, v7, vcc
	v_cmp_eq_u32_e32 vcc, 6, v15
	v_cndmask_b32_e32 v21, v21, v8, vcc
	v_cmp_eq_u32_e32 vcc, 7, v15
	v_cndmask_b32_e32 v21, v21, v9, vcc
	v_cmp_eq_u32_e32 vcc, 8, v15
	ds_read_b32 v20, v19
	v_cndmask_b32_e32 v21, v21, v10, vcc
	v_cmp_eq_u32_e32 vcc, 9, v15
	s_waitcnt vmcnt(3)
	v_cndmask_b32_e32 v21, v21, v11, vcc
	v_cmp_eq_u32_e32 vcc, 10, v15
	s_waitcnt vmcnt(2)
	;; [unrolled: 3-line block ×4, first 2 shown]
	v_cndmask_b32_e32 v21, v21, v14, vcc
	v_add_u32_e32 v19, 4, v19
	s_waitcnt lgkmcnt(0)
	v_fmac_f32_e32 v18, v21, v20
	s_andn2_b64 exec, exec, s[16:17]
	s_cbranch_execnz .LBB12_245
; %bb.246:
	s_or_b64 exec, exec, s[16:17]
.LBB12_247:
	s_or_b64 exec, exec, s[14:15]
	v_mov_b32_e32 v10, 0
	ds_read_b32 v10, v10 offset:32
	s_waitcnt lgkmcnt(0)
	v_mul_f32_e32 v10, v18, v10
.LBB12_248:
	s_or_b64 exec, exec, s[12:13]
	v_cmp_gt_u32_e32 vcc, 9, v0
	s_waitcnt vmcnt(3)
	ds_write_b32 v57, v11
	s_waitcnt lgkmcnt(0)
	; wave barrier
	s_and_saveexec_b64 s[10:11], vcc
	s_cbranch_execz .LBB12_270
; %bb.249:
	s_and_b64 vcc, exec, s[0:1]
	s_cbranch_vccnz .LBB12_251
; %bb.250:
	v_cmp_eq_u32_e32 vcc, 1, v0
	v_cndmask_b32_e32 v15, v2, v3, vcc
	v_cmp_eq_u32_e32 vcc, 2, v0
	v_cndmask_b32_e32 v15, v15, v4, vcc
	;; [unrolled: 2-line block ×8, first 2 shown]
	v_cmp_eq_u32_e32 vcc, 9, v0
	ds_read_b32 v16, v57
	v_cndmask_b32_e32 v15, v15, v11, vcc
	v_cmp_eq_u32_e32 vcc, 10, v0
	s_waitcnt vmcnt(2)
	v_cndmask_b32_e32 v15, v15, v12, vcc
	v_cmp_eq_u32_e32 vcc, 11, v0
	s_waitcnt vmcnt(1)
	;; [unrolled: 3-line block ×3, first 2 shown]
	v_cndmask_b32_e32 v15, v15, v14, vcc
	s_waitcnt lgkmcnt(0)
	v_mul_f32_e32 v15, v15, v16
	s_cbranch_execz .LBB12_252
	s_branch .LBB12_253
.LBB12_251:
                                        ; implicit-def: $vgpr15
.LBB12_252:
	ds_read_b32 v15, v57
.LBB12_253:
	v_cmp_ne_u32_e32 vcc, 8, v0
	s_and_saveexec_b64 s[12:13], vcc
	s_cbranch_execz .LBB12_269
; %bb.254:
	v_cmp_eq_u32_e32 vcc, 1, v17
	v_cndmask_b32_e32 v16, v2, v3, vcc
	v_cmp_eq_u32_e32 vcc, 2, v17
	v_cndmask_b32_e32 v16, v16, v4, vcc
	;; [unrolled: 2-line block ×8, first 2 shown]
	v_cmp_eq_u32_e32 vcc, 9, v17
	ds_read_b32 v18, v57 offset:4
	v_cndmask_b32_e32 v16, v16, v11, vcc
	v_cmp_eq_u32_e32 vcc, 10, v17
	s_waitcnt vmcnt(2)
	v_cndmask_b32_e32 v16, v16, v12, vcc
	v_cmp_eq_u32_e32 vcc, 11, v17
	s_waitcnt vmcnt(1)
	;; [unrolled: 3-line block ×3, first 2 shown]
	v_cndmask_b32_e32 v16, v16, v14, vcc
	s_waitcnt lgkmcnt(0)
	v_fmac_f32_e32 v15, v16, v18
	s_and_saveexec_b64 s[14:15], s[8:9]
	s_cbranch_execz .LBB12_268
; %bb.255:
	v_add_u32_e32 v16, 2, v0
	v_cmp_eq_u32_e32 vcc, 1, v16
	v_cndmask_b32_e32 v17, v2, v3, vcc
	v_cmp_eq_u32_e32 vcc, 2, v16
	v_cndmask_b32_e32 v17, v17, v4, vcc
	v_cmp_eq_u32_e32 vcc, 3, v16
	v_cndmask_b32_e32 v17, v17, v5, vcc
	v_cmp_eq_u32_e32 vcc, 4, v16
	v_cndmask_b32_e32 v17, v17, v6, vcc
	v_cmp_eq_u32_e32 vcc, 5, v16
	v_cndmask_b32_e32 v17, v17, v7, vcc
	v_cmp_eq_u32_e32 vcc, 6, v16
	v_cndmask_b32_e32 v17, v17, v8, vcc
	v_cmp_eq_u32_e32 vcc, 7, v16
	v_cndmask_b32_e32 v17, v17, v9, vcc
	v_cmp_eq_u32_e32 vcc, 8, v16
	v_cndmask_b32_e32 v17, v17, v10, vcc
	v_cmp_eq_u32_e32 vcc, 9, v16
	ds_read_b32 v18, v57 offset:8
	v_cndmask_b32_e32 v17, v17, v11, vcc
	v_cmp_eq_u32_e32 vcc, 10, v16
	v_cndmask_b32_e32 v17, v17, v12, vcc
	v_cmp_eq_u32_e32 vcc, 11, v16
	;; [unrolled: 2-line block ×3, first 2 shown]
	v_cndmask_b32_e32 v16, v17, v14, vcc
	s_waitcnt lgkmcnt(0)
	v_fmac_f32_e32 v15, v16, v18
	v_cmp_ne_u32_e32 vcc, 6, v0
	s_and_saveexec_b64 s[8:9], vcc
	s_cbranch_execz .LBB12_267
; %bb.256:
	v_add_u32_e32 v16, 3, v0
	v_cmp_eq_u32_e32 vcc, 1, v16
	v_cndmask_b32_e32 v17, v2, v3, vcc
	v_cmp_eq_u32_e32 vcc, 2, v16
	v_cndmask_b32_e32 v17, v17, v4, vcc
	;; [unrolled: 2-line block ×8, first 2 shown]
	v_cmp_eq_u32_e32 vcc, 9, v16
	ds_read_b32 v18, v57 offset:12
	v_cndmask_b32_e32 v17, v17, v11, vcc
	v_cmp_eq_u32_e32 vcc, 10, v16
	v_cndmask_b32_e32 v17, v17, v12, vcc
	v_cmp_eq_u32_e32 vcc, 11, v16
	v_cndmask_b32_e32 v17, v17, v13, vcc
	v_cmp_eq_u32_e32 vcc, 12, v16
	v_cndmask_b32_e32 v16, v17, v14, vcc
	s_waitcnt lgkmcnt(0)
	v_fmac_f32_e32 v15, v16, v18
	s_and_saveexec_b64 s[16:17], s[6:7]
	s_cbranch_execz .LBB12_266
; %bb.257:
	v_add_u32_e32 v16, 4, v0
	v_cmp_eq_u32_e32 vcc, 1, v16
	v_cndmask_b32_e32 v17, v2, v3, vcc
	v_cmp_eq_u32_e32 vcc, 2, v16
	v_cndmask_b32_e32 v17, v17, v4, vcc
	;; [unrolled: 2-line block ×8, first 2 shown]
	v_cmp_eq_u32_e32 vcc, 9, v16
	ds_read_b32 v18, v57 offset:16
	v_cndmask_b32_e32 v17, v17, v11, vcc
	v_cmp_eq_u32_e32 vcc, 10, v16
	v_cndmask_b32_e32 v17, v17, v12, vcc
	v_cmp_eq_u32_e32 vcc, 11, v16
	;; [unrolled: 2-line block ×3, first 2 shown]
	v_cndmask_b32_e32 v16, v17, v14, vcc
	s_waitcnt lgkmcnt(0)
	v_fmac_f32_e32 v15, v16, v18
	v_cmp_ne_u32_e32 vcc, 4, v0
	s_and_saveexec_b64 s[6:7], vcc
	s_cbranch_execz .LBB12_265
; %bb.258:
	v_add_u32_e32 v16, 5, v0
	v_cmp_eq_u32_e32 vcc, 1, v16
	v_cndmask_b32_e32 v17, v2, v3, vcc
	v_cmp_eq_u32_e32 vcc, 2, v16
	v_cndmask_b32_e32 v17, v17, v4, vcc
	;; [unrolled: 2-line block ×8, first 2 shown]
	v_cmp_eq_u32_e32 vcc, 9, v16
	ds_read_b32 v18, v57 offset:20
	v_cndmask_b32_e32 v17, v17, v11, vcc
	v_cmp_eq_u32_e32 vcc, 10, v16
	v_cndmask_b32_e32 v17, v17, v12, vcc
	v_cmp_eq_u32_e32 vcc, 11, v16
	;; [unrolled: 2-line block ×3, first 2 shown]
	v_cndmask_b32_e32 v16, v17, v14, vcc
	s_waitcnt lgkmcnt(0)
	v_fmac_f32_e32 v15, v16, v18
	s_and_saveexec_b64 s[18:19], s[4:5]
	s_cbranch_execz .LBB12_264
; %bb.259:
	v_add_u32_e32 v16, 6, v0
	v_cmp_eq_u32_e32 vcc, 1, v16
	v_cndmask_b32_e32 v17, v2, v3, vcc
	v_cmp_eq_u32_e32 vcc, 2, v16
	v_cndmask_b32_e32 v17, v17, v4, vcc
	v_cmp_eq_u32_e32 vcc, 3, v16
	v_cndmask_b32_e32 v17, v17, v5, vcc
	v_cmp_eq_u32_e32 vcc, 4, v16
	v_cndmask_b32_e32 v17, v17, v6, vcc
	v_cmp_eq_u32_e32 vcc, 5, v16
	v_cndmask_b32_e32 v17, v17, v7, vcc
	v_cmp_eq_u32_e32 vcc, 6, v16
	v_cndmask_b32_e32 v17, v17, v8, vcc
	v_cmp_eq_u32_e32 vcc, 7, v16
	v_cndmask_b32_e32 v17, v17, v9, vcc
	v_cmp_eq_u32_e32 vcc, 8, v16
	v_cndmask_b32_e32 v17, v17, v10, vcc
	v_cmp_eq_u32_e32 vcc, 9, v16
	ds_read_b32 v18, v57 offset:24
	v_cndmask_b32_e32 v17, v17, v11, vcc
	v_cmp_eq_u32_e32 vcc, 10, v16
	v_cndmask_b32_e32 v17, v17, v12, vcc
	v_cmp_eq_u32_e32 vcc, 11, v16
	;; [unrolled: 2-line block ×3, first 2 shown]
	v_cndmask_b32_e32 v16, v17, v14, vcc
	s_waitcnt lgkmcnt(0)
	v_fmac_f32_e32 v15, v16, v18
	v_cmp_ne_u32_e32 vcc, 2, v0
	s_and_saveexec_b64 s[4:5], vcc
	s_cbranch_execz .LBB12_263
; %bb.260:
	v_add_u32_e32 v16, 7, v0
	v_cmp_eq_u32_e32 vcc, 1, v16
	v_cndmask_b32_e32 v17, v2, v3, vcc
	v_cmp_eq_u32_e32 vcc, 2, v16
	v_cndmask_b32_e32 v17, v17, v4, vcc
	;; [unrolled: 2-line block ×9, first 2 shown]
	ds_read_b32 v17, v57 offset:28
	v_cmp_eq_u32_e32 vcc, 10, v16
	v_cndmask_b32_e32 v11, v11, v12, vcc
	v_cmp_eq_u32_e32 vcc, 11, v16
	v_cndmask_b32_e32 v11, v11, v13, vcc
	v_cmp_eq_u32_e32 vcc, 12, v16
	v_cndmask_b32_e32 v11, v11, v14, vcc
	s_waitcnt lgkmcnt(0)
	v_fmac_f32_e32 v15, v11, v17
	s_and_saveexec_b64 s[20:21], s[2:3]
	s_cbranch_execz .LBB12_262
; %bb.261:
	ds_read_b32 v11, v57 offset:32
	s_waitcnt lgkmcnt(0)
	v_fmac_f32_e32 v15, v10, v11
.LBB12_262:
	s_or_b64 exec, exec, s[20:21]
.LBB12_263:
	s_or_b64 exec, exec, s[4:5]
.LBB12_264:
	s_or_b64 exec, exec, s[18:19]
.LBB12_265:
	s_or_b64 exec, exec, s[6:7]
.LBB12_266:
	s_or_b64 exec, exec, s[16:17]
.LBB12_267:
	s_or_b64 exec, exec, s[8:9]
.LBB12_268:
	s_or_b64 exec, exec, s[14:15]
.LBB12_269:
	s_or_b64 exec, exec, s[12:13]
	v_mov_b32_e32 v11, 0
	ds_read_b32 v11, v11 offset:36
	s_waitcnt lgkmcnt(0)
	v_mul_f32_e32 v11, v15, v11
.LBB12_270:
	s_or_b64 exec, exec, s[10:11]
	v_cmp_gt_u32_e32 vcc, 10, v0
	s_waitcnt vmcnt(2)
	ds_write_b32 v57, v12
	s_waitcnt lgkmcnt(0)
	; wave barrier
	s_and_saveexec_b64 s[4:5], vcc
	s_cbranch_execz .LBB12_280
; %bb.271:
	s_and_b64 vcc, exec, s[0:1]
	s_cbranch_vccnz .LBB12_273
; %bb.272:
	v_cmp_eq_u32_e32 vcc, 1, v0
	v_cndmask_b32_e32 v15, v2, v3, vcc
	v_cmp_eq_u32_e32 vcc, 2, v0
	v_cndmask_b32_e32 v15, v15, v4, vcc
	;; [unrolled: 2-line block ×8, first 2 shown]
	v_cmp_eq_u32_e32 vcc, 9, v0
	ds_read_b32 v16, v57
	v_cndmask_b32_e32 v15, v15, v11, vcc
	v_cmp_eq_u32_e32 vcc, 10, v0
	v_cndmask_b32_e32 v15, v15, v12, vcc
	v_cmp_eq_u32_e32 vcc, 11, v0
	s_waitcnt vmcnt(1)
	v_cndmask_b32_e32 v15, v15, v13, vcc
	v_cmp_eq_u32_e32 vcc, 12, v0
	s_waitcnt vmcnt(0)
	v_cndmask_b32_e32 v15, v15, v14, vcc
	s_waitcnt lgkmcnt(0)
	v_mul_f32_e32 v17, v15, v16
	s_cbranch_execz .LBB12_274
	s_branch .LBB12_275
.LBB12_273:
                                        ; implicit-def: $vgpr17
.LBB12_274:
	ds_read_b32 v17, v57
.LBB12_275:
	v_cmp_ne_u32_e32 vcc, 9, v0
	s_and_saveexec_b64 s[6:7], vcc
	s_cbranch_execz .LBB12_279
; %bb.276:
	v_mov_b32_e32 v15, 0x44
	v_lshl_add_u32 v18, v0, 2, v15
	v_mov_b32_e32 v16, v1
	s_mov_b64 s[8:9], 0
	v_mov_b32_e32 v15, v0
.LBB12_277:                             ; =>This Inner Loop Header: Depth=1
	v_add_co_u32_e32 v15, vcc, 1, v15
	v_addc_co_u32_e32 v16, vcc, 0, v16, vcc
	v_cmp_eq_u32_e32 vcc, 1, v15
	v_cndmask_b32_e32 v20, v2, v3, vcc
	v_cmp_lt_u32_e32 vcc, 8, v15
	v_cmp_eq_u32_e64 s[2:3], 2, v15
	v_cndmask_b32_e64 v20, v20, v4, s[2:3]
	s_or_b64 s[8:9], vcc, s[8:9]
	v_cmp_eq_u32_e32 vcc, 3, v15
	v_cndmask_b32_e32 v20, v20, v5, vcc
	v_cmp_eq_u32_e32 vcc, 4, v15
	v_cndmask_b32_e32 v20, v20, v6, vcc
	;; [unrolled: 2-line block ×5, first 2 shown]
	v_cmp_eq_u32_e32 vcc, 8, v15
	ds_read_b32 v19, v18
	v_cndmask_b32_e32 v20, v20, v10, vcc
	v_cmp_eq_u32_e32 vcc, 9, v15
	v_cndmask_b32_e32 v20, v20, v11, vcc
	v_cmp_eq_u32_e32 vcc, 10, v15
	;; [unrolled: 2-line block ×3, first 2 shown]
	s_waitcnt vmcnt(1)
	v_cndmask_b32_e32 v20, v20, v13, vcc
	v_cmp_eq_u32_e32 vcc, 12, v15
	s_waitcnt vmcnt(0)
	v_cndmask_b32_e32 v20, v20, v14, vcc
	v_add_u32_e32 v18, 4, v18
	s_waitcnt lgkmcnt(0)
	v_fmac_f32_e32 v17, v20, v19
	s_andn2_b64 exec, exec, s[8:9]
	s_cbranch_execnz .LBB12_277
; %bb.278:
	s_or_b64 exec, exec, s[8:9]
.LBB12_279:
	s_or_b64 exec, exec, s[6:7]
	v_mov_b32_e32 v12, 0
	ds_read_b32 v12, v12 offset:40
	s_waitcnt lgkmcnt(0)
	v_mul_f32_e32 v12, v17, v12
.LBB12_280:
	s_or_b64 exec, exec, s[4:5]
	v_cmp_gt_u32_e64 s[2:3], 11, v0
	s_waitcnt vmcnt(1)
	ds_write_b32 v57, v13
	s_waitcnt lgkmcnt(0)
	; wave barrier
	s_and_saveexec_b64 s[6:7], s[2:3]
	s_cbranch_execz .LBB12_290
; %bb.281:
	s_and_b64 vcc, exec, s[0:1]
	s_cbranch_vccnz .LBB12_283
; %bb.282:
	v_cmp_eq_u32_e32 vcc, 1, v0
	v_cndmask_b32_e32 v15, v2, v3, vcc
	v_cmp_eq_u32_e32 vcc, 2, v0
	v_cndmask_b32_e32 v15, v15, v4, vcc
	;; [unrolled: 2-line block ×8, first 2 shown]
	v_cmp_eq_u32_e32 vcc, 9, v0
	ds_read_b32 v16, v57
	v_cndmask_b32_e32 v15, v15, v11, vcc
	v_cmp_eq_u32_e32 vcc, 10, v0
	v_cndmask_b32_e32 v15, v15, v12, vcc
	v_cmp_eq_u32_e32 vcc, 11, v0
	v_cndmask_b32_e32 v15, v15, v13, vcc
	v_cmp_eq_u32_e32 vcc, 12, v0
	s_waitcnt vmcnt(0)
	v_cndmask_b32_e32 v15, v15, v14, vcc
	s_waitcnt lgkmcnt(0)
	v_mul_f32_e32 v17, v15, v16
	s_cbranch_execz .LBB12_284
	s_branch .LBB12_285
.LBB12_283:
                                        ; implicit-def: $vgpr17
.LBB12_284:
	ds_read_b32 v17, v57
.LBB12_285:
	v_cmp_ne_u32_e32 vcc, 10, v0
	s_and_saveexec_b64 s[8:9], vcc
	s_cbranch_execz .LBB12_289
; %bb.286:
	v_mov_b32_e32 v15, 0x44
	v_lshl_add_u32 v18, v0, 2, v15
	v_mov_b32_e32 v16, v1
	s_mov_b64 s[10:11], 0
	v_mov_b32_e32 v15, v0
.LBB12_287:                             ; =>This Inner Loop Header: Depth=1
	v_add_co_u32_e32 v15, vcc, 1, v15
	v_addc_co_u32_e32 v16, vcc, 0, v16, vcc
	v_cmp_eq_u32_e32 vcc, 1, v15
	v_cndmask_b32_e32 v20, v2, v3, vcc
	v_cmp_lt_u32_e32 vcc, 9, v15
	v_cmp_eq_u32_e64 s[4:5], 2, v15
	v_cndmask_b32_e64 v20, v20, v4, s[4:5]
	s_or_b64 s[10:11], vcc, s[10:11]
	v_cmp_eq_u32_e32 vcc, 3, v15
	v_cndmask_b32_e32 v20, v20, v5, vcc
	v_cmp_eq_u32_e32 vcc, 4, v15
	v_cndmask_b32_e32 v20, v20, v6, vcc
	;; [unrolled: 2-line block ×5, first 2 shown]
	v_cmp_eq_u32_e32 vcc, 8, v15
	ds_read_b32 v19, v18
	v_cndmask_b32_e32 v20, v20, v10, vcc
	v_cmp_eq_u32_e32 vcc, 9, v15
	v_cndmask_b32_e32 v20, v20, v11, vcc
	v_cmp_eq_u32_e32 vcc, 10, v15
	;; [unrolled: 2-line block ×4, first 2 shown]
	s_waitcnt vmcnt(0)
	v_cndmask_b32_e32 v20, v20, v14, vcc
	v_add_u32_e32 v18, 4, v18
	s_waitcnt lgkmcnt(0)
	v_fmac_f32_e32 v17, v20, v19
	s_andn2_b64 exec, exec, s[10:11]
	s_cbranch_execnz .LBB12_287
; %bb.288:
	s_or_b64 exec, exec, s[10:11]
.LBB12_289:
	s_or_b64 exec, exec, s[8:9]
	v_mov_b32_e32 v13, 0
	ds_read_b32 v13, v13 offset:44
	s_waitcnt lgkmcnt(0)
	v_mul_f32_e32 v13, v17, v13
.LBB12_290:
	s_or_b64 exec, exec, s[6:7]
	v_cmp_ne_u32_e32 vcc, 12, v0
	s_waitcnt vmcnt(0)
	ds_write_b32 v57, v14
	s_waitcnt lgkmcnt(0)
	; wave barrier
	s_and_saveexec_b64 s[4:5], vcc
	s_cbranch_execz .LBB12_300
; %bb.291:
	s_and_b64 vcc, exec, s[0:1]
	s_cbranch_vccnz .LBB12_293
; %bb.292:
	v_cmp_eq_u32_e32 vcc, 1, v0
	v_cndmask_b32_e32 v15, v2, v3, vcc
	v_cmp_eq_u32_e32 vcc, 2, v0
	v_cndmask_b32_e32 v15, v15, v4, vcc
	;; [unrolled: 2-line block ×8, first 2 shown]
	v_cmp_eq_u32_e32 vcc, 9, v0
	ds_read_b32 v16, v57
	v_cndmask_b32_e32 v15, v15, v11, vcc
	v_cmp_eq_u32_e32 vcc, 10, v0
	v_cndmask_b32_e32 v15, v15, v12, vcc
	v_cmp_eq_u32_e32 vcc, 11, v0
	;; [unrolled: 2-line block ×3, first 2 shown]
	v_cndmask_b32_e32 v15, v15, v14, vcc
	s_waitcnt lgkmcnt(0)
	v_mul_f32_e32 v15, v15, v16
	s_cbranch_execz .LBB12_294
	s_branch .LBB12_295
.LBB12_293:
                                        ; implicit-def: $vgpr15
.LBB12_294:
	ds_read_b32 v15, v57
.LBB12_295:
	s_and_saveexec_b64 s[6:7], s[2:3]
	s_cbranch_execz .LBB12_299
; %bb.296:
	v_mov_b32_e32 v16, 0x44
	v_lshl_add_u32 v16, v0, 2, v16
	s_mov_b64 s[2:3], 0
.LBB12_297:                             ; =>This Inner Loop Header: Depth=1
	v_add_co_u32_e32 v0, vcc, 1, v0
	v_addc_co_u32_e32 v1, vcc, 0, v1, vcc
	v_cmp_eq_u32_e32 vcc, 1, v0
	v_cndmask_b32_e32 v18, v2, v3, vcc
	v_cmp_lt_u32_e32 vcc, 10, v0
	v_cmp_eq_u32_e64 s[0:1], 2, v0
	v_cndmask_b32_e64 v18, v18, v4, s[0:1]
	s_or_b64 s[2:3], vcc, s[2:3]
	v_cmp_eq_u32_e32 vcc, 3, v0
	v_cndmask_b32_e32 v18, v18, v5, vcc
	v_cmp_eq_u32_e32 vcc, 4, v0
	v_cndmask_b32_e32 v18, v18, v6, vcc
	;; [unrolled: 2-line block ×5, first 2 shown]
	v_cmp_eq_u32_e32 vcc, 8, v0
	ds_read_b32 v17, v16
	v_cndmask_b32_e32 v18, v18, v10, vcc
	v_cmp_eq_u32_e32 vcc, 9, v0
	v_cndmask_b32_e32 v18, v18, v11, vcc
	v_cmp_eq_u32_e32 vcc, 10, v0
	;; [unrolled: 2-line block ×4, first 2 shown]
	v_cndmask_b32_e32 v18, v18, v14, vcc
	v_add_u32_e32 v16, 4, v16
	s_waitcnt lgkmcnt(0)
	v_fmac_f32_e32 v15, v18, v17
	s_andn2_b64 exec, exec, s[2:3]
	s_cbranch_execnz .LBB12_297
; %bb.298:
	s_or_b64 exec, exec, s[2:3]
.LBB12_299:
	s_or_b64 exec, exec, s[6:7]
	v_mov_b32_e32 v0, 0
	ds_read_b32 v0, v0 offset:48
	s_waitcnt lgkmcnt(0)
	v_mul_f32_e32 v14, v15, v0
.LBB12_300:
	s_or_b64 exec, exec, s[4:5]
	v_mov_b32_e32 v30, v17
	v_mov_b32_e32 v29, v16
	;; [unrolled: 1-line block ×16, first 2 shown]
.LBB12_301:
	global_store_dword v[53:54], v15, off
	global_store_dword v[55:56], v16, off
	;; [unrolled: 1-line block ×13, first 2 shown]
.LBB12_302:
	s_endpgm
	.section	.rodata,"a",@progbits
	.p2align	6, 0x0
	.amdhsa_kernel _ZN9rocsolver6v33100L18trti2_kernel_smallILi13EfPfEEv13rocblas_fill_17rocblas_diagonal_T1_iil
		.amdhsa_group_segment_fixed_size 116
		.amdhsa_private_segment_fixed_size 0
		.amdhsa_kernarg_size 32
		.amdhsa_user_sgpr_count 6
		.amdhsa_user_sgpr_private_segment_buffer 1
		.amdhsa_user_sgpr_dispatch_ptr 0
		.amdhsa_user_sgpr_queue_ptr 0
		.amdhsa_user_sgpr_kernarg_segment_ptr 1
		.amdhsa_user_sgpr_dispatch_id 0
		.amdhsa_user_sgpr_flat_scratch_init 0
		.amdhsa_user_sgpr_private_segment_size 0
		.amdhsa_uses_dynamic_stack 0
		.amdhsa_system_sgpr_private_segment_wavefront_offset 0
		.amdhsa_system_sgpr_workgroup_id_x 1
		.amdhsa_system_sgpr_workgroup_id_y 0
		.amdhsa_system_sgpr_workgroup_id_z 0
		.amdhsa_system_sgpr_workgroup_info 0
		.amdhsa_system_vgpr_workitem_id 0
		.amdhsa_next_free_vgpr 75
		.amdhsa_next_free_sgpr 44
		.amdhsa_reserve_vcc 1
		.amdhsa_reserve_flat_scratch 0
		.amdhsa_float_round_mode_32 0
		.amdhsa_float_round_mode_16_64 0
		.amdhsa_float_denorm_mode_32 3
		.amdhsa_float_denorm_mode_16_64 3
		.amdhsa_dx10_clamp 1
		.amdhsa_ieee_mode 1
		.amdhsa_fp16_overflow 0
		.amdhsa_exception_fp_ieee_invalid_op 0
		.amdhsa_exception_fp_denorm_src 0
		.amdhsa_exception_fp_ieee_div_zero 0
		.amdhsa_exception_fp_ieee_overflow 0
		.amdhsa_exception_fp_ieee_underflow 0
		.amdhsa_exception_fp_ieee_inexact 0
		.amdhsa_exception_int_div_zero 0
	.end_amdhsa_kernel
	.section	.text._ZN9rocsolver6v33100L18trti2_kernel_smallILi13EfPfEEv13rocblas_fill_17rocblas_diagonal_T1_iil,"axG",@progbits,_ZN9rocsolver6v33100L18trti2_kernel_smallILi13EfPfEEv13rocblas_fill_17rocblas_diagonal_T1_iil,comdat
.Lfunc_end12:
	.size	_ZN9rocsolver6v33100L18trti2_kernel_smallILi13EfPfEEv13rocblas_fill_17rocblas_diagonal_T1_iil, .Lfunc_end12-_ZN9rocsolver6v33100L18trti2_kernel_smallILi13EfPfEEv13rocblas_fill_17rocblas_diagonal_T1_iil
                                        ; -- End function
	.set _ZN9rocsolver6v33100L18trti2_kernel_smallILi13EfPfEEv13rocblas_fill_17rocblas_diagonal_T1_iil.num_vgpr, 75
	.set _ZN9rocsolver6v33100L18trti2_kernel_smallILi13EfPfEEv13rocblas_fill_17rocblas_diagonal_T1_iil.num_agpr, 0
	.set _ZN9rocsolver6v33100L18trti2_kernel_smallILi13EfPfEEv13rocblas_fill_17rocblas_diagonal_T1_iil.numbered_sgpr, 44
	.set _ZN9rocsolver6v33100L18trti2_kernel_smallILi13EfPfEEv13rocblas_fill_17rocblas_diagonal_T1_iil.num_named_barrier, 0
	.set _ZN9rocsolver6v33100L18trti2_kernel_smallILi13EfPfEEv13rocblas_fill_17rocblas_diagonal_T1_iil.private_seg_size, 0
	.set _ZN9rocsolver6v33100L18trti2_kernel_smallILi13EfPfEEv13rocblas_fill_17rocblas_diagonal_T1_iil.uses_vcc, 1
	.set _ZN9rocsolver6v33100L18trti2_kernel_smallILi13EfPfEEv13rocblas_fill_17rocblas_diagonal_T1_iil.uses_flat_scratch, 0
	.set _ZN9rocsolver6v33100L18trti2_kernel_smallILi13EfPfEEv13rocblas_fill_17rocblas_diagonal_T1_iil.has_dyn_sized_stack, 0
	.set _ZN9rocsolver6v33100L18trti2_kernel_smallILi13EfPfEEv13rocblas_fill_17rocblas_diagonal_T1_iil.has_recursion, 0
	.set _ZN9rocsolver6v33100L18trti2_kernel_smallILi13EfPfEEv13rocblas_fill_17rocblas_diagonal_T1_iil.has_indirect_call, 0
	.section	.AMDGPU.csdata,"",@progbits
; Kernel info:
; codeLenInByte = 13808
; TotalNumSgprs: 48
; NumVgprs: 75
; ScratchSize: 0
; MemoryBound: 0
; FloatMode: 240
; IeeeMode: 1
; LDSByteSize: 116 bytes/workgroup (compile time only)
; SGPRBlocks: 5
; VGPRBlocks: 18
; NumSGPRsForWavesPerEU: 48
; NumVGPRsForWavesPerEU: 75
; Occupancy: 3
; WaveLimiterHint : 0
; COMPUTE_PGM_RSRC2:SCRATCH_EN: 0
; COMPUTE_PGM_RSRC2:USER_SGPR: 6
; COMPUTE_PGM_RSRC2:TRAP_HANDLER: 0
; COMPUTE_PGM_RSRC2:TGID_X_EN: 1
; COMPUTE_PGM_RSRC2:TGID_Y_EN: 0
; COMPUTE_PGM_RSRC2:TGID_Z_EN: 0
; COMPUTE_PGM_RSRC2:TIDIG_COMP_CNT: 0
	.section	.text._ZN9rocsolver6v33100L18trti2_kernel_smallILi14EfPfEEv13rocblas_fill_17rocblas_diagonal_T1_iil,"axG",@progbits,_ZN9rocsolver6v33100L18trti2_kernel_smallILi14EfPfEEv13rocblas_fill_17rocblas_diagonal_T1_iil,comdat
	.globl	_ZN9rocsolver6v33100L18trti2_kernel_smallILi14EfPfEEv13rocblas_fill_17rocblas_diagonal_T1_iil ; -- Begin function _ZN9rocsolver6v33100L18trti2_kernel_smallILi14EfPfEEv13rocblas_fill_17rocblas_diagonal_T1_iil
	.p2align	8
	.type	_ZN9rocsolver6v33100L18trti2_kernel_smallILi14EfPfEEv13rocblas_fill_17rocblas_diagonal_T1_iil,@function
_ZN9rocsolver6v33100L18trti2_kernel_smallILi14EfPfEEv13rocblas_fill_17rocblas_diagonal_T1_iil: ; @_ZN9rocsolver6v33100L18trti2_kernel_smallILi14EfPfEEv13rocblas_fill_17rocblas_diagonal_T1_iil
; %bb.0:
	v_cmp_gt_u32_e32 vcc, 14, v0
	s_and_saveexec_b64 s[0:1], vcc
	s_cbranch_execz .LBB13_328
; %bb.1:
	s_load_dwordx8 s[36:43], s[4:5], 0x0
	s_ashr_i32 s2, s6, 31
	v_lshlrev_b32_e32 v16, 2, v0
	v_mov_b32_e32 v17, -1.0
	s_waitcnt lgkmcnt(0)
	s_mul_hi_u32 s3, s42, s6
	s_mul_i32 s2, s42, s2
	s_add_i32 s2, s3, s2
	s_mul_i32 s3, s43, s6
	s_add_i32 s3, s2, s3
	s_mul_i32 s2, s42, s6
	s_ashr_i32 s1, s40, 31
	s_lshl_b64 s[2:3], s[2:3], 2
	s_mov_b32 s0, s40
	s_add_u32 s2, s38, s2
	s_addc_u32 s3, s39, s3
	s_lshl_b64 s[0:1], s[0:1], 2
	s_add_u32 s0, s2, s0
	s_addc_u32 s1, s3, s1
	s_add_i32 s2, s41, s41
	v_add_u32_e32 v1, s2, v0
	v_ashrrev_i32_e32 v2, 31, v1
	v_lshlrev_b64 v[2:3], 2, v[1:2]
	v_add_u32_e32 v1, s41, v1
	v_mov_b32_e32 v4, s1
	v_add_co_u32_e32 v32, vcc, s0, v2
	v_ashrrev_i32_e32 v2, 31, v1
	v_addc_co_u32_e32 v33, vcc, v4, v3, vcc
	v_lshlrev_b64 v[2:3], 2, v[1:2]
	v_add_u32_e32 v1, s41, v1
	v_add_co_u32_e32 v34, vcc, s0, v2
	v_ashrrev_i32_e32 v2, 31, v1
	v_addc_co_u32_e32 v35, vcc, v4, v3, vcc
	v_lshlrev_b64 v[2:3], 2, v[1:2]
	v_add_u32_e32 v1, s41, v1
	;; [unrolled: 5-line block ×10, first 2 shown]
	v_add_co_u32_e32 v52, vcc, s0, v2
	v_ashrrev_i32_e32 v2, 31, v1
	v_lshlrev_b64 v[1:2], 2, v[1:2]
	v_addc_co_u32_e32 v53, vcc, v4, v3, vcc
	v_mov_b32_e32 v3, s1
	v_add_co_u32_e32 v54, vcc, s0, v1
	v_addc_co_u32_e32 v55, vcc, v3, v2, vcc
	v_mov_b32_e32 v1, s1
	v_add_co_u32_e32 v56, vcc, s0, v16
	s_ashr_i32 s3, s41, 31
	s_mov_b32 s2, s41
	v_addc_co_u32_e32 v57, vcc, 0, v1, vcc
	s_lshl_b64 s[2:3], s[2:3], 2
	v_mov_b32_e32 v1, s3
	v_add_co_u32_e32 v58, vcc, s2, v56
	v_addc_co_u32_e32 v59, vcc, v57, v1, vcc
	global_load_dword v3, v[58:59], off
	global_load_dword v4, v[32:33], off
	global_load_dword v5, v[34:35], off
	global_load_dword v6, v[36:37], off
	global_load_dword v7, v[38:39], off
	global_load_dword v8, v[40:41], off
	global_load_dword v9, v[42:43], off
	global_load_dword v10, v[44:45], off
	global_load_dword v2, v16, s[0:1]
	global_load_dword v11, v[46:47], off
	global_load_dword v12, v[48:49], off
	;; [unrolled: 1-line block ×5, first 2 shown]
	s_cmpk_lg_i32 s37, 0x84
	v_mov_b32_e32 v1, 0
	s_cselect_b64 s[28:29], -1, 0
	s_cmpk_eq_i32 s37, 0x84
	v_cmp_eq_u32_e64 s[0:1], 0, v0
	s_cbranch_scc1 .LBB13_3
; %bb.2:
	v_cmp_eq_u32_e64 s[2:3], 1, v0
	s_waitcnt vmcnt(5)
	v_cndmask_b32_e64 v17, v2, v3, s[2:3]
	v_cmp_eq_u32_e64 s[4:5], 2, v0
	v_cndmask_b32_e64 v17, v17, v4, s[4:5]
	v_cmp_eq_u32_e64 s[6:7], 3, v0
	;; [unrolled: 2-line block ×8, first 2 shown]
	s_waitcnt vmcnt(4)
	v_cndmask_b32_e64 v17, v17, v11, s[18:19]
	v_cmp_eq_u32_e64 s[20:21], 10, v0
	s_waitcnt vmcnt(3)
	v_cndmask_b32_e64 v17, v17, v12, s[20:21]
	v_cmp_eq_u32_e64 s[22:23], 11, v0
	;; [unrolled: 3-line block ×4, first 2 shown]
	s_waitcnt vmcnt(0)
	v_cndmask_b32_e64 v17, v17, v15, s[26:27]
	v_div_scale_f32 v18, s[30:31], v17, v17, 1.0
	v_div_scale_f32 v19, vcc, 1.0, v17, 1.0
	v_rcp_f32_e32 v20, v18
	v_fma_f32 v21, -v18, v20, 1.0
	v_fmac_f32_e32 v20, v21, v20
	v_mul_f32_e32 v21, v19, v20
	v_fma_f32 v22, -v18, v21, v19
	v_fmac_f32_e32 v21, v22, v20
	v_fma_f32 v18, -v18, v21, v19
	v_div_fmas_f32 v18, v18, v20, v21
	v_div_fixup_f32 v17, v18, v17, 1.0
	v_cndmask_b32_e64 v15, v15, v17, s[26:27]
	v_cndmask_b32_e64 v14, v14, v17, s[24:25]
	;; [unrolled: 1-line block ×14, first 2 shown]
	v_xor_b32_e32 v17, 0x80000000, v17
.LBB13_3:
	s_cmpk_eq_i32 s36, 0x79
	v_add_u32_e32 v60, 64, v16
	ds_write_b32 v16, v17
	s_cbranch_scc1 .LBB13_7
; %bb.4:
	s_waitcnt vmcnt(0)
	v_mov_b32_e32 v31, v17
	v_mov_b32_e32 v30, v16
	;; [unrolled: 1-line block ×16, first 2 shown]
	v_cmp_eq_u32_e64 s[0:1], 13, v0
	ds_write_b32 v60, v14
	s_waitcnt lgkmcnt(0)
	; wave barrier
	s_and_saveexec_b64 s[2:3], s[0:1]
	s_cbranch_execz .LBB13_11
; %bb.5:
	s_and_b64 vcc, exec, s[28:29]
	s_cbranch_vccz .LBB13_8
; %bb.6:
	v_cmp_eq_u32_e32 vcc, 1, v0
	v_cndmask_b32_e32 v16, v2, v3, vcc
	v_cmp_eq_u32_e32 vcc, 2, v0
	v_cndmask_b32_e32 v16, v16, v4, vcc
	;; [unrolled: 2-line block ×9, first 2 shown]
	v_cmp_eq_u32_e32 vcc, 10, v0
	ds_read_b32 v17, v60
	v_cndmask_b32_e32 v16, v16, v12, vcc
	v_cmp_eq_u32_e32 vcc, 11, v0
	v_cndmask_b32_e32 v16, v16, v13, vcc
	v_cmp_eq_u32_e32 vcc, 12, v0
	;; [unrolled: 2-line block ×3, first 2 shown]
	v_cndmask_b32_e32 v16, v16, v15, vcc
	s_waitcnt lgkmcnt(0)
	v_mul_f32_e32 v20, v16, v17
	s_cbranch_execz .LBB13_9
	s_branch .LBB13_10
.LBB13_7:
                                        ; implicit-def: $vgpr16_vgpr17_vgpr18_vgpr19_vgpr20_vgpr21_vgpr22_vgpr23_vgpr24_vgpr25_vgpr26_vgpr27_vgpr28_vgpr29_vgpr30_vgpr31
	s_cbranch_execnz .LBB13_194
	s_branch .LBB13_327
.LBB13_8:
                                        ; implicit-def: $vgpr20
.LBB13_9:
	ds_read_b32 v20, v60
.LBB13_10:
	v_mov_b32_e32 v16, 0
	ds_read_b32 v21, v16 offset:48
	v_mov_b32_e32 v16, v2
	v_mov_b32_e32 v17, v3
	;; [unrolled: 1-line block ×4, first 2 shown]
	s_waitcnt lgkmcnt(0)
	v_mul_f32_e32 v28, v20, v21
	v_mov_b32_e32 v20, v6
	v_mov_b32_e32 v21, v7
	;; [unrolled: 1-line block ×9, first 2 shown]
.LBB13_11:
	s_or_b64 exec, exec, s[2:3]
	v_cmp_lt_u32_e64 s[2:3], 11, v0
	ds_write_b32 v60, v27
	s_waitcnt lgkmcnt(0)
	; wave barrier
	s_and_saveexec_b64 s[4:5], s[2:3]
	s_cbranch_execz .LBB13_17
; %bb.12:
	s_andn2_b64 vcc, exec, s[28:29]
	s_cbranch_vccnz .LBB13_14
; %bb.13:
	v_cmp_eq_u32_e32 vcc, 1, v0
	v_cndmask_b32_e32 v30, v16, v17, vcc
	v_cmp_eq_u32_e32 vcc, 2, v0
	v_cndmask_b32_e32 v30, v30, v18, vcc
	;; [unrolled: 2-line block ×11, first 2 shown]
	ds_read_b32 v30, v60
	v_cmp_eq_u32_e32 vcc, 12, v0
	v_cndmask_b32_e32 v27, v27, v28, vcc
	v_cmp_eq_u32_e32 vcc, 13, v0
	v_cndmask_b32_e32 v27, v27, v29, vcc
	s_waitcnt lgkmcnt(0)
	v_mul_f32_e32 v27, v27, v30
	s_cbranch_execz .LBB13_15
	s_branch .LBB13_16
.LBB13_14:
                                        ; implicit-def: $vgpr27
.LBB13_15:
	ds_read_b32 v27, v60
.LBB13_16:
	v_mov_b32_e32 v30, 0
	ds_read2_b32 v[30:31], v30 offset0:11 offset1:28
	s_waitcnt lgkmcnt(0)
	v_fma_f32 v31, v28, v31, v27
	v_cndmask_b32_e64 v27, v27, v31, s[0:1]
	v_mul_f32_e32 v27, v27, v30
.LBB13_17:
	s_or_b64 exec, exec, s[4:5]
	v_cmp_lt_u32_e64 s[0:1], 10, v0
	ds_write_b32 v60, v26
	s_waitcnt lgkmcnt(0)
	; wave barrier
	s_and_saveexec_b64 s[4:5], s[0:1]
	s_cbranch_execz .LBB13_33
; %bb.18:
	s_andn2_b64 vcc, exec, s[28:29]
	s_cbranch_vccnz .LBB13_20
; %bb.19:
	v_cmp_eq_u32_e32 vcc, 1, v0
	v_cndmask_b32_e32 v61, v16, v17, vcc
	v_cmp_eq_u32_e32 vcc, 2, v0
	v_cndmask_b32_e32 v61, v61, v18, vcc
	;; [unrolled: 2-line block ×9, first 2 shown]
	v_cmp_eq_u32_e32 vcc, 10, v0
	ds_read_b32 v62, v60
	v_cndmask_b32_e32 v61, v61, v26, vcc
	v_cmp_eq_u32_e32 vcc, 11, v0
	v_cndmask_b32_e32 v61, v61, v27, vcc
	v_cmp_eq_u32_e32 vcc, 12, v0
	v_cndmask_b32_e32 v61, v61, v28, vcc
	v_cmp_eq_u32_e32 vcc, 13, v0
	v_cndmask_b32_e32 v61, v61, v29, vcc
	s_waitcnt lgkmcnt(0)
	v_mul_f32_e32 v61, v61, v62
	s_cbranch_execz .LBB13_21
	s_branch .LBB13_22
.LBB13_20:
                                        ; implicit-def: $vgpr61
.LBB13_21:
	ds_read_b32 v61, v60
.LBB13_22:
	s_and_saveexec_b64 s[6:7], s[2:3]
	s_cbranch_execz .LBB13_32
; %bb.23:
	v_add_u32_e32 v62, -12, v0
	v_add_u32_e32 v63, -11, v0
	v_cmp_lt_u32_e32 vcc, 6, v62
	v_mov_b32_e32 v62, 11
	s_and_saveexec_b64 s[2:3], vcc
	s_cbranch_execz .LBB13_27
; %bb.24:
	v_and_b32_e32 v62, -8, v63
	v_sub_u32_e32 v64, 0, v62
	s_mov_b64 s[8:9], 18
	s_movk_i32 s12, 0x6c
	s_mov_b64 s[10:11], 0
.LBB13_25:                              ; =>This Inner Loop Header: Depth=1
	s_add_i32 s13, s8, -7
	v_mov_b32_e32 v62, s12
	s_add_i32 s14, s8, -6
	s_set_gpr_idx_on s13, gpr_idx(SRC0)
	v_mov_b32_e32 v71, v16
	s_set_gpr_idx_off
	ds_read2_b32 v[65:66], v62 offset1:1
	s_add_i32 s15, s8, -5
	s_set_gpr_idx_on s14, gpr_idx(SRC0)
	v_mov_b32_e32 v72, v16
	s_set_gpr_idx_off
	s_add_i32 s16, s8, -4
	s_set_gpr_idx_on s15, gpr_idx(SRC0)
	v_mov_b32_e32 v73, v16
	s_set_gpr_idx_off
	ds_read2_b32 v[67:68], v62 offset0:2 offset1:3
	s_add_i32 s17, s8, -3
	s_set_gpr_idx_on s16, gpr_idx(SRC0)
	v_mov_b32_e32 v74, v16
	s_set_gpr_idx_off
	s_add_i32 s18, s8, -2
	s_set_gpr_idx_on s17, gpr_idx(SRC0)
	v_mov_b32_e32 v75, v16
	s_set_gpr_idx_off
	ds_read2_b32 v[69:70], v62 offset0:4 offset1:5
	s_add_i32 s19, s8, -1
	s_waitcnt lgkmcnt(2)
	v_fmac_f32_e32 v61, v71, v65
	s_set_gpr_idx_on s18, gpr_idx(SRC0)
	v_mov_b32_e32 v71, v16
	s_set_gpr_idx_off
	v_fmac_f32_e32 v61, v72, v66
	s_set_gpr_idx_on s19, gpr_idx(SRC0)
	v_mov_b32_e32 v72, v16
	s_set_gpr_idx_off
	ds_read2_b32 v[65:66], v62 offset0:6 offset1:7
	s_waitcnt lgkmcnt(2)
	v_fmac_f32_e32 v61, v73, v67
	s_set_gpr_idx_on s8, gpr_idx(SRC0)
	v_mov_b32_e32 v67, v16
	s_set_gpr_idx_off
	v_fmac_f32_e32 v61, v74, v68
	s_add_u32 s8, s8, 8
	s_waitcnt lgkmcnt(1)
	v_fmac_f32_e32 v61, v75, v69
	v_add_u32_e32 v62, s8, v64
	v_fmac_f32_e32 v61, v71, v70
	s_addc_u32 s9, s9, 0
	s_add_i32 s12, s12, 32
	s_add_i32 s13, s8, -7
	v_cmp_eq_u32_e32 vcc, 18, v62
	s_waitcnt lgkmcnt(0)
	v_fmac_f32_e32 v61, v72, v65
	v_mov_b32_e32 v62, s13
	s_or_b64 s[10:11], vcc, s[10:11]
	v_fmac_f32_e32 v61, v67, v66
	s_andn2_b64 exec, exec, s[10:11]
	s_cbranch_execnz .LBB13_25
; %bb.26:
	s_or_b64 exec, exec, s[10:11]
.LBB13_27:
	s_or_b64 exec, exec, s[2:3]
	v_and_b32_e32 v30, 7, v63
	v_cmp_ne_u32_e32 vcc, 0, v30
	s_and_saveexec_b64 s[8:9], vcc
	s_cbranch_execz .LBB13_31
; %bb.28:
	v_lshl_add_u32 v31, v62, 2, 64
	v_mov_b32_e32 v63, 0
	s_mov_b64 s[10:11], 0
.LBB13_29:                              ; =>This Inner Loop Header: Depth=1
	v_cmp_eq_u32_e32 vcc, 1, v62
	v_cndmask_b32_e32 v64, v16, v17, vcc
	v_add_u32_e32 v30, -1, v30
	v_cmp_eq_u32_e32 vcc, 2, v62
	v_cndmask_b32_e32 v64, v64, v18, vcc
	v_cmp_eq_u32_e32 vcc, 0, v30
	v_cmp_eq_u32_e64 s[2:3], 3, v62
	v_cndmask_b32_e64 v64, v64, v19, s[2:3]
	s_or_b64 s[10:11], vcc, s[10:11]
	v_cmp_eq_u32_e32 vcc, 4, v62
	v_cndmask_b32_e32 v64, v64, v20, vcc
	v_cmp_eq_u32_e32 vcc, 5, v62
	v_cndmask_b32_e32 v64, v64, v21, vcc
	;; [unrolled: 2-line block ×5, first 2 shown]
	v_cmp_eq_u32_e32 vcc, 9, v62
	ds_read_b32 v65, v31
	v_cndmask_b32_e32 v64, v64, v25, vcc
	v_cmp_eq_u32_e32 vcc, 10, v62
	v_cndmask_b32_e32 v64, v64, v26, vcc
	v_cmp_eq_u32_e32 vcc, 11, v62
	v_cndmask_b32_e32 v64, v64, v27, vcc
	v_cmp_eq_u32_e32 vcc, 12, v62
	v_cndmask_b32_e32 v64, v64, v28, vcc
	v_cmp_eq_u32_e32 vcc, 13, v62
	v_add_co_u32_e64 v62, s[2:3], 1, v62
	v_cndmask_b32_e32 v64, v64, v29, vcc
	v_add_u32_e32 v31, 4, v31
	v_addc_co_u32_e64 v63, s[2:3], 0, v63, s[2:3]
	s_waitcnt lgkmcnt(0)
	v_fmac_f32_e32 v61, v64, v65
	s_andn2_b64 exec, exec, s[10:11]
	s_cbranch_execnz .LBB13_29
; %bb.30:
	s_or_b64 exec, exec, s[10:11]
.LBB13_31:
	s_or_b64 exec, exec, s[8:9]
.LBB13_32:
	s_or_b64 exec, exec, s[6:7]
	v_mov_b32_e32 v26, 0
	ds_read_b32 v26, v26 offset:40
	s_waitcnt lgkmcnt(0)
	v_mul_f32_e32 v26, v61, v26
.LBB13_33:
	s_or_b64 exec, exec, s[4:5]
	v_cmp_lt_u32_e64 s[2:3], 9, v0
	ds_write_b32 v60, v25
	s_waitcnt lgkmcnt(0)
	; wave barrier
	s_and_saveexec_b64 s[4:5], s[2:3]
	s_cbranch_execz .LBB13_49
; %bb.34:
	s_andn2_b64 vcc, exec, s[28:29]
	s_cbranch_vccnz .LBB13_36
; %bb.35:
	v_cmp_eq_u32_e32 vcc, 1, v0
	v_cndmask_b32_e32 v61, v16, v17, vcc
	v_cmp_eq_u32_e32 vcc, 2, v0
	v_cndmask_b32_e32 v61, v61, v18, vcc
	;; [unrolled: 2-line block ×9, first 2 shown]
	v_cmp_eq_u32_e32 vcc, 10, v0
	ds_read_b32 v62, v60
	v_cndmask_b32_e32 v61, v61, v26, vcc
	v_cmp_eq_u32_e32 vcc, 11, v0
	v_cndmask_b32_e32 v61, v61, v27, vcc
	v_cmp_eq_u32_e32 vcc, 12, v0
	;; [unrolled: 2-line block ×3, first 2 shown]
	v_cndmask_b32_e32 v61, v61, v29, vcc
	s_waitcnt lgkmcnt(0)
	v_mul_f32_e32 v61, v61, v62
	s_cbranch_execz .LBB13_37
	s_branch .LBB13_38
.LBB13_36:
                                        ; implicit-def: $vgpr61
.LBB13_37:
	ds_read_b32 v61, v60
.LBB13_38:
	s_and_saveexec_b64 s[6:7], s[0:1]
	s_cbranch_execz .LBB13_48
; %bb.39:
	v_add_u32_e32 v62, -11, v0
	v_add_u32_e32 v63, -10, v0
	v_cmp_lt_u32_e32 vcc, 6, v62
	v_mov_b32_e32 v62, 10
	s_and_saveexec_b64 s[0:1], vcc
	s_cbranch_execz .LBB13_43
; %bb.40:
	v_and_b32_e32 v62, -8, v63
	v_sub_u32_e32 v64, 0, v62
	s_mov_b64 s[8:9], 17
	s_movk_i32 s12, 0x68
	s_mov_b64 s[10:11], 0
.LBB13_41:                              ; =>This Inner Loop Header: Depth=1
	s_add_i32 s13, s8, -7
	v_mov_b32_e32 v62, s12
	s_add_i32 s14, s8, -6
	s_set_gpr_idx_on s13, gpr_idx(SRC0)
	v_mov_b32_e32 v73, v16
	s_set_gpr_idx_off
	ds_read2_b64 v[65:68], v62 offset1:1
	s_add_i32 s15, s8, -5
	s_set_gpr_idx_on s14, gpr_idx(SRC0)
	v_mov_b32_e32 v74, v16
	s_set_gpr_idx_off
	s_add_i32 s16, s8, -4
	s_set_gpr_idx_on s15, gpr_idx(SRC0)
	v_mov_b32_e32 v75, v16
	s_set_gpr_idx_off
	;; [unrolled: 4-line block ×4, first 2 shown]
	ds_read2_b64 v[69:72], v62 offset0:2 offset1:3
	s_add_i32 s19, s8, -1
	s_waitcnt lgkmcnt(1)
	v_fmac_f32_e32 v61, v73, v65
	s_set_gpr_idx_on s18, gpr_idx(SRC0)
	v_mov_b32_e32 v65, v16
	s_set_gpr_idx_off
	v_fmac_f32_e32 v61, v74, v66
	s_set_gpr_idx_on s19, gpr_idx(SRC0)
	v_mov_b32_e32 v66, v16
	s_set_gpr_idx_off
	;; [unrolled: 4-line block ×3, first 2 shown]
	v_fmac_f32_e32 v61, v76, v68
	s_add_u32 s8, s8, 8
	s_waitcnt lgkmcnt(0)
	v_fmac_f32_e32 v61, v77, v69
	v_add_u32_e32 v62, s8, v64
	v_fmac_f32_e32 v61, v65, v70
	s_addc_u32 s9, s9, 0
	s_add_i32 s12, s12, 32
	s_add_i32 s13, s8, -7
	v_cmp_eq_u32_e32 vcc, 17, v62
	v_fmac_f32_e32 v61, v66, v71
	v_mov_b32_e32 v62, s13
	s_or_b64 s[10:11], vcc, s[10:11]
	v_fmac_f32_e32 v61, v67, v72
	s_andn2_b64 exec, exec, s[10:11]
	s_cbranch_execnz .LBB13_41
; %bb.42:
	s_or_b64 exec, exec, s[10:11]
.LBB13_43:
	s_or_b64 exec, exec, s[0:1]
	v_and_b32_e32 v30, 7, v63
	v_cmp_ne_u32_e32 vcc, 0, v30
	s_and_saveexec_b64 s[8:9], vcc
	s_cbranch_execz .LBB13_47
; %bb.44:
	v_lshl_add_u32 v31, v62, 2, 64
	v_mov_b32_e32 v63, 0
	s_mov_b64 s[10:11], 0
.LBB13_45:                              ; =>This Inner Loop Header: Depth=1
	v_cmp_eq_u32_e32 vcc, 1, v62
	v_cndmask_b32_e32 v64, v16, v17, vcc
	v_add_u32_e32 v30, -1, v30
	v_cmp_eq_u32_e32 vcc, 2, v62
	v_cndmask_b32_e32 v64, v64, v18, vcc
	v_cmp_eq_u32_e32 vcc, 0, v30
	v_cmp_eq_u32_e64 s[0:1], 3, v62
	v_cndmask_b32_e64 v64, v64, v19, s[0:1]
	s_or_b64 s[10:11], vcc, s[10:11]
	v_cmp_eq_u32_e32 vcc, 4, v62
	v_cndmask_b32_e32 v64, v64, v20, vcc
	v_cmp_eq_u32_e32 vcc, 5, v62
	v_cndmask_b32_e32 v64, v64, v21, vcc
	;; [unrolled: 2-line block ×5, first 2 shown]
	v_cmp_eq_u32_e32 vcc, 9, v62
	ds_read_b32 v65, v31
	v_cndmask_b32_e32 v64, v64, v25, vcc
	v_cmp_eq_u32_e32 vcc, 10, v62
	v_cndmask_b32_e32 v64, v64, v26, vcc
	v_cmp_eq_u32_e32 vcc, 11, v62
	;; [unrolled: 2-line block ×4, first 2 shown]
	v_add_co_u32_e64 v62, s[0:1], 1, v62
	v_cndmask_b32_e32 v64, v64, v29, vcc
	v_add_u32_e32 v31, 4, v31
	v_addc_co_u32_e64 v63, s[0:1], 0, v63, s[0:1]
	s_waitcnt lgkmcnt(0)
	v_fmac_f32_e32 v61, v64, v65
	s_andn2_b64 exec, exec, s[10:11]
	s_cbranch_execnz .LBB13_45
; %bb.46:
	s_or_b64 exec, exec, s[10:11]
.LBB13_47:
	s_or_b64 exec, exec, s[8:9]
.LBB13_48:
	s_or_b64 exec, exec, s[6:7]
	v_mov_b32_e32 v25, 0
	ds_read_b32 v25, v25 offset:36
	s_waitcnt lgkmcnt(0)
	v_mul_f32_e32 v25, v61, v25
.LBB13_49:
	s_or_b64 exec, exec, s[4:5]
	v_cmp_lt_u32_e64 s[0:1], 8, v0
	ds_write_b32 v60, v24
	s_waitcnt lgkmcnt(0)
	; wave barrier
	s_and_saveexec_b64 s[4:5], s[0:1]
	s_cbranch_execz .LBB13_65
; %bb.50:
	s_andn2_b64 vcc, exec, s[28:29]
	s_cbranch_vccnz .LBB13_52
; %bb.51:
	v_cmp_eq_u32_e32 vcc, 1, v0
	v_cndmask_b32_e32 v61, v16, v17, vcc
	v_cmp_eq_u32_e32 vcc, 2, v0
	v_cndmask_b32_e32 v61, v61, v18, vcc
	;; [unrolled: 2-line block ×9, first 2 shown]
	v_cmp_eq_u32_e32 vcc, 10, v0
	ds_read_b32 v62, v60
	v_cndmask_b32_e32 v61, v61, v26, vcc
	v_cmp_eq_u32_e32 vcc, 11, v0
	v_cndmask_b32_e32 v61, v61, v27, vcc
	v_cmp_eq_u32_e32 vcc, 12, v0
	;; [unrolled: 2-line block ×3, first 2 shown]
	v_cndmask_b32_e32 v61, v61, v29, vcc
	s_waitcnt lgkmcnt(0)
	v_mul_f32_e32 v61, v61, v62
	s_cbranch_execz .LBB13_53
	s_branch .LBB13_54
.LBB13_52:
                                        ; implicit-def: $vgpr61
.LBB13_53:
	ds_read_b32 v61, v60
.LBB13_54:
	s_and_saveexec_b64 s[6:7], s[2:3]
	s_cbranch_execz .LBB13_64
; %bb.55:
	v_add_u32_e32 v62, -10, v0
	v_add_u32_e32 v63, -9, v0
	v_cmp_lt_u32_e32 vcc, 6, v62
	v_mov_b32_e32 v62, 9
	s_and_saveexec_b64 s[2:3], vcc
	s_cbranch_execz .LBB13_59
; %bb.56:
	v_and_b32_e32 v62, -8, v63
	v_sub_u32_e32 v64, 0, v62
	s_mov_b64 s[8:9], 16
	s_movk_i32 s12, 0x64
	s_mov_b64 s[10:11], 0
.LBB13_57:                              ; =>This Inner Loop Header: Depth=1
	s_add_i32 s13, s8, -7
	v_mov_b32_e32 v62, s12
	s_add_i32 s14, s8, -6
	s_set_gpr_idx_on s13, gpr_idx(SRC0)
	v_mov_b32_e32 v71, v16
	s_set_gpr_idx_off
	ds_read2_b32 v[65:66], v62 offset1:1
	s_add_i32 s15, s8, -5
	s_set_gpr_idx_on s14, gpr_idx(SRC0)
	v_mov_b32_e32 v72, v16
	s_set_gpr_idx_off
	s_add_i32 s16, s8, -4
	s_set_gpr_idx_on s15, gpr_idx(SRC0)
	v_mov_b32_e32 v73, v16
	s_set_gpr_idx_off
	ds_read2_b32 v[67:68], v62 offset0:2 offset1:3
	s_add_i32 s17, s8, -3
	s_set_gpr_idx_on s16, gpr_idx(SRC0)
	v_mov_b32_e32 v74, v16
	s_set_gpr_idx_off
	s_add_i32 s18, s8, -2
	s_set_gpr_idx_on s17, gpr_idx(SRC0)
	v_mov_b32_e32 v75, v16
	s_set_gpr_idx_off
	ds_read2_b32 v[69:70], v62 offset0:4 offset1:5
	s_add_i32 s19, s8, -1
	s_waitcnt lgkmcnt(2)
	v_fmac_f32_e32 v61, v71, v65
	s_set_gpr_idx_on s18, gpr_idx(SRC0)
	v_mov_b32_e32 v71, v16
	s_set_gpr_idx_off
	v_fmac_f32_e32 v61, v72, v66
	s_set_gpr_idx_on s19, gpr_idx(SRC0)
	v_mov_b32_e32 v72, v16
	s_set_gpr_idx_off
	ds_read2_b32 v[65:66], v62 offset0:6 offset1:7
	s_waitcnt lgkmcnt(2)
	v_fmac_f32_e32 v61, v73, v67
	s_set_gpr_idx_on s8, gpr_idx(SRC0)
	v_mov_b32_e32 v67, v16
	s_set_gpr_idx_off
	v_fmac_f32_e32 v61, v74, v68
	s_add_u32 s8, s8, 8
	s_waitcnt lgkmcnt(1)
	v_fmac_f32_e32 v61, v75, v69
	v_add_u32_e32 v62, s8, v64
	v_fmac_f32_e32 v61, v71, v70
	s_addc_u32 s9, s9, 0
	s_add_i32 s12, s12, 32
	s_add_i32 s13, s8, -7
	v_cmp_eq_u32_e32 vcc, 16, v62
	s_waitcnt lgkmcnt(0)
	v_fmac_f32_e32 v61, v72, v65
	v_mov_b32_e32 v62, s13
	s_or_b64 s[10:11], vcc, s[10:11]
	v_fmac_f32_e32 v61, v67, v66
	s_andn2_b64 exec, exec, s[10:11]
	s_cbranch_execnz .LBB13_57
; %bb.58:
	s_or_b64 exec, exec, s[10:11]
.LBB13_59:
	s_or_b64 exec, exec, s[2:3]
	v_and_b32_e32 v30, 7, v63
	v_cmp_ne_u32_e32 vcc, 0, v30
	s_and_saveexec_b64 s[8:9], vcc
	s_cbranch_execz .LBB13_63
; %bb.60:
	v_lshl_add_u32 v31, v62, 2, 64
	v_mov_b32_e32 v63, 0
	s_mov_b64 s[10:11], 0
.LBB13_61:                              ; =>This Inner Loop Header: Depth=1
	v_cmp_eq_u32_e32 vcc, 1, v62
	v_cndmask_b32_e32 v64, v16, v17, vcc
	v_add_u32_e32 v30, -1, v30
	v_cmp_eq_u32_e32 vcc, 2, v62
	v_cndmask_b32_e32 v64, v64, v18, vcc
	v_cmp_eq_u32_e32 vcc, 0, v30
	v_cmp_eq_u32_e64 s[2:3], 3, v62
	v_cndmask_b32_e64 v64, v64, v19, s[2:3]
	s_or_b64 s[10:11], vcc, s[10:11]
	v_cmp_eq_u32_e32 vcc, 4, v62
	v_cndmask_b32_e32 v64, v64, v20, vcc
	v_cmp_eq_u32_e32 vcc, 5, v62
	v_cndmask_b32_e32 v64, v64, v21, vcc
	;; [unrolled: 2-line block ×5, first 2 shown]
	v_cmp_eq_u32_e32 vcc, 9, v62
	ds_read_b32 v65, v31
	v_cndmask_b32_e32 v64, v64, v25, vcc
	v_cmp_eq_u32_e32 vcc, 10, v62
	v_cndmask_b32_e32 v64, v64, v26, vcc
	v_cmp_eq_u32_e32 vcc, 11, v62
	;; [unrolled: 2-line block ×4, first 2 shown]
	v_add_co_u32_e64 v62, s[2:3], 1, v62
	v_cndmask_b32_e32 v64, v64, v29, vcc
	v_add_u32_e32 v31, 4, v31
	v_addc_co_u32_e64 v63, s[2:3], 0, v63, s[2:3]
	s_waitcnt lgkmcnt(0)
	v_fmac_f32_e32 v61, v64, v65
	s_andn2_b64 exec, exec, s[10:11]
	s_cbranch_execnz .LBB13_61
; %bb.62:
	s_or_b64 exec, exec, s[10:11]
.LBB13_63:
	s_or_b64 exec, exec, s[8:9]
.LBB13_64:
	s_or_b64 exec, exec, s[6:7]
	v_mov_b32_e32 v24, 0
	ds_read_b32 v24, v24 offset:32
	s_waitcnt lgkmcnt(0)
	v_mul_f32_e32 v24, v61, v24
.LBB13_65:
	s_or_b64 exec, exec, s[4:5]
	v_cmp_lt_u32_e64 s[2:3], 7, v0
	ds_write_b32 v60, v23
	s_waitcnt lgkmcnt(0)
	; wave barrier
	s_and_saveexec_b64 s[4:5], s[2:3]
	s_cbranch_execz .LBB13_81
; %bb.66:
	s_andn2_b64 vcc, exec, s[28:29]
	s_cbranch_vccnz .LBB13_68
; %bb.67:
	v_cmp_eq_u32_e32 vcc, 1, v0
	v_cndmask_b32_e32 v61, v16, v17, vcc
	v_cmp_eq_u32_e32 vcc, 2, v0
	v_cndmask_b32_e32 v61, v61, v18, vcc
	;; [unrolled: 2-line block ×9, first 2 shown]
	v_cmp_eq_u32_e32 vcc, 10, v0
	ds_read_b32 v62, v60
	v_cndmask_b32_e32 v61, v61, v26, vcc
	v_cmp_eq_u32_e32 vcc, 11, v0
	v_cndmask_b32_e32 v61, v61, v27, vcc
	v_cmp_eq_u32_e32 vcc, 12, v0
	;; [unrolled: 2-line block ×3, first 2 shown]
	v_cndmask_b32_e32 v61, v61, v29, vcc
	s_waitcnt lgkmcnt(0)
	v_mul_f32_e32 v61, v61, v62
	s_cbranch_execz .LBB13_69
	s_branch .LBB13_70
.LBB13_68:
                                        ; implicit-def: $vgpr61
.LBB13_69:
	ds_read_b32 v61, v60
.LBB13_70:
	s_and_saveexec_b64 s[6:7], s[0:1]
	s_cbranch_execz .LBB13_80
; %bb.71:
	v_add_u32_e32 v62, -9, v0
	v_cmp_lt_u32_e32 vcc, 6, v62
	v_mov_b32_e32 v62, 8
	s_and_saveexec_b64 s[0:1], vcc
	s_cbranch_execz .LBB13_75
; %bb.72:
	v_and_b32_e32 v62, 8, v0
	v_sub_u32_e32 v63, 0, v62
	s_mov_b64 s[8:9], 15
	s_movk_i32 s12, 0x60
	s_mov_b64 s[10:11], 0
.LBB13_73:                              ; =>This Inner Loop Header: Depth=1
	s_add_i32 s13, s8, -7
	v_mov_b32_e32 v62, s12
	s_add_i32 s14, s8, -6
	s_set_gpr_idx_on s13, gpr_idx(SRC0)
	v_mov_b32_e32 v72, v16
	s_set_gpr_idx_off
	s_add_i32 s15, s8, -5
	ds_read_b128 v[64:67], v62
	ds_read_b128 v[68:71], v62 offset:16
	s_set_gpr_idx_on s14, gpr_idx(SRC0)
	v_mov_b32_e32 v62, v16
	s_set_gpr_idx_off
	s_add_i32 s16, s8, -4
	s_set_gpr_idx_on s15, gpr_idx(SRC0)
	v_mov_b32_e32 v73, v16
	s_set_gpr_idx_off
	s_add_i32 s17, s8, -3
	;; [unrolled: 4-line block ×4, first 2 shown]
	s_waitcnt lgkmcnt(1)
	v_fmac_f32_e32 v61, v72, v64
	s_set_gpr_idx_on s18, gpr_idx(SRC0)
	v_mov_b32_e32 v64, v16
	s_set_gpr_idx_off
	v_fmac_f32_e32 v61, v62, v65
	s_set_gpr_idx_on s19, gpr_idx(SRC0)
	v_mov_b32_e32 v65, v16
	s_set_gpr_idx_off
	;; [unrolled: 4-line block ×3, first 2 shown]
	v_fmac_f32_e32 v61, v74, v67
	s_add_u32 s8, s8, 8
	s_waitcnt lgkmcnt(0)
	v_fmac_f32_e32 v61, v75, v68
	v_add_u32_e32 v62, s8, v63
	v_fmac_f32_e32 v61, v64, v69
	s_addc_u32 s9, s9, 0
	s_add_i32 s12, s12, 32
	s_add_i32 s13, s8, -7
	v_cmp_eq_u32_e32 vcc, 7, v62
	v_fmac_f32_e32 v61, v65, v70
	v_mov_b32_e32 v62, s13
	s_or_b64 s[10:11], vcc, s[10:11]
	v_fmac_f32_e32 v61, v66, v71
	s_andn2_b64 exec, exec, s[10:11]
	s_cbranch_execnz .LBB13_73
; %bb.74:
	s_or_b64 exec, exec, s[10:11]
.LBB13_75:
	s_or_b64 exec, exec, s[0:1]
	v_and_b32_e32 v30, 7, v0
	v_cmp_ne_u32_e32 vcc, 0, v30
	s_and_saveexec_b64 s[8:9], vcc
	s_cbranch_execz .LBB13_79
; %bb.76:
	v_lshl_add_u32 v31, v62, 2, 64
	v_mov_b32_e32 v63, 0
	s_mov_b64 s[10:11], 0
.LBB13_77:                              ; =>This Inner Loop Header: Depth=1
	v_cmp_eq_u32_e32 vcc, 1, v62
	v_cndmask_b32_e32 v64, v16, v17, vcc
	v_add_u32_e32 v30, -1, v30
	v_cmp_eq_u32_e32 vcc, 2, v62
	v_cndmask_b32_e32 v64, v64, v18, vcc
	v_cmp_eq_u32_e32 vcc, 0, v30
	v_cmp_eq_u32_e64 s[0:1], 3, v62
	v_cndmask_b32_e64 v64, v64, v19, s[0:1]
	s_or_b64 s[10:11], vcc, s[10:11]
	v_cmp_eq_u32_e32 vcc, 4, v62
	v_cndmask_b32_e32 v64, v64, v20, vcc
	v_cmp_eq_u32_e32 vcc, 5, v62
	v_cndmask_b32_e32 v64, v64, v21, vcc
	;; [unrolled: 2-line block ×5, first 2 shown]
	v_cmp_eq_u32_e32 vcc, 9, v62
	ds_read_b32 v65, v31
	v_cndmask_b32_e32 v64, v64, v25, vcc
	v_cmp_eq_u32_e32 vcc, 10, v62
	v_cndmask_b32_e32 v64, v64, v26, vcc
	v_cmp_eq_u32_e32 vcc, 11, v62
	;; [unrolled: 2-line block ×4, first 2 shown]
	v_add_co_u32_e64 v62, s[0:1], 1, v62
	v_cndmask_b32_e32 v64, v64, v29, vcc
	v_add_u32_e32 v31, 4, v31
	v_addc_co_u32_e64 v63, s[0:1], 0, v63, s[0:1]
	s_waitcnt lgkmcnt(0)
	v_fmac_f32_e32 v61, v64, v65
	s_andn2_b64 exec, exec, s[10:11]
	s_cbranch_execnz .LBB13_77
; %bb.78:
	s_or_b64 exec, exec, s[10:11]
.LBB13_79:
	s_or_b64 exec, exec, s[8:9]
.LBB13_80:
	s_or_b64 exec, exec, s[6:7]
	v_mov_b32_e32 v23, 0
	ds_read_b32 v23, v23 offset:28
	s_waitcnt lgkmcnt(0)
	v_mul_f32_e32 v23, v61, v23
.LBB13_81:
	s_or_b64 exec, exec, s[4:5]
	v_cmp_lt_u32_e64 s[0:1], 6, v0
	ds_write_b32 v60, v22
	s_waitcnt lgkmcnt(0)
	; wave barrier
	s_and_saveexec_b64 s[4:5], s[0:1]
	s_cbranch_execz .LBB13_97
; %bb.82:
	s_andn2_b64 vcc, exec, s[28:29]
	s_cbranch_vccnz .LBB13_84
; %bb.83:
	v_cmp_eq_u32_e32 vcc, 1, v0
	v_cndmask_b32_e32 v61, v16, v17, vcc
	v_cmp_eq_u32_e32 vcc, 2, v0
	v_cndmask_b32_e32 v61, v61, v18, vcc
	v_cmp_eq_u32_e32 vcc, 3, v0
	v_cndmask_b32_e32 v61, v61, v19, vcc
	v_cmp_eq_u32_e32 vcc, 4, v0
	v_cndmask_b32_e32 v61, v61, v20, vcc
	v_cmp_eq_u32_e32 vcc, 5, v0
	v_cndmask_b32_e32 v61, v61, v21, vcc
	v_cmp_eq_u32_e32 vcc, 6, v0
	v_cndmask_b32_e32 v61, v61, v22, vcc
	v_cmp_eq_u32_e32 vcc, 7, v0
	v_cndmask_b32_e32 v61, v61, v23, vcc
	v_cmp_eq_u32_e32 vcc, 8, v0
	v_cndmask_b32_e32 v61, v61, v24, vcc
	v_cmp_eq_u32_e32 vcc, 9, v0
	v_cndmask_b32_e32 v61, v61, v25, vcc
	v_cmp_eq_u32_e32 vcc, 10, v0
	ds_read_b32 v62, v60
	v_cndmask_b32_e32 v61, v61, v26, vcc
	v_cmp_eq_u32_e32 vcc, 11, v0
	v_cndmask_b32_e32 v61, v61, v27, vcc
	v_cmp_eq_u32_e32 vcc, 12, v0
	;; [unrolled: 2-line block ×3, first 2 shown]
	v_cndmask_b32_e32 v61, v61, v29, vcc
	s_waitcnt lgkmcnt(0)
	v_mul_f32_e32 v61, v61, v62
	s_cbranch_execz .LBB13_85
	s_branch .LBB13_86
.LBB13_84:
                                        ; implicit-def: $vgpr61
.LBB13_85:
	ds_read_b32 v61, v60
.LBB13_86:
	s_and_saveexec_b64 s[6:7], s[2:3]
	s_cbranch_execz .LBB13_96
; %bb.87:
	v_add_u32_e32 v62, -8, v0
	v_add_u32_e32 v63, -7, v0
	v_cmp_lt_u32_e32 vcc, 6, v62
	v_mov_b32_e32 v62, 7
	s_and_saveexec_b64 s[2:3], vcc
	s_cbranch_execz .LBB13_91
; %bb.88:
	v_and_b32_e32 v62, -8, v63
	v_sub_u32_e32 v64, 0, v62
	s_mov_b64 s[8:9], 14
	s_movk_i32 s12, 0x5c
	s_mov_b64 s[10:11], 0
.LBB13_89:                              ; =>This Inner Loop Header: Depth=1
	s_add_i32 s13, s8, -7
	v_mov_b32_e32 v62, s12
	s_add_i32 s14, s8, -6
	s_set_gpr_idx_on s13, gpr_idx(SRC0)
	v_mov_b32_e32 v71, v16
	s_set_gpr_idx_off
	ds_read2_b32 v[65:66], v62 offset1:1
	s_add_i32 s15, s8, -5
	s_set_gpr_idx_on s14, gpr_idx(SRC0)
	v_mov_b32_e32 v72, v16
	s_set_gpr_idx_off
	s_add_i32 s16, s8, -4
	s_set_gpr_idx_on s15, gpr_idx(SRC0)
	v_mov_b32_e32 v73, v16
	s_set_gpr_idx_off
	ds_read2_b32 v[67:68], v62 offset0:2 offset1:3
	s_add_i32 s17, s8, -3
	s_set_gpr_idx_on s16, gpr_idx(SRC0)
	v_mov_b32_e32 v74, v16
	s_set_gpr_idx_off
	s_add_i32 s18, s8, -2
	s_set_gpr_idx_on s17, gpr_idx(SRC0)
	v_mov_b32_e32 v75, v16
	s_set_gpr_idx_off
	ds_read2_b32 v[69:70], v62 offset0:4 offset1:5
	s_add_i32 s19, s8, -1
	s_waitcnt lgkmcnt(2)
	v_fmac_f32_e32 v61, v71, v65
	s_set_gpr_idx_on s18, gpr_idx(SRC0)
	v_mov_b32_e32 v71, v16
	s_set_gpr_idx_off
	v_fmac_f32_e32 v61, v72, v66
	s_set_gpr_idx_on s19, gpr_idx(SRC0)
	v_mov_b32_e32 v72, v16
	s_set_gpr_idx_off
	ds_read2_b32 v[65:66], v62 offset0:6 offset1:7
	s_waitcnt lgkmcnt(2)
	v_fmac_f32_e32 v61, v73, v67
	s_set_gpr_idx_on s8, gpr_idx(SRC0)
	v_mov_b32_e32 v67, v16
	s_set_gpr_idx_off
	v_fmac_f32_e32 v61, v74, v68
	s_add_u32 s8, s8, 8
	s_waitcnt lgkmcnt(1)
	v_fmac_f32_e32 v61, v75, v69
	v_add_u32_e32 v62, s8, v64
	v_fmac_f32_e32 v61, v71, v70
	s_addc_u32 s9, s9, 0
	s_add_i32 s12, s12, 32
	s_add_i32 s13, s8, -7
	v_cmp_eq_u32_e32 vcc, 14, v62
	s_waitcnt lgkmcnt(0)
	v_fmac_f32_e32 v61, v72, v65
	v_mov_b32_e32 v62, s13
	s_or_b64 s[10:11], vcc, s[10:11]
	v_fmac_f32_e32 v61, v67, v66
	s_andn2_b64 exec, exec, s[10:11]
	s_cbranch_execnz .LBB13_89
; %bb.90:
	s_or_b64 exec, exec, s[10:11]
.LBB13_91:
	s_or_b64 exec, exec, s[2:3]
	v_and_b32_e32 v30, 7, v63
	v_cmp_ne_u32_e32 vcc, 0, v30
	s_and_saveexec_b64 s[8:9], vcc
	s_cbranch_execz .LBB13_95
; %bb.92:
	v_lshl_add_u32 v31, v62, 2, 64
	v_mov_b32_e32 v63, 0
	s_mov_b64 s[10:11], 0
.LBB13_93:                              ; =>This Inner Loop Header: Depth=1
	v_cmp_eq_u32_e32 vcc, 1, v62
	v_cndmask_b32_e32 v64, v16, v17, vcc
	v_add_u32_e32 v30, -1, v30
	v_cmp_eq_u32_e32 vcc, 2, v62
	v_cndmask_b32_e32 v64, v64, v18, vcc
	v_cmp_eq_u32_e32 vcc, 0, v30
	v_cmp_eq_u32_e64 s[2:3], 3, v62
	v_cndmask_b32_e64 v64, v64, v19, s[2:3]
	s_or_b64 s[10:11], vcc, s[10:11]
	v_cmp_eq_u32_e32 vcc, 4, v62
	v_cndmask_b32_e32 v64, v64, v20, vcc
	v_cmp_eq_u32_e32 vcc, 5, v62
	v_cndmask_b32_e32 v64, v64, v21, vcc
	;; [unrolled: 2-line block ×5, first 2 shown]
	v_cmp_eq_u32_e32 vcc, 9, v62
	ds_read_b32 v65, v31
	v_cndmask_b32_e32 v64, v64, v25, vcc
	v_cmp_eq_u32_e32 vcc, 10, v62
	v_cndmask_b32_e32 v64, v64, v26, vcc
	v_cmp_eq_u32_e32 vcc, 11, v62
	;; [unrolled: 2-line block ×4, first 2 shown]
	v_add_co_u32_e64 v62, s[2:3], 1, v62
	v_cndmask_b32_e32 v64, v64, v29, vcc
	v_add_u32_e32 v31, 4, v31
	v_addc_co_u32_e64 v63, s[2:3], 0, v63, s[2:3]
	s_waitcnt lgkmcnt(0)
	v_fmac_f32_e32 v61, v64, v65
	s_andn2_b64 exec, exec, s[10:11]
	s_cbranch_execnz .LBB13_93
; %bb.94:
	s_or_b64 exec, exec, s[10:11]
.LBB13_95:
	s_or_b64 exec, exec, s[8:9]
.LBB13_96:
	s_or_b64 exec, exec, s[6:7]
	v_mov_b32_e32 v22, 0
	ds_read_b32 v22, v22 offset:24
	s_waitcnt lgkmcnt(0)
	v_mul_f32_e32 v22, v61, v22
.LBB13_97:
	s_or_b64 exec, exec, s[4:5]
	v_cmp_lt_u32_e64 s[2:3], 5, v0
	ds_write_b32 v60, v21
	s_waitcnt lgkmcnt(0)
	; wave barrier
	s_and_saveexec_b64 s[4:5], s[2:3]
	s_cbranch_execz .LBB13_113
; %bb.98:
	s_andn2_b64 vcc, exec, s[28:29]
	s_cbranch_vccnz .LBB13_100
; %bb.99:
	v_cmp_eq_u32_e32 vcc, 1, v0
	v_cndmask_b32_e32 v61, v16, v17, vcc
	v_cmp_eq_u32_e32 vcc, 2, v0
	v_cndmask_b32_e32 v61, v61, v18, vcc
	;; [unrolled: 2-line block ×9, first 2 shown]
	v_cmp_eq_u32_e32 vcc, 10, v0
	ds_read_b32 v62, v60
	v_cndmask_b32_e32 v61, v61, v26, vcc
	v_cmp_eq_u32_e32 vcc, 11, v0
	v_cndmask_b32_e32 v61, v61, v27, vcc
	v_cmp_eq_u32_e32 vcc, 12, v0
	;; [unrolled: 2-line block ×3, first 2 shown]
	v_cndmask_b32_e32 v61, v61, v29, vcc
	s_waitcnt lgkmcnt(0)
	v_mul_f32_e32 v61, v61, v62
	s_cbranch_execz .LBB13_101
	s_branch .LBB13_102
.LBB13_100:
                                        ; implicit-def: $vgpr61
.LBB13_101:
	ds_read_b32 v61, v60
.LBB13_102:
	s_and_saveexec_b64 s[6:7], s[0:1]
	s_cbranch_execz .LBB13_112
; %bb.103:
	v_add_u32_e32 v64, -7, v0
	v_add_u32_e32 v63, -6, v0
	v_mov_b32_e32 v62, 6
	v_cmp_lt_u32_e32 vcc, 6, v64
	s_and_saveexec_b64 s[0:1], vcc
	s_cbranch_execz .LBB13_107
; %bb.104:
	v_and_b32_e32 v62, -8, v63
	v_sub_u32_e32 v64, 0, v62
	s_mov_b64 s[8:9], 13
	s_movk_i32 s12, 0x58
	s_mov_b64 s[10:11], 0
.LBB13_105:                             ; =>This Inner Loop Header: Depth=1
	s_add_i32 s13, s8, -7
	v_mov_b32_e32 v62, s12
	s_add_i32 s14, s8, -6
	s_set_gpr_idx_on s13, gpr_idx(SRC0)
	v_mov_b32_e32 v73, v16
	s_set_gpr_idx_off
	ds_read2_b64 v[65:68], v62 offset1:1
	s_add_i32 s15, s8, -5
	s_set_gpr_idx_on s14, gpr_idx(SRC0)
	v_mov_b32_e32 v74, v16
	s_set_gpr_idx_off
	s_add_i32 s16, s8, -4
	s_set_gpr_idx_on s15, gpr_idx(SRC0)
	v_mov_b32_e32 v75, v16
	s_set_gpr_idx_off
	;; [unrolled: 4-line block ×4, first 2 shown]
	ds_read2_b64 v[69:72], v62 offset0:2 offset1:3
	s_add_i32 s19, s8, -1
	s_waitcnt lgkmcnt(1)
	v_fmac_f32_e32 v61, v73, v65
	s_set_gpr_idx_on s18, gpr_idx(SRC0)
	v_mov_b32_e32 v65, v16
	s_set_gpr_idx_off
	v_fmac_f32_e32 v61, v74, v66
	s_set_gpr_idx_on s19, gpr_idx(SRC0)
	v_mov_b32_e32 v66, v16
	s_set_gpr_idx_off
	;; [unrolled: 4-line block ×3, first 2 shown]
	v_fmac_f32_e32 v61, v76, v68
	s_add_u32 s8, s8, 8
	s_waitcnt lgkmcnt(0)
	v_fmac_f32_e32 v61, v77, v69
	v_add_u32_e32 v62, s8, v64
	v_fmac_f32_e32 v61, v65, v70
	s_addc_u32 s9, s9, 0
	s_add_i32 s12, s12, 32
	s_add_i32 s13, s8, -7
	v_cmp_eq_u32_e32 vcc, 13, v62
	v_fmac_f32_e32 v61, v66, v71
	v_mov_b32_e32 v62, s13
	s_or_b64 s[10:11], vcc, s[10:11]
	v_fmac_f32_e32 v61, v67, v72
	s_andn2_b64 exec, exec, s[10:11]
	s_cbranch_execnz .LBB13_105
; %bb.106:
	s_or_b64 exec, exec, s[10:11]
.LBB13_107:
	s_or_b64 exec, exec, s[0:1]
	v_and_b32_e32 v30, 7, v63
	v_cmp_ne_u32_e32 vcc, 0, v30
	s_and_saveexec_b64 s[8:9], vcc
	s_cbranch_execz .LBB13_111
; %bb.108:
	v_lshl_add_u32 v31, v62, 2, 64
	v_mov_b32_e32 v63, 0
	s_mov_b64 s[10:11], 0
.LBB13_109:                             ; =>This Inner Loop Header: Depth=1
	v_cmp_eq_u32_e32 vcc, 1, v62
	v_cndmask_b32_e32 v64, v16, v17, vcc
	v_add_u32_e32 v30, -1, v30
	v_cmp_eq_u32_e32 vcc, 2, v62
	v_cndmask_b32_e32 v64, v64, v18, vcc
	v_cmp_eq_u32_e32 vcc, 0, v30
	v_cmp_eq_u32_e64 s[0:1], 3, v62
	v_cndmask_b32_e64 v64, v64, v19, s[0:1]
	s_or_b64 s[10:11], vcc, s[10:11]
	v_cmp_eq_u32_e32 vcc, 4, v62
	v_cndmask_b32_e32 v64, v64, v20, vcc
	v_cmp_eq_u32_e32 vcc, 5, v62
	v_cndmask_b32_e32 v64, v64, v21, vcc
	;; [unrolled: 2-line block ×5, first 2 shown]
	v_cmp_eq_u32_e32 vcc, 9, v62
	ds_read_b32 v65, v31
	v_cndmask_b32_e32 v64, v64, v25, vcc
	v_cmp_eq_u32_e32 vcc, 10, v62
	v_cndmask_b32_e32 v64, v64, v26, vcc
	v_cmp_eq_u32_e32 vcc, 11, v62
	;; [unrolled: 2-line block ×4, first 2 shown]
	v_add_co_u32_e64 v62, s[0:1], 1, v62
	v_cndmask_b32_e32 v64, v64, v29, vcc
	v_add_u32_e32 v31, 4, v31
	v_addc_co_u32_e64 v63, s[0:1], 0, v63, s[0:1]
	s_waitcnt lgkmcnt(0)
	v_fmac_f32_e32 v61, v64, v65
	s_andn2_b64 exec, exec, s[10:11]
	s_cbranch_execnz .LBB13_109
; %bb.110:
	s_or_b64 exec, exec, s[10:11]
.LBB13_111:
	s_or_b64 exec, exec, s[8:9]
.LBB13_112:
	s_or_b64 exec, exec, s[6:7]
	v_mov_b32_e32 v21, 0
	ds_read_b32 v21, v21 offset:20
	s_waitcnt lgkmcnt(0)
	v_mul_f32_e32 v21, v61, v21
.LBB13_113:
	s_or_b64 exec, exec, s[4:5]
	v_cmp_lt_u32_e64 s[0:1], 4, v0
	ds_write_b32 v60, v20
	s_waitcnt lgkmcnt(0)
	; wave barrier
	s_and_saveexec_b64 s[4:5], s[0:1]
	s_cbranch_execz .LBB13_129
; %bb.114:
	s_andn2_b64 vcc, exec, s[28:29]
	s_cbranch_vccnz .LBB13_116
; %bb.115:
	v_cmp_eq_u32_e32 vcc, 1, v0
	v_cndmask_b32_e32 v61, v16, v17, vcc
	v_cmp_eq_u32_e32 vcc, 2, v0
	v_cndmask_b32_e32 v61, v61, v18, vcc
	;; [unrolled: 2-line block ×9, first 2 shown]
	v_cmp_eq_u32_e32 vcc, 10, v0
	ds_read_b32 v62, v60
	v_cndmask_b32_e32 v61, v61, v26, vcc
	v_cmp_eq_u32_e32 vcc, 11, v0
	v_cndmask_b32_e32 v61, v61, v27, vcc
	v_cmp_eq_u32_e32 vcc, 12, v0
	;; [unrolled: 2-line block ×3, first 2 shown]
	v_cndmask_b32_e32 v61, v61, v29, vcc
	s_waitcnt lgkmcnt(0)
	v_mul_f32_e32 v61, v61, v62
	s_cbranch_execz .LBB13_117
	s_branch .LBB13_118
.LBB13_116:
                                        ; implicit-def: $vgpr61
.LBB13_117:
	ds_read_b32 v61, v60
.LBB13_118:
	s_and_saveexec_b64 s[6:7], s[2:3]
	s_cbranch_execz .LBB13_128
; %bb.119:
	v_add_u32_e32 v62, -6, v0
	v_add_u32_e32 v63, -5, v0
	v_cmp_lt_u32_e32 vcc, 6, v62
	v_mov_b32_e32 v62, 5
	s_and_saveexec_b64 s[2:3], vcc
	s_cbranch_execz .LBB13_123
; %bb.120:
	v_and_b32_e32 v62, -8, v63
	v_sub_u32_e32 v64, 0, v62
	s_mov_b64 s[8:9], 12
	s_movk_i32 s12, 0x54
	s_mov_b64 s[10:11], 0
.LBB13_121:                             ; =>This Inner Loop Header: Depth=1
	s_add_i32 s13, s8, -7
	v_mov_b32_e32 v62, s12
	s_add_i32 s14, s8, -6
	s_set_gpr_idx_on s13, gpr_idx(SRC0)
	v_mov_b32_e32 v71, v16
	s_set_gpr_idx_off
	ds_read2_b32 v[65:66], v62 offset1:1
	s_add_i32 s15, s8, -5
	s_set_gpr_idx_on s14, gpr_idx(SRC0)
	v_mov_b32_e32 v72, v16
	s_set_gpr_idx_off
	s_add_i32 s16, s8, -4
	s_set_gpr_idx_on s15, gpr_idx(SRC0)
	v_mov_b32_e32 v73, v16
	s_set_gpr_idx_off
	ds_read2_b32 v[67:68], v62 offset0:2 offset1:3
	s_add_i32 s17, s8, -3
	s_set_gpr_idx_on s16, gpr_idx(SRC0)
	v_mov_b32_e32 v74, v16
	s_set_gpr_idx_off
	s_add_i32 s18, s8, -2
	s_set_gpr_idx_on s17, gpr_idx(SRC0)
	v_mov_b32_e32 v75, v16
	s_set_gpr_idx_off
	ds_read2_b32 v[69:70], v62 offset0:4 offset1:5
	s_add_i32 s19, s8, -1
	s_waitcnt lgkmcnt(2)
	v_fmac_f32_e32 v61, v71, v65
	s_set_gpr_idx_on s18, gpr_idx(SRC0)
	v_mov_b32_e32 v71, v16
	s_set_gpr_idx_off
	v_fmac_f32_e32 v61, v72, v66
	s_set_gpr_idx_on s19, gpr_idx(SRC0)
	v_mov_b32_e32 v72, v16
	s_set_gpr_idx_off
	ds_read2_b32 v[65:66], v62 offset0:6 offset1:7
	s_waitcnt lgkmcnt(2)
	v_fmac_f32_e32 v61, v73, v67
	s_set_gpr_idx_on s8, gpr_idx(SRC0)
	v_mov_b32_e32 v67, v16
	s_set_gpr_idx_off
	v_fmac_f32_e32 v61, v74, v68
	s_add_u32 s8, s8, 8
	s_waitcnt lgkmcnt(1)
	v_fmac_f32_e32 v61, v75, v69
	v_add_u32_e32 v62, s8, v64
	v_fmac_f32_e32 v61, v71, v70
	s_addc_u32 s9, s9, 0
	s_add_i32 s12, s12, 32
	s_add_i32 s13, s8, -7
	v_cmp_eq_u32_e32 vcc, 12, v62
	s_waitcnt lgkmcnt(0)
	v_fmac_f32_e32 v61, v72, v65
	v_mov_b32_e32 v62, s13
	s_or_b64 s[10:11], vcc, s[10:11]
	v_fmac_f32_e32 v61, v67, v66
	s_andn2_b64 exec, exec, s[10:11]
	s_cbranch_execnz .LBB13_121
; %bb.122:
	s_or_b64 exec, exec, s[10:11]
.LBB13_123:
	s_or_b64 exec, exec, s[2:3]
	v_and_b32_e32 v30, 7, v63
	v_cmp_ne_u32_e32 vcc, 0, v30
	s_and_saveexec_b64 s[8:9], vcc
	s_cbranch_execz .LBB13_127
; %bb.124:
	v_lshl_add_u32 v31, v62, 2, 64
	v_mov_b32_e32 v63, 0
	s_mov_b64 s[10:11], 0
.LBB13_125:                             ; =>This Inner Loop Header: Depth=1
	v_cmp_eq_u32_e32 vcc, 1, v62
	v_cndmask_b32_e32 v64, v16, v17, vcc
	v_add_u32_e32 v30, -1, v30
	v_cmp_eq_u32_e32 vcc, 2, v62
	v_cndmask_b32_e32 v64, v64, v18, vcc
	v_cmp_eq_u32_e32 vcc, 0, v30
	v_cmp_eq_u32_e64 s[2:3], 3, v62
	v_cndmask_b32_e64 v64, v64, v19, s[2:3]
	s_or_b64 s[10:11], vcc, s[10:11]
	v_cmp_eq_u32_e32 vcc, 4, v62
	v_cndmask_b32_e32 v64, v64, v20, vcc
	v_cmp_eq_u32_e32 vcc, 5, v62
	v_cndmask_b32_e32 v64, v64, v21, vcc
	;; [unrolled: 2-line block ×5, first 2 shown]
	v_cmp_eq_u32_e32 vcc, 9, v62
	ds_read_b32 v65, v31
	v_cndmask_b32_e32 v64, v64, v25, vcc
	v_cmp_eq_u32_e32 vcc, 10, v62
	v_cndmask_b32_e32 v64, v64, v26, vcc
	v_cmp_eq_u32_e32 vcc, 11, v62
	;; [unrolled: 2-line block ×4, first 2 shown]
	v_add_co_u32_e64 v62, s[2:3], 1, v62
	v_cndmask_b32_e32 v64, v64, v29, vcc
	v_add_u32_e32 v31, 4, v31
	v_addc_co_u32_e64 v63, s[2:3], 0, v63, s[2:3]
	s_waitcnt lgkmcnt(0)
	v_fmac_f32_e32 v61, v64, v65
	s_andn2_b64 exec, exec, s[10:11]
	s_cbranch_execnz .LBB13_125
; %bb.126:
	s_or_b64 exec, exec, s[10:11]
.LBB13_127:
	s_or_b64 exec, exec, s[8:9]
.LBB13_128:
	s_or_b64 exec, exec, s[6:7]
	v_mov_b32_e32 v20, 0
	ds_read_b32 v20, v20 offset:16
	s_waitcnt lgkmcnt(0)
	v_mul_f32_e32 v20, v61, v20
.LBB13_129:
	s_or_b64 exec, exec, s[4:5]
	v_cmp_lt_u32_e64 s[2:3], 3, v0
	ds_write_b32 v60, v19
	s_waitcnt lgkmcnt(0)
	; wave barrier
	s_and_saveexec_b64 s[4:5], s[2:3]
	s_cbranch_execz .LBB13_145
; %bb.130:
	s_andn2_b64 vcc, exec, s[28:29]
	s_cbranch_vccnz .LBB13_132
; %bb.131:
	v_cmp_eq_u32_e32 vcc, 1, v0
	v_cndmask_b32_e32 v61, v16, v17, vcc
	v_cmp_eq_u32_e32 vcc, 2, v0
	v_cndmask_b32_e32 v61, v61, v18, vcc
	;; [unrolled: 2-line block ×9, first 2 shown]
	v_cmp_eq_u32_e32 vcc, 10, v0
	ds_read_b32 v62, v60
	v_cndmask_b32_e32 v61, v61, v26, vcc
	v_cmp_eq_u32_e32 vcc, 11, v0
	v_cndmask_b32_e32 v61, v61, v27, vcc
	v_cmp_eq_u32_e32 vcc, 12, v0
	;; [unrolled: 2-line block ×3, first 2 shown]
	v_cndmask_b32_e32 v61, v61, v29, vcc
	s_waitcnt lgkmcnt(0)
	v_mul_f32_e32 v61, v61, v62
	s_cbranch_execz .LBB13_133
	s_branch .LBB13_134
.LBB13_132:
                                        ; implicit-def: $vgpr61
.LBB13_133:
	ds_read_b32 v61, v60
.LBB13_134:
	s_and_saveexec_b64 s[6:7], s[0:1]
	s_cbranch_execz .LBB13_144
; %bb.135:
	v_add_u32_e32 v62, -5, v0
	v_add_u32_e32 v63, -4, v0
	v_cmp_lt_u32_e32 vcc, 6, v62
	v_mov_b32_e32 v62, 4
	s_and_saveexec_b64 s[0:1], vcc
	s_cbranch_execz .LBB13_139
; %bb.136:
	v_and_b32_e32 v62, -8, v63
	v_sub_u32_e32 v64, 0, v62
	s_mov_b64 s[8:9], 5
	s_movk_i32 s12, 0x50
	s_mov_b64 s[10:11], 0
.LBB13_137:                             ; =>This Inner Loop Header: Depth=1
	s_add_i32 s13, s8, -1
	v_mov_b32_e32 v62, s12
	s_set_gpr_idx_on s13, gpr_idx(SRC0)
	v_mov_b32_e32 v73, v16
	s_set_gpr_idx_off
	s_add_i32 s14, s8, 1
	ds_read_b128 v[65:68], v62
	ds_read_b128 v[69:72], v62 offset:16
	s_set_gpr_idx_on s8, gpr_idx(SRC0)
	v_mov_b32_e32 v74, v16
	s_set_gpr_idx_off
	s_add_i32 s15, s8, 2
	s_set_gpr_idx_on s14, gpr_idx(SRC0)
	v_mov_b32_e32 v75, v16
	s_set_gpr_idx_off
	s_add_i32 s16, s8, 3
	;; [unrolled: 4-line block ×4, first 2 shown]
	s_waitcnt lgkmcnt(1)
	v_fmac_f32_e32 v61, v73, v65
	s_set_gpr_idx_on s17, gpr_idx(SRC0)
	v_mov_b32_e32 v65, v16
	s_set_gpr_idx_off
	s_add_i32 s19, s8, 6
	v_fmac_f32_e32 v61, v74, v66
	s_set_gpr_idx_on s18, gpr_idx(SRC0)
	v_mov_b32_e32 v66, v16
	s_set_gpr_idx_off
	v_fmac_f32_e32 v61, v75, v67
	s_set_gpr_idx_on s19, gpr_idx(SRC0)
	v_mov_b32_e32 v67, v16
	s_set_gpr_idx_off
	v_fmac_f32_e32 v61, v76, v68
	s_add_u32 s8, s8, 8
	s_waitcnt lgkmcnt(0)
	v_fmac_f32_e32 v61, v77, v69
	v_add_u32_e32 v62, s8, v64
	v_fmac_f32_e32 v61, v65, v70
	s_addc_u32 s9, s9, 0
	s_add_i32 s12, s12, 32
	s_add_i32 s13, s8, -1
	v_cmp_eq_u32_e32 vcc, 5, v62
	v_fmac_f32_e32 v61, v66, v71
	v_mov_b32_e32 v62, s13
	s_or_b64 s[10:11], vcc, s[10:11]
	v_fmac_f32_e32 v61, v67, v72
	s_andn2_b64 exec, exec, s[10:11]
	s_cbranch_execnz .LBB13_137
; %bb.138:
	s_or_b64 exec, exec, s[10:11]
.LBB13_139:
	s_or_b64 exec, exec, s[0:1]
	v_and_b32_e32 v30, 7, v63
	v_cmp_ne_u32_e32 vcc, 0, v30
	s_and_saveexec_b64 s[8:9], vcc
	s_cbranch_execz .LBB13_143
; %bb.140:
	v_lshl_add_u32 v31, v62, 2, 64
	v_mov_b32_e32 v63, 0
	s_mov_b64 s[10:11], 0
.LBB13_141:                             ; =>This Inner Loop Header: Depth=1
	v_cmp_eq_u32_e32 vcc, 1, v62
	v_cndmask_b32_e32 v64, v16, v17, vcc
	v_add_u32_e32 v30, -1, v30
	v_cmp_eq_u32_e32 vcc, 2, v62
	v_cndmask_b32_e32 v64, v64, v18, vcc
	v_cmp_eq_u32_e32 vcc, 0, v30
	v_cmp_eq_u32_e64 s[0:1], 3, v62
	v_cndmask_b32_e64 v64, v64, v19, s[0:1]
	s_or_b64 s[10:11], vcc, s[10:11]
	v_cmp_eq_u32_e32 vcc, 4, v62
	v_cndmask_b32_e32 v64, v64, v20, vcc
	v_cmp_eq_u32_e32 vcc, 5, v62
	v_cndmask_b32_e32 v64, v64, v21, vcc
	;; [unrolled: 2-line block ×5, first 2 shown]
	v_cmp_eq_u32_e32 vcc, 9, v62
	ds_read_b32 v65, v31
	v_cndmask_b32_e32 v64, v64, v25, vcc
	v_cmp_eq_u32_e32 vcc, 10, v62
	v_cndmask_b32_e32 v64, v64, v26, vcc
	v_cmp_eq_u32_e32 vcc, 11, v62
	;; [unrolled: 2-line block ×4, first 2 shown]
	v_add_co_u32_e64 v62, s[0:1], 1, v62
	v_cndmask_b32_e32 v64, v64, v29, vcc
	v_add_u32_e32 v31, 4, v31
	v_addc_co_u32_e64 v63, s[0:1], 0, v63, s[0:1]
	s_waitcnt lgkmcnt(0)
	v_fmac_f32_e32 v61, v64, v65
	s_andn2_b64 exec, exec, s[10:11]
	s_cbranch_execnz .LBB13_141
; %bb.142:
	s_or_b64 exec, exec, s[10:11]
.LBB13_143:
	s_or_b64 exec, exec, s[8:9]
.LBB13_144:
	s_or_b64 exec, exec, s[6:7]
	v_mov_b32_e32 v19, 0
	ds_read_b32 v19, v19 offset:12
	s_waitcnt lgkmcnt(0)
	v_mul_f32_e32 v19, v61, v19
.LBB13_145:
	s_or_b64 exec, exec, s[4:5]
	v_cmp_lt_u32_e64 s[0:1], 2, v0
	ds_write_b32 v60, v18
	s_waitcnt lgkmcnt(0)
	; wave barrier
	s_and_saveexec_b64 s[4:5], s[0:1]
	s_cbranch_execz .LBB13_161
; %bb.146:
	s_andn2_b64 vcc, exec, s[28:29]
	s_cbranch_vccnz .LBB13_148
; %bb.147:
	v_cmp_eq_u32_e32 vcc, 1, v0
	v_cndmask_b32_e32 v61, v16, v17, vcc
	v_cmp_eq_u32_e32 vcc, 2, v0
	v_cndmask_b32_e32 v61, v61, v18, vcc
	;; [unrolled: 2-line block ×9, first 2 shown]
	v_cmp_eq_u32_e32 vcc, 10, v0
	ds_read_b32 v62, v60
	v_cndmask_b32_e32 v61, v61, v26, vcc
	v_cmp_eq_u32_e32 vcc, 11, v0
	v_cndmask_b32_e32 v61, v61, v27, vcc
	v_cmp_eq_u32_e32 vcc, 12, v0
	;; [unrolled: 2-line block ×3, first 2 shown]
	v_cndmask_b32_e32 v61, v61, v29, vcc
	s_waitcnt lgkmcnt(0)
	v_mul_f32_e32 v61, v61, v62
	s_cbranch_execz .LBB13_149
	s_branch .LBB13_150
.LBB13_148:
                                        ; implicit-def: $vgpr61
.LBB13_149:
	ds_read_b32 v61, v60
.LBB13_150:
	s_and_saveexec_b64 s[6:7], s[2:3]
	s_cbranch_execz .LBB13_160
; %bb.151:
	v_add_u32_e32 v62, -4, v0
	v_add_u32_e32 v63, -3, v0
	v_cmp_lt_u32_e32 vcc, 6, v62
	v_mov_b32_e32 v62, 3
	s_and_saveexec_b64 s[2:3], vcc
	s_cbranch_execz .LBB13_155
; %bb.152:
	v_and_b32_e32 v62, -8, v63
	v_sub_u32_e32 v64, 0, v62
	s_mov_b64 s[8:9], 10
	s_movk_i32 s12, 0x4c
	s_mov_b64 s[10:11], 0
.LBB13_153:                             ; =>This Inner Loop Header: Depth=1
	s_add_i32 s13, s8, -7
	v_mov_b32_e32 v62, s12
	s_add_i32 s14, s8, -6
	s_set_gpr_idx_on s13, gpr_idx(SRC0)
	v_mov_b32_e32 v71, v16
	s_set_gpr_idx_off
	ds_read2_b32 v[65:66], v62 offset1:1
	s_add_i32 s15, s8, -5
	s_set_gpr_idx_on s14, gpr_idx(SRC0)
	v_mov_b32_e32 v72, v16
	s_set_gpr_idx_off
	s_add_i32 s16, s8, -4
	s_set_gpr_idx_on s15, gpr_idx(SRC0)
	v_mov_b32_e32 v73, v16
	s_set_gpr_idx_off
	ds_read2_b32 v[67:68], v62 offset0:2 offset1:3
	s_add_i32 s17, s8, -3
	s_set_gpr_idx_on s16, gpr_idx(SRC0)
	v_mov_b32_e32 v74, v16
	s_set_gpr_idx_off
	s_add_i32 s18, s8, -2
	s_set_gpr_idx_on s17, gpr_idx(SRC0)
	v_mov_b32_e32 v75, v16
	s_set_gpr_idx_off
	ds_read2_b32 v[69:70], v62 offset0:4 offset1:5
	s_add_i32 s19, s8, -1
	s_waitcnt lgkmcnt(2)
	v_fmac_f32_e32 v61, v71, v65
	s_set_gpr_idx_on s18, gpr_idx(SRC0)
	v_mov_b32_e32 v71, v16
	s_set_gpr_idx_off
	v_fmac_f32_e32 v61, v72, v66
	s_set_gpr_idx_on s19, gpr_idx(SRC0)
	v_mov_b32_e32 v72, v16
	s_set_gpr_idx_off
	ds_read2_b32 v[65:66], v62 offset0:6 offset1:7
	s_waitcnt lgkmcnt(2)
	v_fmac_f32_e32 v61, v73, v67
	s_set_gpr_idx_on s8, gpr_idx(SRC0)
	v_mov_b32_e32 v67, v16
	s_set_gpr_idx_off
	v_fmac_f32_e32 v61, v74, v68
	s_add_u32 s8, s8, 8
	s_waitcnt lgkmcnt(1)
	v_fmac_f32_e32 v61, v75, v69
	v_add_u32_e32 v62, s8, v64
	v_fmac_f32_e32 v61, v71, v70
	s_addc_u32 s9, s9, 0
	s_add_i32 s12, s12, 32
	s_add_i32 s13, s8, -7
	v_cmp_eq_u32_e32 vcc, 10, v62
	s_waitcnt lgkmcnt(0)
	v_fmac_f32_e32 v61, v72, v65
	v_mov_b32_e32 v62, s13
	s_or_b64 s[10:11], vcc, s[10:11]
	v_fmac_f32_e32 v61, v67, v66
	s_andn2_b64 exec, exec, s[10:11]
	s_cbranch_execnz .LBB13_153
; %bb.154:
	s_or_b64 exec, exec, s[10:11]
.LBB13_155:
	s_or_b64 exec, exec, s[2:3]
	v_and_b32_e32 v30, 7, v63
	v_cmp_ne_u32_e32 vcc, 0, v30
	s_and_saveexec_b64 s[8:9], vcc
	s_cbranch_execz .LBB13_159
; %bb.156:
	v_lshl_add_u32 v31, v62, 2, 64
	v_mov_b32_e32 v63, 0
	s_mov_b64 s[10:11], 0
.LBB13_157:                             ; =>This Inner Loop Header: Depth=1
	v_cmp_eq_u32_e32 vcc, 1, v62
	v_cndmask_b32_e32 v64, v16, v17, vcc
	v_add_u32_e32 v30, -1, v30
	v_cmp_eq_u32_e32 vcc, 2, v62
	v_cndmask_b32_e32 v64, v64, v18, vcc
	v_cmp_eq_u32_e32 vcc, 0, v30
	v_cmp_eq_u32_e64 s[2:3], 3, v62
	v_cndmask_b32_e64 v64, v64, v19, s[2:3]
	s_or_b64 s[10:11], vcc, s[10:11]
	v_cmp_eq_u32_e32 vcc, 4, v62
	v_cndmask_b32_e32 v64, v64, v20, vcc
	v_cmp_eq_u32_e32 vcc, 5, v62
	v_cndmask_b32_e32 v64, v64, v21, vcc
	;; [unrolled: 2-line block ×5, first 2 shown]
	v_cmp_eq_u32_e32 vcc, 9, v62
	ds_read_b32 v65, v31
	v_cndmask_b32_e32 v64, v64, v25, vcc
	v_cmp_eq_u32_e32 vcc, 10, v62
	v_cndmask_b32_e32 v64, v64, v26, vcc
	v_cmp_eq_u32_e32 vcc, 11, v62
	;; [unrolled: 2-line block ×4, first 2 shown]
	v_add_co_u32_e64 v62, s[2:3], 1, v62
	v_cndmask_b32_e32 v64, v64, v29, vcc
	v_add_u32_e32 v31, 4, v31
	v_addc_co_u32_e64 v63, s[2:3], 0, v63, s[2:3]
	s_waitcnt lgkmcnt(0)
	v_fmac_f32_e32 v61, v64, v65
	s_andn2_b64 exec, exec, s[10:11]
	s_cbranch_execnz .LBB13_157
; %bb.158:
	s_or_b64 exec, exec, s[10:11]
.LBB13_159:
	s_or_b64 exec, exec, s[8:9]
.LBB13_160:
	s_or_b64 exec, exec, s[6:7]
	v_mov_b32_e32 v18, 0
	ds_read_b32 v18, v18 offset:8
	s_waitcnt lgkmcnt(0)
	v_mul_f32_e32 v18, v61, v18
.LBB13_161:
	s_or_b64 exec, exec, s[4:5]
	v_cmp_lt_u32_e64 s[2:3], 1, v0
	ds_write_b32 v60, v17
	s_waitcnt lgkmcnt(0)
	; wave barrier
	s_and_saveexec_b64 s[4:5], s[2:3]
	s_cbranch_execz .LBB13_177
; %bb.162:
	s_andn2_b64 vcc, exec, s[28:29]
	s_cbranch_vccnz .LBB13_164
; %bb.163:
	v_cmp_eq_u32_e32 vcc, 1, v0
	v_cndmask_b32_e32 v61, v16, v17, vcc
	v_cmp_eq_u32_e32 vcc, 2, v0
	v_cndmask_b32_e32 v61, v61, v18, vcc
	;; [unrolled: 2-line block ×9, first 2 shown]
	v_cmp_eq_u32_e32 vcc, 10, v0
	ds_read_b32 v62, v60
	v_cndmask_b32_e32 v61, v61, v26, vcc
	v_cmp_eq_u32_e32 vcc, 11, v0
	v_cndmask_b32_e32 v61, v61, v27, vcc
	v_cmp_eq_u32_e32 vcc, 12, v0
	;; [unrolled: 2-line block ×3, first 2 shown]
	v_cndmask_b32_e32 v61, v61, v29, vcc
	s_waitcnt lgkmcnt(0)
	v_mul_f32_e32 v61, v61, v62
	s_cbranch_execz .LBB13_165
	s_branch .LBB13_166
.LBB13_164:
                                        ; implicit-def: $vgpr61
.LBB13_165:
	ds_read_b32 v61, v60
.LBB13_166:
	s_and_saveexec_b64 s[6:7], s[0:1]
	s_cbranch_execz .LBB13_176
; %bb.167:
	v_add_u32_e32 v62, -3, v0
	v_add_u32_e32 v63, -2, v0
	v_cmp_lt_u32_e32 vcc, 6, v62
	v_mov_b32_e32 v62, 2
	s_and_saveexec_b64 s[0:1], vcc
	s_cbranch_execz .LBB13_171
; %bb.168:
	v_and_b32_e32 v62, -8, v63
	v_sub_u32_e32 v64, 0, v62
	s_mov_b64 s[8:9], 9
	s_movk_i32 s12, 0x48
	s_mov_b64 s[10:11], 0
.LBB13_169:                             ; =>This Inner Loop Header: Depth=1
	s_add_i32 s13, s8, -7
	v_mov_b32_e32 v62, s12
	s_add_i32 s14, s8, -6
	s_set_gpr_idx_on s13, gpr_idx(SRC0)
	v_mov_b32_e32 v73, v16
	s_set_gpr_idx_off
	ds_read2_b64 v[65:68], v62 offset1:1
	s_add_i32 s15, s8, -5
	s_set_gpr_idx_on s14, gpr_idx(SRC0)
	v_mov_b32_e32 v74, v16
	s_set_gpr_idx_off
	s_add_i32 s16, s8, -4
	s_set_gpr_idx_on s15, gpr_idx(SRC0)
	v_mov_b32_e32 v75, v16
	s_set_gpr_idx_off
	;; [unrolled: 4-line block ×4, first 2 shown]
	ds_read2_b64 v[69:72], v62 offset0:2 offset1:3
	s_add_i32 s19, s8, -1
	s_waitcnt lgkmcnt(1)
	v_fmac_f32_e32 v61, v73, v65
	s_set_gpr_idx_on s18, gpr_idx(SRC0)
	v_mov_b32_e32 v65, v16
	s_set_gpr_idx_off
	v_fmac_f32_e32 v61, v74, v66
	s_set_gpr_idx_on s19, gpr_idx(SRC0)
	v_mov_b32_e32 v66, v16
	s_set_gpr_idx_off
	;; [unrolled: 4-line block ×3, first 2 shown]
	v_fmac_f32_e32 v61, v76, v68
	s_add_u32 s8, s8, 8
	s_waitcnt lgkmcnt(0)
	v_fmac_f32_e32 v61, v77, v69
	v_add_u32_e32 v62, s8, v64
	v_fmac_f32_e32 v61, v65, v70
	s_addc_u32 s9, s9, 0
	s_add_i32 s12, s12, 32
	s_add_i32 s13, s8, -7
	v_cmp_eq_u32_e32 vcc, 9, v62
	v_fmac_f32_e32 v61, v66, v71
	v_mov_b32_e32 v62, s13
	s_or_b64 s[10:11], vcc, s[10:11]
	v_fmac_f32_e32 v61, v67, v72
	s_andn2_b64 exec, exec, s[10:11]
	s_cbranch_execnz .LBB13_169
; %bb.170:
	s_or_b64 exec, exec, s[10:11]
.LBB13_171:
	s_or_b64 exec, exec, s[0:1]
	v_and_b32_e32 v30, 7, v63
	v_cmp_ne_u32_e32 vcc, 0, v30
	s_and_saveexec_b64 s[8:9], vcc
	s_cbranch_execz .LBB13_175
; %bb.172:
	v_lshl_add_u32 v31, v62, 2, 64
	v_mov_b32_e32 v63, 0
	s_mov_b64 s[10:11], 0
.LBB13_173:                             ; =>This Inner Loop Header: Depth=1
	v_cmp_eq_u32_e32 vcc, 1, v62
	v_cndmask_b32_e32 v64, v16, v17, vcc
	v_add_u32_e32 v30, -1, v30
	v_cmp_eq_u32_e32 vcc, 2, v62
	v_cndmask_b32_e32 v64, v64, v18, vcc
	v_cmp_eq_u32_e32 vcc, 0, v30
	v_cmp_eq_u32_e64 s[0:1], 3, v62
	v_cndmask_b32_e64 v64, v64, v19, s[0:1]
	s_or_b64 s[10:11], vcc, s[10:11]
	v_cmp_eq_u32_e32 vcc, 4, v62
	v_cndmask_b32_e32 v64, v64, v20, vcc
	v_cmp_eq_u32_e32 vcc, 5, v62
	v_cndmask_b32_e32 v64, v64, v21, vcc
	;; [unrolled: 2-line block ×5, first 2 shown]
	v_cmp_eq_u32_e32 vcc, 9, v62
	ds_read_b32 v65, v31
	v_cndmask_b32_e32 v64, v64, v25, vcc
	v_cmp_eq_u32_e32 vcc, 10, v62
	v_cndmask_b32_e32 v64, v64, v26, vcc
	v_cmp_eq_u32_e32 vcc, 11, v62
	;; [unrolled: 2-line block ×4, first 2 shown]
	v_add_co_u32_e64 v62, s[0:1], 1, v62
	v_cndmask_b32_e32 v64, v64, v29, vcc
	v_add_u32_e32 v31, 4, v31
	v_addc_co_u32_e64 v63, s[0:1], 0, v63, s[0:1]
	s_waitcnt lgkmcnt(0)
	v_fmac_f32_e32 v61, v64, v65
	s_andn2_b64 exec, exec, s[10:11]
	s_cbranch_execnz .LBB13_173
; %bb.174:
	s_or_b64 exec, exec, s[10:11]
.LBB13_175:
	s_or_b64 exec, exec, s[8:9]
.LBB13_176:
	s_or_b64 exec, exec, s[6:7]
	v_mov_b32_e32 v17, 0
	ds_read_b32 v17, v17 offset:4
	s_waitcnt lgkmcnt(0)
	v_mul_f32_e32 v17, v61, v17
.LBB13_177:
	s_or_b64 exec, exec, s[4:5]
	v_cmp_ne_u32_e32 vcc, 0, v0
	ds_write_b32 v60, v16
	s_waitcnt lgkmcnt(0)
	; wave barrier
	s_and_saveexec_b64 s[4:5], vcc
	s_cbranch_execz .LBB13_193
; %bb.178:
	s_andn2_b64 vcc, exec, s[28:29]
	s_cbranch_vccnz .LBB13_180
; %bb.179:
	v_cmp_eq_u32_e32 vcc, 1, v0
	v_cndmask_b32_e32 v61, v16, v17, vcc
	v_cmp_eq_u32_e32 vcc, 2, v0
	v_cndmask_b32_e32 v61, v61, v18, vcc
	;; [unrolled: 2-line block ×9, first 2 shown]
	v_cmp_eq_u32_e32 vcc, 10, v0
	ds_read_b32 v62, v60
	v_cndmask_b32_e32 v61, v61, v26, vcc
	v_cmp_eq_u32_e32 vcc, 11, v0
	v_cndmask_b32_e32 v61, v61, v27, vcc
	v_cmp_eq_u32_e32 vcc, 12, v0
	;; [unrolled: 2-line block ×3, first 2 shown]
	v_cndmask_b32_e32 v61, v61, v29, vcc
	s_waitcnt lgkmcnt(0)
	v_mul_f32_e32 v61, v61, v62
	s_cbranch_execz .LBB13_181
	s_branch .LBB13_182
.LBB13_180:
                                        ; implicit-def: $vgpr61
.LBB13_181:
	ds_read_b32 v61, v60
.LBB13_182:
	s_and_saveexec_b64 s[6:7], s[2:3]
	s_cbranch_execz .LBB13_192
; %bb.183:
	v_add_u32_e32 v62, -2, v0
	v_add_u32_e32 v63, -1, v0
	v_cmp_lt_u32_e32 vcc, 6, v62
	v_mov_b32_e32 v62, 1
	s_and_saveexec_b64 s[0:1], vcc
	s_cbranch_execz .LBB13_187
; %bb.184:
	v_and_b32_e32 v62, -8, v63
	v_sub_u32_e32 v64, 0, v62
	s_mov_b64 s[2:3], 8
	s_movk_i32 s10, 0x44
	s_mov_b64 s[8:9], 0
.LBB13_185:                             ; =>This Inner Loop Header: Depth=1
	s_add_i32 s11, s2, -7
	v_mov_b32_e32 v62, s10
	s_add_i32 s12, s2, -6
	s_set_gpr_idx_on s11, gpr_idx(SRC0)
	v_mov_b32_e32 v71, v16
	s_set_gpr_idx_off
	ds_read2_b32 v[65:66], v62 offset1:1
	s_add_i32 s13, s2, -5
	s_set_gpr_idx_on s12, gpr_idx(SRC0)
	v_mov_b32_e32 v72, v16
	s_set_gpr_idx_off
	s_add_i32 s14, s2, -4
	s_set_gpr_idx_on s13, gpr_idx(SRC0)
	v_mov_b32_e32 v73, v16
	s_set_gpr_idx_off
	ds_read2_b32 v[67:68], v62 offset0:2 offset1:3
	s_add_i32 s15, s2, -3
	s_set_gpr_idx_on s14, gpr_idx(SRC0)
	v_mov_b32_e32 v74, v16
	s_set_gpr_idx_off
	s_add_i32 s16, s2, -2
	s_set_gpr_idx_on s15, gpr_idx(SRC0)
	v_mov_b32_e32 v75, v16
	s_set_gpr_idx_off
	ds_read2_b32 v[69:70], v62 offset0:4 offset1:5
	s_add_i32 s17, s2, -1
	s_waitcnt lgkmcnt(2)
	v_fmac_f32_e32 v61, v71, v65
	s_set_gpr_idx_on s16, gpr_idx(SRC0)
	v_mov_b32_e32 v71, v16
	s_set_gpr_idx_off
	v_fmac_f32_e32 v61, v72, v66
	s_set_gpr_idx_on s17, gpr_idx(SRC0)
	v_mov_b32_e32 v72, v16
	s_set_gpr_idx_off
	ds_read2_b32 v[65:66], v62 offset0:6 offset1:7
	s_waitcnt lgkmcnt(2)
	v_fmac_f32_e32 v61, v73, v67
	s_set_gpr_idx_on s2, gpr_idx(SRC0)
	v_mov_b32_e32 v67, v16
	s_set_gpr_idx_off
	v_fmac_f32_e32 v61, v74, v68
	s_add_u32 s2, s2, 8
	s_waitcnt lgkmcnt(1)
	v_fmac_f32_e32 v61, v75, v69
	v_add_u32_e32 v62, s2, v64
	v_fmac_f32_e32 v61, v71, v70
	s_addc_u32 s3, s3, 0
	s_add_i32 s10, s10, 32
	s_add_i32 s11, s2, -7
	v_cmp_eq_u32_e32 vcc, 8, v62
	s_waitcnt lgkmcnt(0)
	v_fmac_f32_e32 v61, v72, v65
	v_mov_b32_e32 v62, s11
	s_or_b64 s[8:9], vcc, s[8:9]
	v_fmac_f32_e32 v61, v67, v66
	s_andn2_b64 exec, exec, s[8:9]
	s_cbranch_execnz .LBB13_185
; %bb.186:
	s_or_b64 exec, exec, s[8:9]
.LBB13_187:
	s_or_b64 exec, exec, s[0:1]
	v_and_b32_e32 v30, 7, v63
	v_cmp_ne_u32_e32 vcc, 0, v30
	s_and_saveexec_b64 s[2:3], vcc
	s_cbranch_execz .LBB13_191
; %bb.188:
	v_lshl_add_u32 v31, v62, 2, 64
	v_mov_b32_e32 v63, 0
	s_mov_b64 s[8:9], 0
.LBB13_189:                             ; =>This Inner Loop Header: Depth=1
	v_cmp_eq_u32_e32 vcc, 1, v62
	v_cndmask_b32_e32 v64, v16, v17, vcc
	v_add_u32_e32 v30, -1, v30
	v_cmp_eq_u32_e32 vcc, 2, v62
	v_cndmask_b32_e32 v64, v64, v18, vcc
	v_cmp_eq_u32_e32 vcc, 0, v30
	v_cmp_eq_u32_e64 s[0:1], 3, v62
	v_cndmask_b32_e64 v64, v64, v19, s[0:1]
	s_or_b64 s[8:9], vcc, s[8:9]
	v_cmp_eq_u32_e32 vcc, 4, v62
	v_cndmask_b32_e32 v64, v64, v20, vcc
	v_cmp_eq_u32_e32 vcc, 5, v62
	v_cndmask_b32_e32 v64, v64, v21, vcc
	;; [unrolled: 2-line block ×5, first 2 shown]
	v_cmp_eq_u32_e32 vcc, 9, v62
	ds_read_b32 v65, v31
	v_cndmask_b32_e32 v64, v64, v25, vcc
	v_cmp_eq_u32_e32 vcc, 10, v62
	v_cndmask_b32_e32 v64, v64, v26, vcc
	v_cmp_eq_u32_e32 vcc, 11, v62
	;; [unrolled: 2-line block ×4, first 2 shown]
	v_add_co_u32_e64 v62, s[0:1], 1, v62
	v_cndmask_b32_e32 v64, v64, v29, vcc
	v_add_u32_e32 v31, 4, v31
	v_addc_co_u32_e64 v63, s[0:1], 0, v63, s[0:1]
	s_waitcnt lgkmcnt(0)
	v_fmac_f32_e32 v61, v64, v65
	s_andn2_b64 exec, exec, s[8:9]
	s_cbranch_execnz .LBB13_189
; %bb.190:
	s_or_b64 exec, exec, s[8:9]
.LBB13_191:
	s_or_b64 exec, exec, s[2:3]
.LBB13_192:
	s_or_b64 exec, exec, s[6:7]
	v_mov_b32_e32 v16, 0
	ds_read_b32 v16, v16
	s_waitcnt lgkmcnt(0)
	v_mul_f32_e32 v16, v61, v16
.LBB13_193:
	s_or_b64 exec, exec, s[4:5]
	s_branch .LBB13_327
.LBB13_194:
	v_cmp_eq_u32_e64 s[2:3], 0, v0
	s_waitcnt vmcnt(13)
	ds_write_b32 v60, v3
	s_waitcnt lgkmcnt(0)
	; wave barrier
	s_and_saveexec_b64 s[0:1], s[2:3]
	s_cbranch_execz .LBB13_200
; %bb.195:
	s_and_b64 vcc, exec, s[28:29]
	s_cbranch_vccz .LBB13_197
; %bb.196:
	v_cmp_eq_u32_e32 vcc, 1, v0
	s_waitcnt vmcnt(5)
	v_cndmask_b32_e32 v3, v2, v3, vcc
	v_cmp_eq_u32_e32 vcc, 2, v0
	v_cndmask_b32_e32 v3, v3, v4, vcc
	v_cmp_eq_u32_e32 vcc, 3, v0
	;; [unrolled: 2-line block ×8, first 2 shown]
	s_waitcnt vmcnt(4)
	v_cndmask_b32_e32 v3, v3, v11, vcc
	v_cmp_eq_u32_e32 vcc, 10, v0
	ds_read_b32 v16, v60
	s_waitcnt vmcnt(3)
	v_cndmask_b32_e32 v3, v3, v12, vcc
	v_cmp_eq_u32_e32 vcc, 11, v0
	s_waitcnt vmcnt(2)
	v_cndmask_b32_e32 v3, v3, v13, vcc
	v_cmp_eq_u32_e32 vcc, 12, v0
	;; [unrolled: 3-line block ×3, first 2 shown]
	s_waitcnt vmcnt(0)
	v_cndmask_b32_e32 v3, v3, v15, vcc
	s_waitcnt lgkmcnt(0)
	v_mul_f32_e32 v3, v3, v16
	s_cbranch_execz .LBB13_198
	s_branch .LBB13_199
.LBB13_197:
                                        ; implicit-def: $vgpr3
.LBB13_198:
	ds_read_b32 v3, v60
.LBB13_199:
	v_mov_b32_e32 v16, 0
	ds_read_b32 v16, v16 offset:4
	s_waitcnt lgkmcnt(0)
	v_mul_f32_e32 v3, v3, v16
.LBB13_200:
	s_or_b64 exec, exec, s[0:1]
	v_cndmask_b32_e64 v16, 0, 1, s[28:29]
	v_cmp_gt_u32_e32 vcc, 2, v0
	v_cmp_ne_u32_e64 s[0:1], 1, v16
	s_waitcnt vmcnt(12)
	ds_write_b32 v60, v4
	s_waitcnt lgkmcnt(0)
	; wave barrier
	s_and_saveexec_b64 s[4:5], vcc
	s_cbranch_execz .LBB13_206
; %bb.201:
	s_and_b64 vcc, exec, s[0:1]
	s_cbranch_vccnz .LBB13_203
; %bb.202:
	v_cmp_eq_u32_e32 vcc, 1, v0
	s_waitcnt vmcnt(5)
	v_cndmask_b32_e32 v16, v2, v3, vcc
	v_cmp_eq_u32_e32 vcc, 2, v0
	v_cndmask_b32_e32 v4, v16, v4, vcc
	v_cmp_eq_u32_e32 vcc, 3, v0
	;; [unrolled: 2-line block ×8, first 2 shown]
	s_waitcnt vmcnt(4)
	v_cndmask_b32_e32 v4, v4, v11, vcc
	v_cmp_eq_u32_e32 vcc, 10, v0
	ds_read_b32 v16, v60
	s_waitcnt vmcnt(3)
	v_cndmask_b32_e32 v4, v4, v12, vcc
	v_cmp_eq_u32_e32 vcc, 11, v0
	s_waitcnt vmcnt(2)
	v_cndmask_b32_e32 v4, v4, v13, vcc
	v_cmp_eq_u32_e32 vcc, 12, v0
	;; [unrolled: 3-line block ×3, first 2 shown]
	s_waitcnt vmcnt(0)
	v_cndmask_b32_e32 v4, v4, v15, vcc
	s_waitcnt lgkmcnt(0)
	v_mul_f32_e32 v4, v4, v16
	s_cbranch_execz .LBB13_204
	s_branch .LBB13_205
.LBB13_203:
                                        ; implicit-def: $vgpr4
.LBB13_204:
	ds_read_b32 v4, v60
.LBB13_205:
	v_mov_b32_e32 v16, 0
	ds_read2_b32 v[16:17], v16 offset0:2 offset1:17
	s_waitcnt lgkmcnt(0)
	v_fma_f32 v17, v3, v17, v4
	v_cndmask_b32_e64 v4, v4, v17, s[2:3]
	v_mul_f32_e32 v4, v4, v16
.LBB13_206:
	s_or_b64 exec, exec, s[4:5]
	v_add_u32_e32 v18, 1, v0
	v_cmp_gt_u32_e64 s[4:5], 3, v0
	s_waitcnt vmcnt(11)
	ds_write_b32 v60, v5
	s_waitcnt lgkmcnt(0)
	; wave barrier
	s_and_saveexec_b64 s[6:7], s[4:5]
	s_cbranch_execz .LBB13_214
; %bb.207:
	s_and_b64 vcc, exec, s[0:1]
	s_cbranch_vccnz .LBB13_209
; %bb.208:
	v_cmp_eq_u32_e32 vcc, 1, v0
	s_waitcnt vmcnt(5)
	v_cndmask_b32_e32 v16, v2, v3, vcc
	v_cmp_eq_u32_e32 vcc, 2, v0
	v_cndmask_b32_e32 v16, v16, v4, vcc
	v_cmp_eq_u32_e32 vcc, 3, v0
	;; [unrolled: 2-line block ×8, first 2 shown]
	s_waitcnt vmcnt(4)
	v_cndmask_b32_e32 v16, v16, v11, vcc
	v_cmp_eq_u32_e32 vcc, 10, v0
	ds_read_b32 v17, v60
	s_waitcnt vmcnt(3)
	v_cndmask_b32_e32 v16, v16, v12, vcc
	v_cmp_eq_u32_e32 vcc, 11, v0
	s_waitcnt vmcnt(2)
	v_cndmask_b32_e32 v16, v16, v13, vcc
	v_cmp_eq_u32_e32 vcc, 12, v0
	;; [unrolled: 3-line block ×3, first 2 shown]
	s_waitcnt vmcnt(0)
	v_cndmask_b32_e32 v16, v16, v15, vcc
	s_waitcnt lgkmcnt(0)
	v_mul_f32_e32 v16, v16, v17
	s_cbranch_execz .LBB13_210
	s_branch .LBB13_211
.LBB13_209:
                                        ; implicit-def: $vgpr16
.LBB13_210:
	ds_read_b32 v16, v60
.LBB13_211:
	v_cmp_ne_u32_e32 vcc, 2, v0
	s_and_saveexec_b64 s[8:9], vcc
	s_cbranch_execz .LBB13_213
; %bb.212:
	v_cmp_eq_u32_e32 vcc, 1, v18
	s_waitcnt vmcnt(5)
	v_cndmask_b32_e32 v17, v2, v3, vcc
	v_cmp_eq_u32_e32 vcc, 2, v18
	v_cndmask_b32_e32 v17, v17, v4, vcc
	v_cmp_eq_u32_e32 vcc, 3, v18
	v_cndmask_b32_e32 v5, v17, v5, vcc
	v_cmp_eq_u32_e32 vcc, 4, v18
	v_cndmask_b32_e32 v5, v5, v6, vcc
	v_cmp_eq_u32_e32 vcc, 5, v18
	v_cndmask_b32_e32 v5, v5, v7, vcc
	v_cmp_eq_u32_e32 vcc, 6, v18
	v_cndmask_b32_e32 v5, v5, v8, vcc
	v_cmp_eq_u32_e32 vcc, 7, v18
	v_cndmask_b32_e32 v5, v5, v9, vcc
	v_cmp_eq_u32_e32 vcc, 8, v18
	v_cndmask_b32_e32 v5, v5, v10, vcc
	v_cmp_eq_u32_e32 vcc, 9, v18
	s_waitcnt vmcnt(4)
	v_cndmask_b32_e32 v5, v5, v11, vcc
	v_cmp_eq_u32_e32 vcc, 10, v18
	v_mov_b32_e32 v17, 0
	s_waitcnt vmcnt(3)
	v_cndmask_b32_e32 v5, v5, v12, vcc
	v_cmp_eq_u32_e32 vcc, 11, v18
	ds_read_b32 v19, v60 offset:4
	ds_read_b32 v17, v17 offset:72
	s_waitcnt vmcnt(2)
	v_cndmask_b32_e32 v5, v5, v13, vcc
	v_cmp_eq_u32_e32 vcc, 12, v18
	s_waitcnt vmcnt(1)
	v_cndmask_b32_e32 v5, v5, v14, vcc
	v_cmp_eq_u32_e32 vcc, 13, v18
	s_waitcnt vmcnt(0)
	v_cndmask_b32_e32 v5, v5, v15, vcc
	s_waitcnt lgkmcnt(1)
	v_fmac_f32_e32 v16, v5, v19
	s_waitcnt lgkmcnt(0)
	v_fma_f32 v5, v4, v17, v16
	v_cndmask_b32_e64 v16, v16, v5, s[2:3]
.LBB13_213:
	s_or_b64 exec, exec, s[8:9]
	v_mov_b32_e32 v5, 0
	ds_read_b32 v5, v5 offset:12
	s_waitcnt lgkmcnt(0)
	v_mul_f32_e32 v5, v16, v5
.LBB13_214:
	s_or_b64 exec, exec, s[6:7]
	v_cmp_gt_u32_e32 vcc, 4, v0
	s_waitcnt vmcnt(10)
	ds_write_b32 v60, v6
	s_waitcnt lgkmcnt(0)
	; wave barrier
	s_and_saveexec_b64 s[8:9], vcc
	s_cbranch_execz .LBB13_224
; %bb.215:
	s_and_b64 vcc, exec, s[0:1]
	s_cbranch_vccnz .LBB13_217
; %bb.216:
	v_cmp_eq_u32_e32 vcc, 1, v0
	s_waitcnt vmcnt(5)
	v_cndmask_b32_e32 v16, v2, v3, vcc
	v_cmp_eq_u32_e32 vcc, 2, v0
	v_cndmask_b32_e32 v16, v16, v4, vcc
	v_cmp_eq_u32_e32 vcc, 3, v0
	;; [unrolled: 2-line block ×8, first 2 shown]
	s_waitcnt vmcnt(4)
	v_cndmask_b32_e32 v16, v16, v11, vcc
	v_cmp_eq_u32_e32 vcc, 10, v0
	ds_read_b32 v17, v60
	s_waitcnt vmcnt(3)
	v_cndmask_b32_e32 v16, v16, v12, vcc
	v_cmp_eq_u32_e32 vcc, 11, v0
	s_waitcnt vmcnt(2)
	v_cndmask_b32_e32 v16, v16, v13, vcc
	v_cmp_eq_u32_e32 vcc, 12, v0
	;; [unrolled: 3-line block ×3, first 2 shown]
	s_waitcnt vmcnt(0)
	v_cndmask_b32_e32 v16, v16, v15, vcc
	s_waitcnt lgkmcnt(0)
	v_mul_f32_e32 v19, v16, v17
	s_cbranch_execz .LBB13_218
	s_branch .LBB13_219
.LBB13_217:
                                        ; implicit-def: $vgpr19
.LBB13_218:
	ds_read_b32 v19, v60
.LBB13_219:
	v_cmp_ne_u32_e32 vcc, 3, v0
	s_and_saveexec_b64 s[10:11], vcc
	s_cbranch_execz .LBB13_223
; %bb.220:
	v_mov_b32_e32 v16, 0x44
	v_lshl_add_u32 v20, v0, 2, v16
	v_mov_b32_e32 v17, v1
	s_mov_b64 s[12:13], 0
	v_mov_b32_e32 v16, v0
.LBB13_221:                             ; =>This Inner Loop Header: Depth=1
	v_add_co_u32_e32 v16, vcc, 1, v16
	v_addc_co_u32_e32 v17, vcc, 0, v17, vcc
	v_cmp_eq_u32_e32 vcc, 1, v16
	s_waitcnt vmcnt(5)
	v_cndmask_b32_e32 v22, v2, v3, vcc
	v_cmp_lt_u32_e32 vcc, 2, v16
	v_cmp_eq_u32_e64 s[6:7], 2, v16
	v_cndmask_b32_e64 v22, v22, v4, s[6:7]
	s_or_b64 s[12:13], vcc, s[12:13]
	v_cmp_eq_u32_e32 vcc, 3, v16
	v_cndmask_b32_e32 v22, v22, v5, vcc
	v_cmp_eq_u32_e32 vcc, 4, v16
	v_cndmask_b32_e32 v22, v22, v6, vcc
	;; [unrolled: 2-line block ×6, first 2 shown]
	v_cmp_eq_u32_e32 vcc, 9, v16
	ds_read_b32 v21, v20
	s_waitcnt vmcnt(4)
	v_cndmask_b32_e32 v22, v22, v11, vcc
	v_cmp_eq_u32_e32 vcc, 10, v16
	s_waitcnt vmcnt(3)
	v_cndmask_b32_e32 v22, v22, v12, vcc
	v_cmp_eq_u32_e32 vcc, 11, v16
	;; [unrolled: 3-line block ×4, first 2 shown]
	s_waitcnt vmcnt(0)
	v_cndmask_b32_e32 v22, v22, v15, vcc
	v_add_u32_e32 v20, 4, v20
	s_waitcnt lgkmcnt(0)
	v_fmac_f32_e32 v19, v22, v21
	s_andn2_b64 exec, exec, s[12:13]
	s_cbranch_execnz .LBB13_221
; %bb.222:
	s_or_b64 exec, exec, s[12:13]
.LBB13_223:
	s_or_b64 exec, exec, s[10:11]
	v_mov_b32_e32 v6, 0
	ds_read_b32 v6, v6 offset:16
	s_waitcnt lgkmcnt(0)
	v_mul_f32_e32 v6, v19, v6
.LBB13_224:
	s_or_b64 exec, exec, s[8:9]
	v_cmp_gt_u32_e64 s[6:7], 5, v0
	s_waitcnt vmcnt(9)
	ds_write_b32 v60, v7
	s_waitcnt lgkmcnt(0)
	; wave barrier
	s_and_saveexec_b64 s[10:11], s[6:7]
	s_cbranch_execz .LBB13_234
; %bb.225:
	s_and_b64 vcc, exec, s[0:1]
	s_cbranch_vccnz .LBB13_227
; %bb.226:
	v_cmp_eq_u32_e32 vcc, 1, v0
	s_waitcnt vmcnt(5)
	v_cndmask_b32_e32 v16, v2, v3, vcc
	v_cmp_eq_u32_e32 vcc, 2, v0
	v_cndmask_b32_e32 v16, v16, v4, vcc
	v_cmp_eq_u32_e32 vcc, 3, v0
	;; [unrolled: 2-line block ×8, first 2 shown]
	s_waitcnt vmcnt(4)
	v_cndmask_b32_e32 v16, v16, v11, vcc
	v_cmp_eq_u32_e32 vcc, 10, v0
	ds_read_b32 v17, v60
	s_waitcnt vmcnt(3)
	v_cndmask_b32_e32 v16, v16, v12, vcc
	v_cmp_eq_u32_e32 vcc, 11, v0
	s_waitcnt vmcnt(2)
	v_cndmask_b32_e32 v16, v16, v13, vcc
	v_cmp_eq_u32_e32 vcc, 12, v0
	;; [unrolled: 3-line block ×3, first 2 shown]
	s_waitcnt vmcnt(0)
	v_cndmask_b32_e32 v16, v16, v15, vcc
	s_waitcnt lgkmcnt(0)
	v_mul_f32_e32 v19, v16, v17
	s_cbranch_execz .LBB13_228
	s_branch .LBB13_229
.LBB13_227:
                                        ; implicit-def: $vgpr19
.LBB13_228:
	ds_read_b32 v19, v60
.LBB13_229:
	v_cmp_ne_u32_e32 vcc, 4, v0
	s_and_saveexec_b64 s[12:13], vcc
	s_cbranch_execz .LBB13_233
; %bb.230:
	v_mov_b32_e32 v16, 0x44
	v_lshl_add_u32 v20, v0, 2, v16
	v_mov_b32_e32 v17, v1
	s_mov_b64 s[14:15], 0
	v_mov_b32_e32 v16, v0
.LBB13_231:                             ; =>This Inner Loop Header: Depth=1
	v_add_co_u32_e32 v16, vcc, 1, v16
	v_addc_co_u32_e32 v17, vcc, 0, v17, vcc
	v_cmp_eq_u32_e32 vcc, 1, v16
	s_waitcnt vmcnt(5)
	v_cndmask_b32_e32 v22, v2, v3, vcc
	v_cmp_lt_u32_e32 vcc, 3, v16
	v_cmp_eq_u32_e64 s[8:9], 2, v16
	v_cndmask_b32_e64 v22, v22, v4, s[8:9]
	s_or_b64 s[14:15], vcc, s[14:15]
	v_cmp_eq_u32_e32 vcc, 3, v16
	v_cndmask_b32_e32 v22, v22, v5, vcc
	v_cmp_eq_u32_e32 vcc, 4, v16
	v_cndmask_b32_e32 v22, v22, v6, vcc
	;; [unrolled: 2-line block ×6, first 2 shown]
	v_cmp_eq_u32_e32 vcc, 9, v16
	ds_read_b32 v21, v20
	s_waitcnt vmcnt(4)
	v_cndmask_b32_e32 v22, v22, v11, vcc
	v_cmp_eq_u32_e32 vcc, 10, v16
	s_waitcnt vmcnt(3)
	v_cndmask_b32_e32 v22, v22, v12, vcc
	v_cmp_eq_u32_e32 vcc, 11, v16
	;; [unrolled: 3-line block ×4, first 2 shown]
	s_waitcnt vmcnt(0)
	v_cndmask_b32_e32 v22, v22, v15, vcc
	v_add_u32_e32 v20, 4, v20
	s_waitcnt lgkmcnt(0)
	v_fmac_f32_e32 v19, v22, v21
	s_andn2_b64 exec, exec, s[14:15]
	s_cbranch_execnz .LBB13_231
; %bb.232:
	s_or_b64 exec, exec, s[14:15]
.LBB13_233:
	s_or_b64 exec, exec, s[12:13]
	v_mov_b32_e32 v7, 0
	ds_read_b32 v7, v7 offset:20
	s_waitcnt lgkmcnt(0)
	v_mul_f32_e32 v7, v19, v7
.LBB13_234:
	s_or_b64 exec, exec, s[10:11]
	v_cmp_gt_u32_e32 vcc, 6, v0
	s_waitcnt vmcnt(8)
	ds_write_b32 v60, v8
	s_waitcnt lgkmcnt(0)
	; wave barrier
	s_and_saveexec_b64 s[10:11], vcc
	s_cbranch_execz .LBB13_244
; %bb.235:
	s_and_b64 vcc, exec, s[0:1]
	s_cbranch_vccnz .LBB13_237
; %bb.236:
	v_cmp_eq_u32_e32 vcc, 1, v0
	s_waitcnt vmcnt(5)
	v_cndmask_b32_e32 v16, v2, v3, vcc
	v_cmp_eq_u32_e32 vcc, 2, v0
	v_cndmask_b32_e32 v16, v16, v4, vcc
	v_cmp_eq_u32_e32 vcc, 3, v0
	;; [unrolled: 2-line block ×8, first 2 shown]
	s_waitcnt vmcnt(4)
	v_cndmask_b32_e32 v16, v16, v11, vcc
	v_cmp_eq_u32_e32 vcc, 10, v0
	ds_read_b32 v17, v60
	s_waitcnt vmcnt(3)
	v_cndmask_b32_e32 v16, v16, v12, vcc
	v_cmp_eq_u32_e32 vcc, 11, v0
	s_waitcnt vmcnt(2)
	v_cndmask_b32_e32 v16, v16, v13, vcc
	v_cmp_eq_u32_e32 vcc, 12, v0
	;; [unrolled: 3-line block ×3, first 2 shown]
	s_waitcnt vmcnt(0)
	v_cndmask_b32_e32 v16, v16, v15, vcc
	s_waitcnt lgkmcnt(0)
	v_mul_f32_e32 v19, v16, v17
	s_cbranch_execz .LBB13_238
	s_branch .LBB13_239
.LBB13_237:
                                        ; implicit-def: $vgpr19
.LBB13_238:
	ds_read_b32 v19, v60
.LBB13_239:
	v_cmp_ne_u32_e32 vcc, 5, v0
	s_and_saveexec_b64 s[12:13], vcc
	s_cbranch_execz .LBB13_243
; %bb.240:
	v_mov_b32_e32 v16, 0x44
	v_lshl_add_u32 v20, v0, 2, v16
	v_mov_b32_e32 v17, v1
	s_mov_b64 s[14:15], 0
	v_mov_b32_e32 v16, v0
.LBB13_241:                             ; =>This Inner Loop Header: Depth=1
	v_add_co_u32_e32 v16, vcc, 1, v16
	v_addc_co_u32_e32 v17, vcc, 0, v17, vcc
	v_cmp_eq_u32_e32 vcc, 1, v16
	s_waitcnt vmcnt(5)
	v_cndmask_b32_e32 v22, v2, v3, vcc
	v_cmp_lt_u32_e32 vcc, 4, v16
	v_cmp_eq_u32_e64 s[8:9], 2, v16
	v_cndmask_b32_e64 v22, v22, v4, s[8:9]
	s_or_b64 s[14:15], vcc, s[14:15]
	v_cmp_eq_u32_e32 vcc, 3, v16
	v_cndmask_b32_e32 v22, v22, v5, vcc
	v_cmp_eq_u32_e32 vcc, 4, v16
	v_cndmask_b32_e32 v22, v22, v6, vcc
	;; [unrolled: 2-line block ×6, first 2 shown]
	v_cmp_eq_u32_e32 vcc, 9, v16
	ds_read_b32 v21, v20
	s_waitcnt vmcnt(4)
	v_cndmask_b32_e32 v22, v22, v11, vcc
	v_cmp_eq_u32_e32 vcc, 10, v16
	s_waitcnt vmcnt(3)
	v_cndmask_b32_e32 v22, v22, v12, vcc
	v_cmp_eq_u32_e32 vcc, 11, v16
	;; [unrolled: 3-line block ×4, first 2 shown]
	s_waitcnt vmcnt(0)
	v_cndmask_b32_e32 v22, v22, v15, vcc
	v_add_u32_e32 v20, 4, v20
	s_waitcnt lgkmcnt(0)
	v_fmac_f32_e32 v19, v22, v21
	s_andn2_b64 exec, exec, s[14:15]
	s_cbranch_execnz .LBB13_241
; %bb.242:
	s_or_b64 exec, exec, s[14:15]
.LBB13_243:
	s_or_b64 exec, exec, s[12:13]
	v_mov_b32_e32 v8, 0
	ds_read_b32 v8, v8 offset:24
	s_waitcnt lgkmcnt(0)
	v_mul_f32_e32 v8, v19, v8
.LBB13_244:
	s_or_b64 exec, exec, s[10:11]
	v_cmp_gt_u32_e64 s[8:9], 7, v0
	s_waitcnt vmcnt(7)
	ds_write_b32 v60, v9
	s_waitcnt lgkmcnt(0)
	; wave barrier
	s_and_saveexec_b64 s[12:13], s[8:9]
	s_cbranch_execz .LBB13_254
; %bb.245:
	s_and_b64 vcc, exec, s[0:1]
	s_cbranch_vccnz .LBB13_247
; %bb.246:
	v_cmp_eq_u32_e32 vcc, 1, v0
	s_waitcnt vmcnt(5)
	v_cndmask_b32_e32 v16, v2, v3, vcc
	v_cmp_eq_u32_e32 vcc, 2, v0
	v_cndmask_b32_e32 v16, v16, v4, vcc
	v_cmp_eq_u32_e32 vcc, 3, v0
	;; [unrolled: 2-line block ×8, first 2 shown]
	s_waitcnt vmcnt(4)
	v_cndmask_b32_e32 v16, v16, v11, vcc
	v_cmp_eq_u32_e32 vcc, 10, v0
	ds_read_b32 v17, v60
	s_waitcnt vmcnt(3)
	v_cndmask_b32_e32 v16, v16, v12, vcc
	v_cmp_eq_u32_e32 vcc, 11, v0
	s_waitcnt vmcnt(2)
	v_cndmask_b32_e32 v16, v16, v13, vcc
	v_cmp_eq_u32_e32 vcc, 12, v0
	;; [unrolled: 3-line block ×3, first 2 shown]
	s_waitcnt vmcnt(0)
	v_cndmask_b32_e32 v16, v16, v15, vcc
	s_waitcnt lgkmcnt(0)
	v_mul_f32_e32 v19, v16, v17
	s_cbranch_execz .LBB13_248
	s_branch .LBB13_249
.LBB13_247:
                                        ; implicit-def: $vgpr19
.LBB13_248:
	ds_read_b32 v19, v60
.LBB13_249:
	v_cmp_ne_u32_e32 vcc, 6, v0
	s_and_saveexec_b64 s[14:15], vcc
	s_cbranch_execz .LBB13_253
; %bb.250:
	v_mov_b32_e32 v16, 0x44
	v_lshl_add_u32 v20, v0, 2, v16
	v_mov_b32_e32 v17, v1
	s_mov_b64 s[16:17], 0
	v_mov_b32_e32 v16, v0
.LBB13_251:                             ; =>This Inner Loop Header: Depth=1
	v_add_co_u32_e32 v16, vcc, 1, v16
	v_addc_co_u32_e32 v17, vcc, 0, v17, vcc
	v_cmp_eq_u32_e32 vcc, 1, v16
	s_waitcnt vmcnt(5)
	v_cndmask_b32_e32 v22, v2, v3, vcc
	v_cmp_lt_u32_e32 vcc, 5, v16
	v_cmp_eq_u32_e64 s[10:11], 2, v16
	v_cndmask_b32_e64 v22, v22, v4, s[10:11]
	s_or_b64 s[16:17], vcc, s[16:17]
	v_cmp_eq_u32_e32 vcc, 3, v16
	v_cndmask_b32_e32 v22, v22, v5, vcc
	v_cmp_eq_u32_e32 vcc, 4, v16
	v_cndmask_b32_e32 v22, v22, v6, vcc
	v_cmp_eq_u32_e32 vcc, 5, v16
	v_cndmask_b32_e32 v22, v22, v7, vcc
	v_cmp_eq_u32_e32 vcc, 6, v16
	v_cndmask_b32_e32 v22, v22, v8, vcc
	v_cmp_eq_u32_e32 vcc, 7, v16
	v_cndmask_b32_e32 v22, v22, v9, vcc
	v_cmp_eq_u32_e32 vcc, 8, v16
	v_cndmask_b32_e32 v22, v22, v10, vcc
	v_cmp_eq_u32_e32 vcc, 9, v16
	ds_read_b32 v21, v20
	s_waitcnt vmcnt(4)
	v_cndmask_b32_e32 v22, v22, v11, vcc
	v_cmp_eq_u32_e32 vcc, 10, v16
	s_waitcnt vmcnt(3)
	v_cndmask_b32_e32 v22, v22, v12, vcc
	v_cmp_eq_u32_e32 vcc, 11, v16
	;; [unrolled: 3-line block ×4, first 2 shown]
	s_waitcnt vmcnt(0)
	v_cndmask_b32_e32 v22, v22, v15, vcc
	v_add_u32_e32 v20, 4, v20
	s_waitcnt lgkmcnt(0)
	v_fmac_f32_e32 v19, v22, v21
	s_andn2_b64 exec, exec, s[16:17]
	s_cbranch_execnz .LBB13_251
; %bb.252:
	s_or_b64 exec, exec, s[16:17]
.LBB13_253:
	s_or_b64 exec, exec, s[14:15]
	v_mov_b32_e32 v9, 0
	ds_read_b32 v9, v9 offset:28
	s_waitcnt lgkmcnt(0)
	v_mul_f32_e32 v9, v19, v9
.LBB13_254:
	s_or_b64 exec, exec, s[12:13]
	v_cmp_gt_u32_e32 vcc, 8, v0
	s_waitcnt vmcnt(6)
	ds_write_b32 v60, v10
	s_waitcnt lgkmcnt(0)
	; wave barrier
	s_and_saveexec_b64 s[12:13], vcc
	s_cbranch_execz .LBB13_264
; %bb.255:
	s_and_b64 vcc, exec, s[0:1]
	s_cbranch_vccnz .LBB13_257
; %bb.256:
	v_cmp_eq_u32_e32 vcc, 1, v0
	s_waitcnt vmcnt(5)
	v_cndmask_b32_e32 v16, v2, v3, vcc
	v_cmp_eq_u32_e32 vcc, 2, v0
	v_cndmask_b32_e32 v16, v16, v4, vcc
	v_cmp_eq_u32_e32 vcc, 3, v0
	;; [unrolled: 2-line block ×8, first 2 shown]
	s_waitcnt vmcnt(4)
	v_cndmask_b32_e32 v16, v16, v11, vcc
	v_cmp_eq_u32_e32 vcc, 10, v0
	ds_read_b32 v17, v60
	s_waitcnt vmcnt(3)
	v_cndmask_b32_e32 v16, v16, v12, vcc
	v_cmp_eq_u32_e32 vcc, 11, v0
	s_waitcnt vmcnt(2)
	v_cndmask_b32_e32 v16, v16, v13, vcc
	v_cmp_eq_u32_e32 vcc, 12, v0
	;; [unrolled: 3-line block ×3, first 2 shown]
	s_waitcnt vmcnt(0)
	v_cndmask_b32_e32 v16, v16, v15, vcc
	s_waitcnt lgkmcnt(0)
	v_mul_f32_e32 v19, v16, v17
	s_cbranch_execz .LBB13_258
	s_branch .LBB13_259
.LBB13_257:
                                        ; implicit-def: $vgpr19
.LBB13_258:
	ds_read_b32 v19, v60
.LBB13_259:
	v_cmp_ne_u32_e32 vcc, 7, v0
	s_and_saveexec_b64 s[14:15], vcc
	s_cbranch_execz .LBB13_263
; %bb.260:
	v_mov_b32_e32 v16, 0x44
	v_lshl_add_u32 v20, v0, 2, v16
	v_mov_b32_e32 v17, v1
	s_mov_b64 s[16:17], 0
	v_mov_b32_e32 v16, v0
.LBB13_261:                             ; =>This Inner Loop Header: Depth=1
	v_add_co_u32_e32 v16, vcc, 1, v16
	v_addc_co_u32_e32 v17, vcc, 0, v17, vcc
	v_cmp_eq_u32_e32 vcc, 1, v16
	s_waitcnt vmcnt(5)
	v_cndmask_b32_e32 v22, v2, v3, vcc
	v_cmp_lt_u32_e32 vcc, 6, v16
	v_cmp_eq_u32_e64 s[10:11], 2, v16
	v_cndmask_b32_e64 v22, v22, v4, s[10:11]
	s_or_b64 s[16:17], vcc, s[16:17]
	v_cmp_eq_u32_e32 vcc, 3, v16
	v_cndmask_b32_e32 v22, v22, v5, vcc
	v_cmp_eq_u32_e32 vcc, 4, v16
	v_cndmask_b32_e32 v22, v22, v6, vcc
	;; [unrolled: 2-line block ×6, first 2 shown]
	v_cmp_eq_u32_e32 vcc, 9, v16
	ds_read_b32 v21, v20
	s_waitcnt vmcnt(4)
	v_cndmask_b32_e32 v22, v22, v11, vcc
	v_cmp_eq_u32_e32 vcc, 10, v16
	s_waitcnt vmcnt(3)
	v_cndmask_b32_e32 v22, v22, v12, vcc
	v_cmp_eq_u32_e32 vcc, 11, v16
	;; [unrolled: 3-line block ×4, first 2 shown]
	s_waitcnt vmcnt(0)
	v_cndmask_b32_e32 v22, v22, v15, vcc
	v_add_u32_e32 v20, 4, v20
	s_waitcnt lgkmcnt(0)
	v_fmac_f32_e32 v19, v22, v21
	s_andn2_b64 exec, exec, s[16:17]
	s_cbranch_execnz .LBB13_261
; %bb.262:
	s_or_b64 exec, exec, s[16:17]
.LBB13_263:
	s_or_b64 exec, exec, s[14:15]
	v_mov_b32_e32 v10, 0
	ds_read_b32 v10, v10 offset:32
	s_waitcnt lgkmcnt(0)
	v_mul_f32_e32 v10, v19, v10
.LBB13_264:
	s_or_b64 exec, exec, s[12:13]
	v_cmp_gt_u32_e32 vcc, 9, v0
	s_waitcnt vmcnt(4)
	ds_write_b32 v60, v11
	s_waitcnt lgkmcnt(0)
	; wave barrier
	s_and_saveexec_b64 s[10:11], vcc
	s_cbranch_execz .LBB13_286
; %bb.265:
	s_and_b64 vcc, exec, s[0:1]
	s_cbranch_vccnz .LBB13_267
; %bb.266:
	v_cmp_eq_u32_e32 vcc, 1, v0
	v_cndmask_b32_e32 v16, v2, v3, vcc
	v_cmp_eq_u32_e32 vcc, 2, v0
	v_cndmask_b32_e32 v16, v16, v4, vcc
	;; [unrolled: 2-line block ×9, first 2 shown]
	v_cmp_eq_u32_e32 vcc, 10, v0
	ds_read_b32 v17, v60
	s_waitcnt vmcnt(3)
	v_cndmask_b32_e32 v16, v16, v12, vcc
	v_cmp_eq_u32_e32 vcc, 11, v0
	s_waitcnt vmcnt(2)
	v_cndmask_b32_e32 v16, v16, v13, vcc
	v_cmp_eq_u32_e32 vcc, 12, v0
	;; [unrolled: 3-line block ×3, first 2 shown]
	s_waitcnt vmcnt(0)
	v_cndmask_b32_e32 v16, v16, v15, vcc
	s_waitcnt lgkmcnt(0)
	v_mul_f32_e32 v16, v16, v17
	s_cbranch_execz .LBB13_268
	s_branch .LBB13_269
.LBB13_267:
                                        ; implicit-def: $vgpr16
.LBB13_268:
	ds_read_b32 v16, v60
.LBB13_269:
	v_cmp_ne_u32_e32 vcc, 8, v0
	s_and_saveexec_b64 s[12:13], vcc
	s_cbranch_execz .LBB13_285
; %bb.270:
	v_cmp_eq_u32_e32 vcc, 1, v18
	v_cndmask_b32_e32 v17, v2, v3, vcc
	v_cmp_eq_u32_e32 vcc, 2, v18
	v_cndmask_b32_e32 v17, v17, v4, vcc
	;; [unrolled: 2-line block ×9, first 2 shown]
	v_cmp_eq_u32_e32 vcc, 10, v18
	ds_read_b32 v19, v60 offset:4
	s_waitcnt vmcnt(3)
	v_cndmask_b32_e32 v17, v17, v12, vcc
	v_cmp_eq_u32_e32 vcc, 11, v18
	s_waitcnt vmcnt(2)
	v_cndmask_b32_e32 v17, v17, v13, vcc
	v_cmp_eq_u32_e32 vcc, 12, v18
	;; [unrolled: 3-line block ×3, first 2 shown]
	s_waitcnt vmcnt(0)
	v_cndmask_b32_e32 v17, v17, v15, vcc
	s_waitcnt lgkmcnt(0)
	v_fmac_f32_e32 v16, v17, v19
	s_and_saveexec_b64 s[14:15], s[8:9]
	s_cbranch_execz .LBB13_284
; %bb.271:
	v_add_u32_e32 v17, 2, v0
	v_cmp_eq_u32_e32 vcc, 1, v17
	v_cndmask_b32_e32 v18, v2, v3, vcc
	v_cmp_eq_u32_e32 vcc, 2, v17
	v_cndmask_b32_e32 v18, v18, v4, vcc
	;; [unrolled: 2-line block ×9, first 2 shown]
	v_cmp_eq_u32_e32 vcc, 10, v17
	ds_read_b32 v19, v60 offset:8
	v_cndmask_b32_e32 v18, v18, v12, vcc
	v_cmp_eq_u32_e32 vcc, 11, v17
	v_cndmask_b32_e32 v18, v18, v13, vcc
	v_cmp_eq_u32_e32 vcc, 12, v17
	;; [unrolled: 2-line block ×3, first 2 shown]
	v_cndmask_b32_e32 v17, v18, v15, vcc
	s_waitcnt lgkmcnt(0)
	v_fmac_f32_e32 v16, v17, v19
	v_cmp_ne_u32_e32 vcc, 6, v0
	s_and_saveexec_b64 s[8:9], vcc
	s_cbranch_execz .LBB13_283
; %bb.272:
	v_add_u32_e32 v17, 3, v0
	v_cmp_eq_u32_e32 vcc, 1, v17
	v_cndmask_b32_e32 v18, v2, v3, vcc
	v_cmp_eq_u32_e32 vcc, 2, v17
	v_cndmask_b32_e32 v18, v18, v4, vcc
	;; [unrolled: 2-line block ×9, first 2 shown]
	v_cmp_eq_u32_e32 vcc, 10, v17
	ds_read_b32 v19, v60 offset:12
	v_cndmask_b32_e32 v18, v18, v12, vcc
	v_cmp_eq_u32_e32 vcc, 11, v17
	v_cndmask_b32_e32 v18, v18, v13, vcc
	v_cmp_eq_u32_e32 vcc, 12, v17
	;; [unrolled: 2-line block ×3, first 2 shown]
	v_cndmask_b32_e32 v17, v18, v15, vcc
	s_waitcnt lgkmcnt(0)
	v_fmac_f32_e32 v16, v17, v19
	s_and_saveexec_b64 s[16:17], s[6:7]
	s_cbranch_execz .LBB13_282
; %bb.273:
	v_add_u32_e32 v17, 4, v0
	v_cmp_eq_u32_e32 vcc, 1, v17
	v_cndmask_b32_e32 v18, v2, v3, vcc
	v_cmp_eq_u32_e32 vcc, 2, v17
	v_cndmask_b32_e32 v18, v18, v4, vcc
	;; [unrolled: 2-line block ×9, first 2 shown]
	v_cmp_eq_u32_e32 vcc, 10, v17
	ds_read_b32 v19, v60 offset:16
	v_cndmask_b32_e32 v18, v18, v12, vcc
	v_cmp_eq_u32_e32 vcc, 11, v17
	v_cndmask_b32_e32 v18, v18, v13, vcc
	v_cmp_eq_u32_e32 vcc, 12, v17
	v_cndmask_b32_e32 v18, v18, v14, vcc
	v_cmp_eq_u32_e32 vcc, 13, v17
	v_cndmask_b32_e32 v17, v18, v15, vcc
	s_waitcnt lgkmcnt(0)
	v_fmac_f32_e32 v16, v17, v19
	v_cmp_ne_u32_e32 vcc, 4, v0
	s_and_saveexec_b64 s[6:7], vcc
	s_cbranch_execz .LBB13_281
; %bb.274:
	v_add_u32_e32 v17, 5, v0
	v_cmp_eq_u32_e32 vcc, 1, v17
	v_cndmask_b32_e32 v18, v2, v3, vcc
	v_cmp_eq_u32_e32 vcc, 2, v17
	v_cndmask_b32_e32 v18, v18, v4, vcc
	;; [unrolled: 2-line block ×9, first 2 shown]
	v_cmp_eq_u32_e32 vcc, 10, v17
	ds_read_b32 v19, v60 offset:20
	v_cndmask_b32_e32 v18, v18, v12, vcc
	v_cmp_eq_u32_e32 vcc, 11, v17
	v_cndmask_b32_e32 v18, v18, v13, vcc
	v_cmp_eq_u32_e32 vcc, 12, v17
	;; [unrolled: 2-line block ×3, first 2 shown]
	v_cndmask_b32_e32 v17, v18, v15, vcc
	s_waitcnt lgkmcnt(0)
	v_fmac_f32_e32 v16, v17, v19
	s_and_saveexec_b64 s[18:19], s[4:5]
	s_cbranch_execz .LBB13_280
; %bb.275:
	v_add_u32_e32 v17, 6, v0
	v_cmp_eq_u32_e32 vcc, 1, v17
	v_cndmask_b32_e32 v18, v2, v3, vcc
	v_cmp_eq_u32_e32 vcc, 2, v17
	v_cndmask_b32_e32 v18, v18, v4, vcc
	;; [unrolled: 2-line block ×9, first 2 shown]
	v_cmp_eq_u32_e32 vcc, 10, v17
	ds_read_b32 v19, v60 offset:24
	v_cndmask_b32_e32 v18, v18, v12, vcc
	v_cmp_eq_u32_e32 vcc, 11, v17
	v_cndmask_b32_e32 v18, v18, v13, vcc
	v_cmp_eq_u32_e32 vcc, 12, v17
	;; [unrolled: 2-line block ×3, first 2 shown]
	v_cndmask_b32_e32 v17, v18, v15, vcc
	s_waitcnt lgkmcnt(0)
	v_fmac_f32_e32 v16, v17, v19
	v_cmp_ne_u32_e32 vcc, 2, v0
	s_and_saveexec_b64 s[4:5], vcc
	s_cbranch_execz .LBB13_279
; %bb.276:
	v_add_u32_e32 v17, 7, v0
	v_cmp_eq_u32_e32 vcc, 1, v17
	v_cndmask_b32_e32 v18, v2, v3, vcc
	v_cmp_eq_u32_e32 vcc, 2, v17
	v_cndmask_b32_e32 v18, v18, v4, vcc
	;; [unrolled: 2-line block ×9, first 2 shown]
	v_cmp_eq_u32_e32 vcc, 10, v17
	ds_read_b32 v18, v60 offset:28
	v_cndmask_b32_e32 v11, v11, v12, vcc
	v_cmp_eq_u32_e32 vcc, 11, v17
	v_cndmask_b32_e32 v11, v11, v13, vcc
	v_cmp_eq_u32_e32 vcc, 12, v17
	;; [unrolled: 2-line block ×3, first 2 shown]
	v_cndmask_b32_e32 v11, v11, v15, vcc
	s_waitcnt lgkmcnt(0)
	v_fmac_f32_e32 v16, v11, v18
	s_and_saveexec_b64 s[20:21], s[2:3]
	s_cbranch_execz .LBB13_278
; %bb.277:
	ds_read_b32 v11, v60 offset:32
	s_waitcnt lgkmcnt(0)
	v_fmac_f32_e32 v16, v10, v11
.LBB13_278:
	s_or_b64 exec, exec, s[20:21]
.LBB13_279:
	s_or_b64 exec, exec, s[4:5]
.LBB13_280:
	s_or_b64 exec, exec, s[18:19]
.LBB13_281:
	s_or_b64 exec, exec, s[6:7]
.LBB13_282:
	s_or_b64 exec, exec, s[16:17]
.LBB13_283:
	s_or_b64 exec, exec, s[8:9]
.LBB13_284:
	s_or_b64 exec, exec, s[14:15]
.LBB13_285:
	s_or_b64 exec, exec, s[12:13]
	v_mov_b32_e32 v11, 0
	ds_read_b32 v11, v11 offset:36
	s_waitcnt lgkmcnt(0)
	v_mul_f32_e32 v11, v16, v11
.LBB13_286:
	s_or_b64 exec, exec, s[10:11]
	v_cmp_gt_u32_e32 vcc, 10, v0
	s_waitcnt vmcnt(3)
	ds_write_b32 v60, v12
	s_waitcnt lgkmcnt(0)
	; wave barrier
	s_and_saveexec_b64 s[4:5], vcc
	s_cbranch_execz .LBB13_296
; %bb.287:
	s_and_b64 vcc, exec, s[0:1]
	s_cbranch_vccnz .LBB13_289
; %bb.288:
	v_cmp_eq_u32_e32 vcc, 1, v0
	v_cndmask_b32_e32 v16, v2, v3, vcc
	v_cmp_eq_u32_e32 vcc, 2, v0
	v_cndmask_b32_e32 v16, v16, v4, vcc
	;; [unrolled: 2-line block ×9, first 2 shown]
	v_cmp_eq_u32_e32 vcc, 10, v0
	ds_read_b32 v17, v60
	v_cndmask_b32_e32 v16, v16, v12, vcc
	v_cmp_eq_u32_e32 vcc, 11, v0
	s_waitcnt vmcnt(2)
	v_cndmask_b32_e32 v16, v16, v13, vcc
	v_cmp_eq_u32_e32 vcc, 12, v0
	s_waitcnt vmcnt(1)
	;; [unrolled: 3-line block ×3, first 2 shown]
	v_cndmask_b32_e32 v16, v16, v15, vcc
	s_waitcnt lgkmcnt(0)
	v_mul_f32_e32 v18, v16, v17
	s_cbranch_execz .LBB13_290
	s_branch .LBB13_291
.LBB13_289:
                                        ; implicit-def: $vgpr18
.LBB13_290:
	ds_read_b32 v18, v60
.LBB13_291:
	v_cmp_ne_u32_e32 vcc, 9, v0
	s_and_saveexec_b64 s[6:7], vcc
	s_cbranch_execz .LBB13_295
; %bb.292:
	v_mov_b32_e32 v16, 0x44
	v_lshl_add_u32 v19, v0, 2, v16
	v_mov_b32_e32 v17, v1
	s_mov_b64 s[8:9], 0
	v_mov_b32_e32 v16, v0
.LBB13_293:                             ; =>This Inner Loop Header: Depth=1
	v_add_co_u32_e32 v16, vcc, 1, v16
	v_addc_co_u32_e32 v17, vcc, 0, v17, vcc
	v_cmp_eq_u32_e32 vcc, 1, v16
	v_cndmask_b32_e32 v21, v2, v3, vcc
	v_cmp_lt_u32_e32 vcc, 8, v16
	v_cmp_eq_u32_e64 s[2:3], 2, v16
	v_cndmask_b32_e64 v21, v21, v4, s[2:3]
	s_or_b64 s[8:9], vcc, s[8:9]
	v_cmp_eq_u32_e32 vcc, 3, v16
	v_cndmask_b32_e32 v21, v21, v5, vcc
	v_cmp_eq_u32_e32 vcc, 4, v16
	v_cndmask_b32_e32 v21, v21, v6, vcc
	v_cmp_eq_u32_e32 vcc, 5, v16
	v_cndmask_b32_e32 v21, v21, v7, vcc
	v_cmp_eq_u32_e32 vcc, 6, v16
	v_cndmask_b32_e32 v21, v21, v8, vcc
	v_cmp_eq_u32_e32 vcc, 7, v16
	v_cndmask_b32_e32 v21, v21, v9, vcc
	v_cmp_eq_u32_e32 vcc, 8, v16
	v_cndmask_b32_e32 v21, v21, v10, vcc
	v_cmp_eq_u32_e32 vcc, 9, v16
	ds_read_b32 v20, v19
	v_cndmask_b32_e32 v21, v21, v11, vcc
	v_cmp_eq_u32_e32 vcc, 10, v16
	v_cndmask_b32_e32 v21, v21, v12, vcc
	v_cmp_eq_u32_e32 vcc, 11, v16
	s_waitcnt vmcnt(2)
	v_cndmask_b32_e32 v21, v21, v13, vcc
	v_cmp_eq_u32_e32 vcc, 12, v16
	s_waitcnt vmcnt(1)
	;; [unrolled: 3-line block ×3, first 2 shown]
	v_cndmask_b32_e32 v21, v21, v15, vcc
	v_add_u32_e32 v19, 4, v19
	s_waitcnt lgkmcnt(0)
	v_fmac_f32_e32 v18, v21, v20
	s_andn2_b64 exec, exec, s[8:9]
	s_cbranch_execnz .LBB13_293
; %bb.294:
	s_or_b64 exec, exec, s[8:9]
.LBB13_295:
	s_or_b64 exec, exec, s[6:7]
	v_mov_b32_e32 v12, 0
	ds_read_b32 v12, v12 offset:40
	s_waitcnt lgkmcnt(0)
	v_mul_f32_e32 v12, v18, v12
.LBB13_296:
	s_or_b64 exec, exec, s[4:5]
	v_cmp_gt_u32_e32 vcc, 11, v0
	s_waitcnt vmcnt(2)
	ds_write_b32 v60, v13
	s_waitcnt lgkmcnt(0)
	; wave barrier
	s_and_saveexec_b64 s[4:5], vcc
	s_cbranch_execz .LBB13_306
; %bb.297:
	s_and_b64 vcc, exec, s[0:1]
	s_cbranch_vccnz .LBB13_299
; %bb.298:
	v_cmp_eq_u32_e32 vcc, 1, v0
	v_cndmask_b32_e32 v16, v2, v3, vcc
	v_cmp_eq_u32_e32 vcc, 2, v0
	v_cndmask_b32_e32 v16, v16, v4, vcc
	v_cmp_eq_u32_e32 vcc, 3, v0
	v_cndmask_b32_e32 v16, v16, v5, vcc
	v_cmp_eq_u32_e32 vcc, 4, v0
	v_cndmask_b32_e32 v16, v16, v6, vcc
	v_cmp_eq_u32_e32 vcc, 5, v0
	v_cndmask_b32_e32 v16, v16, v7, vcc
	v_cmp_eq_u32_e32 vcc, 6, v0
	v_cndmask_b32_e32 v16, v16, v8, vcc
	v_cmp_eq_u32_e32 vcc, 7, v0
	v_cndmask_b32_e32 v16, v16, v9, vcc
	v_cmp_eq_u32_e32 vcc, 8, v0
	v_cndmask_b32_e32 v16, v16, v10, vcc
	v_cmp_eq_u32_e32 vcc, 9, v0
	v_cndmask_b32_e32 v16, v16, v11, vcc
	v_cmp_eq_u32_e32 vcc, 10, v0
	ds_read_b32 v17, v60
	v_cndmask_b32_e32 v16, v16, v12, vcc
	v_cmp_eq_u32_e32 vcc, 11, v0
	v_cndmask_b32_e32 v16, v16, v13, vcc
	v_cmp_eq_u32_e32 vcc, 12, v0
	s_waitcnt vmcnt(1)
	v_cndmask_b32_e32 v16, v16, v14, vcc
	v_cmp_eq_u32_e32 vcc, 13, v0
	s_waitcnt vmcnt(0)
	v_cndmask_b32_e32 v16, v16, v15, vcc
	s_waitcnt lgkmcnt(0)
	v_mul_f32_e32 v18, v16, v17
	s_cbranch_execz .LBB13_300
	s_branch .LBB13_301
.LBB13_299:
                                        ; implicit-def: $vgpr18
.LBB13_300:
	ds_read_b32 v18, v60
.LBB13_301:
	v_cmp_ne_u32_e32 vcc, 10, v0
	s_and_saveexec_b64 s[6:7], vcc
	s_cbranch_execz .LBB13_305
; %bb.302:
	v_mov_b32_e32 v16, 0x44
	v_lshl_add_u32 v19, v0, 2, v16
	v_mov_b32_e32 v17, v1
	s_mov_b64 s[8:9], 0
	v_mov_b32_e32 v16, v0
.LBB13_303:                             ; =>This Inner Loop Header: Depth=1
	v_add_co_u32_e32 v16, vcc, 1, v16
	v_addc_co_u32_e32 v17, vcc, 0, v17, vcc
	v_cmp_eq_u32_e32 vcc, 1, v16
	v_cndmask_b32_e32 v21, v2, v3, vcc
	v_cmp_lt_u32_e32 vcc, 9, v16
	v_cmp_eq_u32_e64 s[2:3], 2, v16
	v_cndmask_b32_e64 v21, v21, v4, s[2:3]
	s_or_b64 s[8:9], vcc, s[8:9]
	v_cmp_eq_u32_e32 vcc, 3, v16
	v_cndmask_b32_e32 v21, v21, v5, vcc
	v_cmp_eq_u32_e32 vcc, 4, v16
	v_cndmask_b32_e32 v21, v21, v6, vcc
	;; [unrolled: 2-line block ×6, first 2 shown]
	v_cmp_eq_u32_e32 vcc, 9, v16
	ds_read_b32 v20, v19
	v_cndmask_b32_e32 v21, v21, v11, vcc
	v_cmp_eq_u32_e32 vcc, 10, v16
	v_cndmask_b32_e32 v21, v21, v12, vcc
	v_cmp_eq_u32_e32 vcc, 11, v16
	v_cndmask_b32_e32 v21, v21, v13, vcc
	v_cmp_eq_u32_e32 vcc, 12, v16
	s_waitcnt vmcnt(1)
	v_cndmask_b32_e32 v21, v21, v14, vcc
	v_cmp_eq_u32_e32 vcc, 13, v16
	s_waitcnt vmcnt(0)
	v_cndmask_b32_e32 v21, v21, v15, vcc
	v_add_u32_e32 v19, 4, v19
	s_waitcnt lgkmcnt(0)
	v_fmac_f32_e32 v18, v21, v20
	s_andn2_b64 exec, exec, s[8:9]
	s_cbranch_execnz .LBB13_303
; %bb.304:
	s_or_b64 exec, exec, s[8:9]
.LBB13_305:
	s_or_b64 exec, exec, s[6:7]
	v_mov_b32_e32 v13, 0
	ds_read_b32 v13, v13 offset:44
	s_waitcnt lgkmcnt(0)
	v_mul_f32_e32 v13, v18, v13
.LBB13_306:
	s_or_b64 exec, exec, s[4:5]
	v_cmp_gt_u32_e64 s[2:3], 12, v0
	s_waitcnt vmcnt(1)
	ds_write_b32 v60, v14
	s_waitcnt lgkmcnt(0)
	; wave barrier
	s_and_saveexec_b64 s[6:7], s[2:3]
	s_cbranch_execz .LBB13_316
; %bb.307:
	s_and_b64 vcc, exec, s[0:1]
	s_cbranch_vccnz .LBB13_309
; %bb.308:
	v_cmp_eq_u32_e32 vcc, 1, v0
	v_cndmask_b32_e32 v16, v2, v3, vcc
	v_cmp_eq_u32_e32 vcc, 2, v0
	v_cndmask_b32_e32 v16, v16, v4, vcc
	;; [unrolled: 2-line block ×9, first 2 shown]
	v_cmp_eq_u32_e32 vcc, 10, v0
	ds_read_b32 v17, v60
	v_cndmask_b32_e32 v16, v16, v12, vcc
	v_cmp_eq_u32_e32 vcc, 11, v0
	v_cndmask_b32_e32 v16, v16, v13, vcc
	v_cmp_eq_u32_e32 vcc, 12, v0
	;; [unrolled: 2-line block ×3, first 2 shown]
	s_waitcnt vmcnt(0)
	v_cndmask_b32_e32 v16, v16, v15, vcc
	s_waitcnt lgkmcnt(0)
	v_mul_f32_e32 v18, v16, v17
	s_cbranch_execz .LBB13_310
	s_branch .LBB13_311
.LBB13_309:
                                        ; implicit-def: $vgpr18
.LBB13_310:
	ds_read_b32 v18, v60
.LBB13_311:
	v_cmp_ne_u32_e32 vcc, 11, v0
	s_and_saveexec_b64 s[8:9], vcc
	s_cbranch_execz .LBB13_315
; %bb.312:
	v_mov_b32_e32 v16, 0x44
	v_lshl_add_u32 v19, v0, 2, v16
	v_mov_b32_e32 v17, v1
	s_mov_b64 s[10:11], 0
	v_mov_b32_e32 v16, v0
.LBB13_313:                             ; =>This Inner Loop Header: Depth=1
	v_add_co_u32_e32 v16, vcc, 1, v16
	v_addc_co_u32_e32 v17, vcc, 0, v17, vcc
	v_cmp_eq_u32_e32 vcc, 1, v16
	v_cndmask_b32_e32 v21, v2, v3, vcc
	v_cmp_lt_u32_e32 vcc, 10, v16
	v_cmp_eq_u32_e64 s[4:5], 2, v16
	v_cndmask_b32_e64 v21, v21, v4, s[4:5]
	s_or_b64 s[10:11], vcc, s[10:11]
	v_cmp_eq_u32_e32 vcc, 3, v16
	v_cndmask_b32_e32 v21, v21, v5, vcc
	v_cmp_eq_u32_e32 vcc, 4, v16
	v_cndmask_b32_e32 v21, v21, v6, vcc
	;; [unrolled: 2-line block ×6, first 2 shown]
	v_cmp_eq_u32_e32 vcc, 9, v16
	ds_read_b32 v20, v19
	v_cndmask_b32_e32 v21, v21, v11, vcc
	v_cmp_eq_u32_e32 vcc, 10, v16
	v_cndmask_b32_e32 v21, v21, v12, vcc
	v_cmp_eq_u32_e32 vcc, 11, v16
	;; [unrolled: 2-line block ×4, first 2 shown]
	s_waitcnt vmcnt(0)
	v_cndmask_b32_e32 v21, v21, v15, vcc
	v_add_u32_e32 v19, 4, v19
	s_waitcnt lgkmcnt(0)
	v_fmac_f32_e32 v18, v21, v20
	s_andn2_b64 exec, exec, s[10:11]
	s_cbranch_execnz .LBB13_313
; %bb.314:
	s_or_b64 exec, exec, s[10:11]
.LBB13_315:
	s_or_b64 exec, exec, s[8:9]
	v_mov_b32_e32 v14, 0
	ds_read_b32 v14, v14 offset:48
	s_waitcnt lgkmcnt(0)
	v_mul_f32_e32 v14, v18, v14
.LBB13_316:
	s_or_b64 exec, exec, s[6:7]
	v_cmp_ne_u32_e32 vcc, 13, v0
	s_waitcnt vmcnt(0)
	ds_write_b32 v60, v15
	s_waitcnt lgkmcnt(0)
	; wave barrier
	s_and_saveexec_b64 s[4:5], vcc
	s_cbranch_execz .LBB13_326
; %bb.317:
	s_and_b64 vcc, exec, s[0:1]
	s_cbranch_vccnz .LBB13_319
; %bb.318:
	v_cmp_eq_u32_e32 vcc, 1, v0
	v_cndmask_b32_e32 v16, v2, v3, vcc
	v_cmp_eq_u32_e32 vcc, 2, v0
	v_cndmask_b32_e32 v16, v16, v4, vcc
	;; [unrolled: 2-line block ×9, first 2 shown]
	v_cmp_eq_u32_e32 vcc, 10, v0
	ds_read_b32 v17, v60
	v_cndmask_b32_e32 v16, v16, v12, vcc
	v_cmp_eq_u32_e32 vcc, 11, v0
	v_cndmask_b32_e32 v16, v16, v13, vcc
	v_cmp_eq_u32_e32 vcc, 12, v0
	;; [unrolled: 2-line block ×3, first 2 shown]
	v_cndmask_b32_e32 v16, v16, v15, vcc
	s_waitcnt lgkmcnt(0)
	v_mul_f32_e32 v16, v16, v17
	s_cbranch_execz .LBB13_320
	s_branch .LBB13_321
.LBB13_319:
                                        ; implicit-def: $vgpr16
.LBB13_320:
	ds_read_b32 v16, v60
.LBB13_321:
	s_and_saveexec_b64 s[6:7], s[2:3]
	s_cbranch_execz .LBB13_325
; %bb.322:
	v_mov_b32_e32 v17, 0x44
	v_lshl_add_u32 v17, v0, 2, v17
	s_mov_b64 s[2:3], 0
.LBB13_323:                             ; =>This Inner Loop Header: Depth=1
	v_add_co_u32_e32 v0, vcc, 1, v0
	v_addc_co_u32_e32 v1, vcc, 0, v1, vcc
	v_cmp_eq_u32_e32 vcc, 1, v0
	v_cndmask_b32_e32 v19, v2, v3, vcc
	v_cmp_lt_u32_e32 vcc, 11, v0
	v_cmp_eq_u32_e64 s[0:1], 2, v0
	v_cndmask_b32_e64 v19, v19, v4, s[0:1]
	s_or_b64 s[2:3], vcc, s[2:3]
	v_cmp_eq_u32_e32 vcc, 3, v0
	v_cndmask_b32_e32 v19, v19, v5, vcc
	v_cmp_eq_u32_e32 vcc, 4, v0
	v_cndmask_b32_e32 v19, v19, v6, vcc
	;; [unrolled: 2-line block ×6, first 2 shown]
	v_cmp_eq_u32_e32 vcc, 9, v0
	ds_read_b32 v18, v17
	v_cndmask_b32_e32 v19, v19, v11, vcc
	v_cmp_eq_u32_e32 vcc, 10, v0
	v_cndmask_b32_e32 v19, v19, v12, vcc
	v_cmp_eq_u32_e32 vcc, 11, v0
	;; [unrolled: 2-line block ×4, first 2 shown]
	v_cndmask_b32_e32 v19, v19, v15, vcc
	v_add_u32_e32 v17, 4, v17
	s_waitcnt lgkmcnt(0)
	v_fmac_f32_e32 v16, v19, v18
	s_andn2_b64 exec, exec, s[2:3]
	s_cbranch_execnz .LBB13_323
; %bb.324:
	s_or_b64 exec, exec, s[2:3]
.LBB13_325:
	s_or_b64 exec, exec, s[6:7]
	v_mov_b32_e32 v0, 0
	ds_read_b32 v0, v0 offset:52
	s_waitcnt lgkmcnt(0)
	v_mul_f32_e32 v15, v16, v0
.LBB13_326:
	s_or_b64 exec, exec, s[4:5]
	v_mov_b32_e32 v31, v17
	v_mov_b32_e32 v30, v16
	;; [unrolled: 1-line block ×16, first 2 shown]
.LBB13_327:
	global_store_dword v[56:57], v16, off
	global_store_dword v[58:59], v17, off
	;; [unrolled: 1-line block ×14, first 2 shown]
.LBB13_328:
	s_endpgm
	.section	.rodata,"a",@progbits
	.p2align	6, 0x0
	.amdhsa_kernel _ZN9rocsolver6v33100L18trti2_kernel_smallILi14EfPfEEv13rocblas_fill_17rocblas_diagonal_T1_iil
		.amdhsa_group_segment_fixed_size 120
		.amdhsa_private_segment_fixed_size 0
		.amdhsa_kernarg_size 32
		.amdhsa_user_sgpr_count 6
		.amdhsa_user_sgpr_private_segment_buffer 1
		.amdhsa_user_sgpr_dispatch_ptr 0
		.amdhsa_user_sgpr_queue_ptr 0
		.amdhsa_user_sgpr_kernarg_segment_ptr 1
		.amdhsa_user_sgpr_dispatch_id 0
		.amdhsa_user_sgpr_flat_scratch_init 0
		.amdhsa_user_sgpr_private_segment_size 0
		.amdhsa_uses_dynamic_stack 0
		.amdhsa_system_sgpr_private_segment_wavefront_offset 0
		.amdhsa_system_sgpr_workgroup_id_x 1
		.amdhsa_system_sgpr_workgroup_id_y 0
		.amdhsa_system_sgpr_workgroup_id_z 0
		.amdhsa_system_sgpr_workgroup_info 0
		.amdhsa_system_vgpr_workitem_id 0
		.amdhsa_next_free_vgpr 78
		.amdhsa_next_free_sgpr 44
		.amdhsa_reserve_vcc 1
		.amdhsa_reserve_flat_scratch 0
		.amdhsa_float_round_mode_32 0
		.amdhsa_float_round_mode_16_64 0
		.amdhsa_float_denorm_mode_32 3
		.amdhsa_float_denorm_mode_16_64 3
		.amdhsa_dx10_clamp 1
		.amdhsa_ieee_mode 1
		.amdhsa_fp16_overflow 0
		.amdhsa_exception_fp_ieee_invalid_op 0
		.amdhsa_exception_fp_denorm_src 0
		.amdhsa_exception_fp_ieee_div_zero 0
		.amdhsa_exception_fp_ieee_overflow 0
		.amdhsa_exception_fp_ieee_underflow 0
		.amdhsa_exception_fp_ieee_inexact 0
		.amdhsa_exception_int_div_zero 0
	.end_amdhsa_kernel
	.section	.text._ZN9rocsolver6v33100L18trti2_kernel_smallILi14EfPfEEv13rocblas_fill_17rocblas_diagonal_T1_iil,"axG",@progbits,_ZN9rocsolver6v33100L18trti2_kernel_smallILi14EfPfEEv13rocblas_fill_17rocblas_diagonal_T1_iil,comdat
.Lfunc_end13:
	.size	_ZN9rocsolver6v33100L18trti2_kernel_smallILi14EfPfEEv13rocblas_fill_17rocblas_diagonal_T1_iil, .Lfunc_end13-_ZN9rocsolver6v33100L18trti2_kernel_smallILi14EfPfEEv13rocblas_fill_17rocblas_diagonal_T1_iil
                                        ; -- End function
	.set _ZN9rocsolver6v33100L18trti2_kernel_smallILi14EfPfEEv13rocblas_fill_17rocblas_diagonal_T1_iil.num_vgpr, 78
	.set _ZN9rocsolver6v33100L18trti2_kernel_smallILi14EfPfEEv13rocblas_fill_17rocblas_diagonal_T1_iil.num_agpr, 0
	.set _ZN9rocsolver6v33100L18trti2_kernel_smallILi14EfPfEEv13rocblas_fill_17rocblas_diagonal_T1_iil.numbered_sgpr, 44
	.set _ZN9rocsolver6v33100L18trti2_kernel_smallILi14EfPfEEv13rocblas_fill_17rocblas_diagonal_T1_iil.num_named_barrier, 0
	.set _ZN9rocsolver6v33100L18trti2_kernel_smallILi14EfPfEEv13rocblas_fill_17rocblas_diagonal_T1_iil.private_seg_size, 0
	.set _ZN9rocsolver6v33100L18trti2_kernel_smallILi14EfPfEEv13rocblas_fill_17rocblas_diagonal_T1_iil.uses_vcc, 1
	.set _ZN9rocsolver6v33100L18trti2_kernel_smallILi14EfPfEEv13rocblas_fill_17rocblas_diagonal_T1_iil.uses_flat_scratch, 0
	.set _ZN9rocsolver6v33100L18trti2_kernel_smallILi14EfPfEEv13rocblas_fill_17rocblas_diagonal_T1_iil.has_dyn_sized_stack, 0
	.set _ZN9rocsolver6v33100L18trti2_kernel_smallILi14EfPfEEv13rocblas_fill_17rocblas_diagonal_T1_iil.has_recursion, 0
	.set _ZN9rocsolver6v33100L18trti2_kernel_smallILi14EfPfEEv13rocblas_fill_17rocblas_diagonal_T1_iil.has_indirect_call, 0
	.section	.AMDGPU.csdata,"",@progbits
; Kernel info:
; codeLenInByte = 15484
; TotalNumSgprs: 48
; NumVgprs: 78
; ScratchSize: 0
; MemoryBound: 0
; FloatMode: 240
; IeeeMode: 1
; LDSByteSize: 120 bytes/workgroup (compile time only)
; SGPRBlocks: 5
; VGPRBlocks: 19
; NumSGPRsForWavesPerEU: 48
; NumVGPRsForWavesPerEU: 78
; Occupancy: 3
; WaveLimiterHint : 0
; COMPUTE_PGM_RSRC2:SCRATCH_EN: 0
; COMPUTE_PGM_RSRC2:USER_SGPR: 6
; COMPUTE_PGM_RSRC2:TRAP_HANDLER: 0
; COMPUTE_PGM_RSRC2:TGID_X_EN: 1
; COMPUTE_PGM_RSRC2:TGID_Y_EN: 0
; COMPUTE_PGM_RSRC2:TGID_Z_EN: 0
; COMPUTE_PGM_RSRC2:TIDIG_COMP_CNT: 0
	.section	.text._ZN9rocsolver6v33100L18trti2_kernel_smallILi15EfPfEEv13rocblas_fill_17rocblas_diagonal_T1_iil,"axG",@progbits,_ZN9rocsolver6v33100L18trti2_kernel_smallILi15EfPfEEv13rocblas_fill_17rocblas_diagonal_T1_iil,comdat
	.globl	_ZN9rocsolver6v33100L18trti2_kernel_smallILi15EfPfEEv13rocblas_fill_17rocblas_diagonal_T1_iil ; -- Begin function _ZN9rocsolver6v33100L18trti2_kernel_smallILi15EfPfEEv13rocblas_fill_17rocblas_diagonal_T1_iil
	.p2align	8
	.type	_ZN9rocsolver6v33100L18trti2_kernel_smallILi15EfPfEEv13rocblas_fill_17rocblas_diagonal_T1_iil,@function
_ZN9rocsolver6v33100L18trti2_kernel_smallILi15EfPfEEv13rocblas_fill_17rocblas_diagonal_T1_iil: ; @_ZN9rocsolver6v33100L18trti2_kernel_smallILi15EfPfEEv13rocblas_fill_17rocblas_diagonal_T1_iil
; %bb.0:
	v_cmp_gt_u32_e32 vcc, 15, v0
	s_and_saveexec_b64 s[0:1], vcc
	s_cbranch_execz .LBB14_354
; %bb.1:
	s_load_dwordx8 s[36:43], s[4:5], 0x0
	s_ashr_i32 s2, s6, 31
	v_lshlrev_b32_e32 v17, 2, v0
	v_mov_b32_e32 v18, -1.0
	s_waitcnt lgkmcnt(0)
	s_mul_hi_u32 s3, s42, s6
	s_mul_i32 s2, s42, s2
	s_add_i32 s2, s3, s2
	s_mul_i32 s3, s43, s6
	s_add_i32 s3, s2, s3
	s_mul_i32 s2, s42, s6
	s_ashr_i32 s1, s40, 31
	s_lshl_b64 s[2:3], s[2:3], 2
	s_mov_b32 s0, s40
	s_add_u32 s2, s38, s2
	s_addc_u32 s3, s39, s3
	s_lshl_b64 s[0:1], s[0:1], 2
	s_add_u32 s0, s2, s0
	s_addc_u32 s1, s3, s1
	s_add_i32 s2, s41, s41
	v_add_u32_e32 v1, s2, v0
	v_ashrrev_i32_e32 v2, 31, v1
	v_lshlrev_b64 v[2:3], 2, v[1:2]
	v_add_u32_e32 v1, s41, v1
	v_mov_b32_e32 v4, s1
	v_add_co_u32_e32 v33, vcc, s0, v2
	v_ashrrev_i32_e32 v2, 31, v1
	v_addc_co_u32_e32 v34, vcc, v4, v3, vcc
	v_lshlrev_b64 v[2:3], 2, v[1:2]
	v_add_u32_e32 v1, s41, v1
	v_add_co_u32_e32 v35, vcc, s0, v2
	v_ashrrev_i32_e32 v2, 31, v1
	v_addc_co_u32_e32 v36, vcc, v4, v3, vcc
	v_lshlrev_b64 v[2:3], 2, v[1:2]
	v_add_u32_e32 v1, s41, v1
	v_add_co_u32_e32 v37, vcc, s0, v2
	v_ashrrev_i32_e32 v2, 31, v1
	v_addc_co_u32_e32 v38, vcc, v4, v3, vcc
	v_lshlrev_b64 v[2:3], 2, v[1:2]
	v_add_u32_e32 v1, s41, v1
	v_add_co_u32_e32 v39, vcc, s0, v2
	v_ashrrev_i32_e32 v2, 31, v1
	v_addc_co_u32_e32 v40, vcc, v4, v3, vcc
	v_lshlrev_b64 v[2:3], 2, v[1:2]
	v_add_u32_e32 v1, s41, v1
	v_add_co_u32_e32 v41, vcc, s0, v2
	v_ashrrev_i32_e32 v2, 31, v1
	v_addc_co_u32_e32 v42, vcc, v4, v3, vcc
	v_lshlrev_b64 v[2:3], 2, v[1:2]
	v_add_u32_e32 v1, s41, v1
	v_add_co_u32_e32 v43, vcc, s0, v2
	v_ashrrev_i32_e32 v2, 31, v1
	v_addc_co_u32_e32 v44, vcc, v4, v3, vcc
	v_lshlrev_b64 v[2:3], 2, v[1:2]
	v_add_u32_e32 v1, s41, v1
	v_add_co_u32_e32 v45, vcc, s0, v2
	v_ashrrev_i32_e32 v2, 31, v1
	v_addc_co_u32_e32 v46, vcc, v4, v3, vcc
	v_lshlrev_b64 v[2:3], 2, v[1:2]
	v_add_u32_e32 v1, s41, v1
	v_add_co_u32_e32 v47, vcc, s0, v2
	v_ashrrev_i32_e32 v2, 31, v1
	v_addc_co_u32_e32 v48, vcc, v4, v3, vcc
	v_lshlrev_b64 v[2:3], 2, v[1:2]
	v_add_u32_e32 v1, s41, v1
	v_add_co_u32_e32 v49, vcc, s0, v2
	v_ashrrev_i32_e32 v2, 31, v1
	v_addc_co_u32_e32 v50, vcc, v4, v3, vcc
	v_lshlrev_b64 v[2:3], 2, v[1:2]
	v_add_u32_e32 v1, s41, v1
	v_add_co_u32_e32 v51, vcc, s0, v2
	v_ashrrev_i32_e32 v2, 31, v1
	v_addc_co_u32_e32 v52, vcc, v4, v3, vcc
	v_lshlrev_b64 v[2:3], 2, v[1:2]
	v_add_u32_e32 v1, s41, v1
	v_add_co_u32_e32 v53, vcc, s0, v2
	v_ashrrev_i32_e32 v2, 31, v1
	v_addc_co_u32_e32 v54, vcc, v4, v3, vcc
	v_lshlrev_b64 v[2:3], 2, v[1:2]
	v_add_u32_e32 v1, s41, v1
	v_add_co_u32_e32 v55, vcc, s0, v2
	v_ashrrev_i32_e32 v2, 31, v1
	v_lshlrev_b64 v[1:2], 2, v[1:2]
	v_addc_co_u32_e32 v56, vcc, v4, v3, vcc
	v_mov_b32_e32 v3, s1
	v_add_co_u32_e32 v57, vcc, s0, v1
	v_addc_co_u32_e32 v58, vcc, v3, v2, vcc
	v_mov_b32_e32 v1, s1
	v_add_co_u32_e32 v59, vcc, s0, v17
	s_ashr_i32 s3, s41, 31
	s_mov_b32 s2, s41
	v_addc_co_u32_e32 v60, vcc, 0, v1, vcc
	s_lshl_b64 s[2:3], s[2:3], 2
	v_mov_b32_e32 v1, s3
	v_add_co_u32_e32 v61, vcc, s2, v59
	v_addc_co_u32_e32 v62, vcc, v60, v1, vcc
	global_load_dword v3, v[61:62], off
	global_load_dword v4, v[33:34], off
	global_load_dword v5, v[35:36], off
	global_load_dword v6, v[37:38], off
	global_load_dword v7, v[39:40], off
	global_load_dword v8, v[41:42], off
	global_load_dword v9, v[43:44], off
	global_load_dword v10, v[45:46], off
	global_load_dword v2, v17, s[0:1]
	global_load_dword v11, v[47:48], off
	global_load_dword v12, v[49:50], off
	;; [unrolled: 1-line block ×6, first 2 shown]
	s_cmpk_lg_i32 s37, 0x84
	v_mov_b32_e32 v1, 0
	s_cselect_b64 s[30:31], -1, 0
	s_cmpk_eq_i32 s37, 0x84
	v_cmp_eq_u32_e64 s[0:1], 0, v0
	s_cbranch_scc1 .LBB14_3
; %bb.2:
	v_cmp_eq_u32_e64 s[2:3], 1, v0
	s_waitcnt vmcnt(6)
	v_cndmask_b32_e64 v18, v2, v3, s[2:3]
	v_cmp_eq_u32_e64 s[4:5], 2, v0
	v_cndmask_b32_e64 v18, v18, v4, s[4:5]
	v_cmp_eq_u32_e64 s[6:7], 3, v0
	;; [unrolled: 2-line block ×8, first 2 shown]
	s_waitcnt vmcnt(5)
	v_cndmask_b32_e64 v18, v18, v11, s[18:19]
	v_cmp_eq_u32_e64 s[20:21], 10, v0
	s_waitcnt vmcnt(4)
	v_cndmask_b32_e64 v18, v18, v12, s[20:21]
	v_cmp_eq_u32_e64 s[22:23], 11, v0
	;; [unrolled: 3-line block ×5, first 2 shown]
	s_waitcnt vmcnt(0)
	v_cndmask_b32_e64 v18, v18, v16, s[28:29]
	v_div_scale_f32 v19, s[34:35], v18, v18, 1.0
	v_div_scale_f32 v20, vcc, 1.0, v18, 1.0
	v_rcp_f32_e32 v21, v19
	v_fma_f32 v22, -v19, v21, 1.0
	v_fmac_f32_e32 v21, v22, v21
	v_mul_f32_e32 v22, v20, v21
	v_fma_f32 v23, -v19, v22, v20
	v_fmac_f32_e32 v22, v23, v21
	v_fma_f32 v19, -v19, v22, v20
	v_div_fmas_f32 v19, v19, v21, v22
	v_div_fixup_f32 v18, v19, v18, 1.0
	v_cndmask_b32_e64 v16, v16, v18, s[28:29]
	v_cndmask_b32_e64 v15, v15, v18, s[26:27]
	;; [unrolled: 1-line block ×15, first 2 shown]
	v_xor_b32_e32 v18, 0x80000000, v18
.LBB14_3:
	s_cmpk_eq_i32 s36, 0x79
	v_add_u32_e32 v63, 64, v17
	ds_write_b32 v17, v18
	s_cbranch_scc1 .LBB14_7
; %bb.4:
	s_waitcnt vmcnt(0)
	v_mov_b32_e32 v32, v17
	v_mov_b32_e32 v31, v16
	;; [unrolled: 1-line block ×16, first 2 shown]
	v_cmp_eq_u32_e64 s[2:3], 14, v0
	ds_write_b32 v63, v15
	s_waitcnt lgkmcnt(0)
	; wave barrier
	s_and_saveexec_b64 s[0:1], s[2:3]
	s_cbranch_execz .LBB14_11
; %bb.5:
	s_and_b64 vcc, exec, s[30:31]
	s_cbranch_vccz .LBB14_8
; %bb.6:
	v_cmp_eq_u32_e32 vcc, 1, v0
	v_cndmask_b32_e32 v17, v2, v3, vcc
	v_cmp_eq_u32_e32 vcc, 2, v0
	v_cndmask_b32_e32 v17, v17, v4, vcc
	;; [unrolled: 2-line block ×10, first 2 shown]
	v_cmp_eq_u32_e32 vcc, 11, v0
	ds_read_b32 v18, v63
	v_cndmask_b32_e32 v17, v17, v13, vcc
	v_cmp_eq_u32_e32 vcc, 12, v0
	v_cndmask_b32_e32 v17, v17, v14, vcc
	v_cmp_eq_u32_e32 vcc, 13, v0
	;; [unrolled: 2-line block ×3, first 2 shown]
	v_cndmask_b32_e32 v17, v17, v16, vcc
	s_waitcnt lgkmcnt(0)
	v_mul_f32_e32 v21, v17, v18
	s_cbranch_execz .LBB14_9
	s_branch .LBB14_10
.LBB14_7:
                                        ; implicit-def: $vgpr17_vgpr18_vgpr19_vgpr20_vgpr21_vgpr22_vgpr23_vgpr24_vgpr25_vgpr26_vgpr27_vgpr28_vgpr29_vgpr30_vgpr31_vgpr32
	s_cbranch_execnz .LBB14_210
	s_branch .LBB14_353
.LBB14_8:
                                        ; implicit-def: $vgpr21
.LBB14_9:
	ds_read_b32 v21, v63
.LBB14_10:
	v_mov_b32_e32 v17, 0
	ds_read_b32 v22, v17 offset:52
	v_mov_b32_e32 v17, v2
	v_mov_b32_e32 v18, v3
	;; [unrolled: 1-line block ×4, first 2 shown]
	s_waitcnt lgkmcnt(0)
	v_mul_f32_e32 v30, v21, v22
	v_mov_b32_e32 v21, v6
	v_mov_b32_e32 v22, v7
	;; [unrolled: 1-line block ×10, first 2 shown]
.LBB14_11:
	s_or_b64 exec, exec, s[0:1]
	v_cmp_lt_u32_e64 s[0:1], 12, v0
	ds_write_b32 v63, v29
	s_waitcnt lgkmcnt(0)
	; wave barrier
	s_and_saveexec_b64 s[4:5], s[0:1]
	s_cbranch_execz .LBB14_17
; %bb.12:
	s_andn2_b64 vcc, exec, s[30:31]
	s_cbranch_vccnz .LBB14_14
; %bb.13:
	v_cmp_eq_u32_e32 vcc, 1, v0
	v_cndmask_b32_e32 v32, v17, v18, vcc
	v_cmp_eq_u32_e32 vcc, 2, v0
	v_cndmask_b32_e32 v32, v32, v19, vcc
	;; [unrolled: 2-line block ×12, first 2 shown]
	ds_read_b32 v32, v63
	v_cmp_eq_u32_e32 vcc, 13, v0
	v_cndmask_b32_e32 v29, v29, v30, vcc
	v_cmp_eq_u32_e32 vcc, 14, v0
	v_cndmask_b32_e32 v29, v29, v31, vcc
	s_waitcnt lgkmcnt(0)
	v_mul_f32_e32 v29, v29, v32
	s_cbranch_execz .LBB14_15
	s_branch .LBB14_16
.LBB14_14:
                                        ; implicit-def: $vgpr29
.LBB14_15:
	ds_read_b32 v29, v63
.LBB14_16:
	v_mov_b32_e32 v32, 0
	ds_read2_b32 v[64:65], v32 offset0:12 offset1:29
	s_waitcnt lgkmcnt(0)
	v_fma_f32 v32, v30, v65, v29
	v_cndmask_b32_e64 v29, v29, v32, s[2:3]
	v_mul_f32_e32 v29, v29, v64
.LBB14_17:
	s_or_b64 exec, exec, s[4:5]
	v_cmp_lt_u32_e64 s[2:3], 11, v0
	ds_write_b32 v63, v28
	s_waitcnt lgkmcnt(0)
	; wave barrier
	s_and_saveexec_b64 s[4:5], s[2:3]
	s_cbranch_execz .LBB14_33
; %bb.18:
	s_andn2_b64 vcc, exec, s[30:31]
	s_cbranch_vccnz .LBB14_20
; %bb.19:
	v_cmp_eq_u32_e32 vcc, 1, v0
	v_cndmask_b32_e32 v64, v17, v18, vcc
	v_cmp_eq_u32_e32 vcc, 2, v0
	v_cndmask_b32_e32 v64, v64, v19, vcc
	;; [unrolled: 2-line block ×10, first 2 shown]
	v_cmp_eq_u32_e32 vcc, 11, v0
	ds_read_b32 v65, v63
	v_cndmask_b32_e32 v64, v64, v28, vcc
	v_cmp_eq_u32_e32 vcc, 12, v0
	v_cndmask_b32_e32 v64, v64, v29, vcc
	v_cmp_eq_u32_e32 vcc, 13, v0
	v_cndmask_b32_e32 v64, v64, v30, vcc
	v_cmp_eq_u32_e32 vcc, 14, v0
	v_cndmask_b32_e32 v64, v64, v31, vcc
	s_waitcnt lgkmcnt(0)
	v_mul_f32_e32 v64, v64, v65
	s_cbranch_execz .LBB14_21
	s_branch .LBB14_22
.LBB14_20:
                                        ; implicit-def: $vgpr64
.LBB14_21:
	ds_read_b32 v64, v63
.LBB14_22:
	s_and_saveexec_b64 s[6:7], s[0:1]
	s_cbranch_execz .LBB14_32
; %bb.23:
	v_add_u32_e32 v65, -13, v0
	v_add_u32_e32 v66, -12, v0
	v_cmp_lt_u32_e32 vcc, 6, v65
	v_mov_b32_e32 v65, 12
	s_and_saveexec_b64 s[0:1], vcc
	s_cbranch_execz .LBB14_27
; %bb.24:
	v_and_b32_e32 v65, -8, v66
	v_sub_u32_e32 v67, 0, v65
	s_mov_b64 s[8:9], 19
	s_movk_i32 s12, 0x70
	s_mov_b64 s[10:11], 0
.LBB14_25:                              ; =>This Inner Loop Header: Depth=1
	s_add_i32 s13, s8, -7
	v_mov_b32_e32 v65, s12
	s_add_i32 s14, s8, -6
	s_set_gpr_idx_on s13, gpr_idx(SRC0)
	v_mov_b32_e32 v76, v17
	s_set_gpr_idx_off
	s_add_i32 s15, s8, -5
	ds_read_b128 v[68:71], v65
	ds_read_b128 v[72:75], v65 offset:16
	s_set_gpr_idx_on s14, gpr_idx(SRC0)
	v_mov_b32_e32 v65, v17
	s_set_gpr_idx_off
	s_add_i32 s16, s8, -4
	s_set_gpr_idx_on s15, gpr_idx(SRC0)
	v_mov_b32_e32 v77, v17
	s_set_gpr_idx_off
	s_add_i32 s17, s8, -3
	;; [unrolled: 4-line block ×4, first 2 shown]
	s_waitcnt lgkmcnt(1)
	v_fmac_f32_e32 v64, v76, v68
	s_set_gpr_idx_on s18, gpr_idx(SRC0)
	v_mov_b32_e32 v68, v17
	s_set_gpr_idx_off
	v_fmac_f32_e32 v64, v65, v69
	s_set_gpr_idx_on s19, gpr_idx(SRC0)
	v_mov_b32_e32 v69, v17
	s_set_gpr_idx_off
	;; [unrolled: 4-line block ×3, first 2 shown]
	v_fmac_f32_e32 v64, v78, v71
	s_add_u32 s8, s8, 8
	s_waitcnt lgkmcnt(0)
	v_fmac_f32_e32 v64, v79, v72
	v_add_u32_e32 v65, s8, v67
	v_fmac_f32_e32 v64, v68, v73
	s_addc_u32 s9, s9, 0
	s_add_i32 s12, s12, 32
	s_add_i32 s13, s8, -7
	v_cmp_eq_u32_e32 vcc, 19, v65
	v_fmac_f32_e32 v64, v69, v74
	v_mov_b32_e32 v65, s13
	s_or_b64 s[10:11], vcc, s[10:11]
	v_fmac_f32_e32 v64, v70, v75
	s_andn2_b64 exec, exec, s[10:11]
	s_cbranch_execnz .LBB14_25
; %bb.26:
	s_or_b64 exec, exec, s[10:11]
.LBB14_27:
	s_or_b64 exec, exec, s[0:1]
	v_and_b32_e32 v32, 7, v66
	v_cmp_ne_u32_e32 vcc, 0, v32
	s_and_saveexec_b64 s[8:9], vcc
	s_cbranch_execz .LBB14_31
; %bb.28:
	v_lshl_add_u32 v66, v65, 2, 64
	v_mov_b32_e32 v67, 0
	s_mov_b64 s[10:11], 0
.LBB14_29:                              ; =>This Inner Loop Header: Depth=1
	v_cmp_eq_u32_e32 vcc, 1, v65
	v_cndmask_b32_e32 v68, v17, v18, vcc
	v_add_u32_e32 v32, -1, v32
	v_cmp_eq_u32_e32 vcc, 2, v65
	v_cndmask_b32_e32 v68, v68, v19, vcc
	v_cmp_eq_u32_e32 vcc, 0, v32
	v_cmp_eq_u32_e64 s[0:1], 3, v65
	v_cndmask_b32_e64 v68, v68, v20, s[0:1]
	s_or_b64 s[10:11], vcc, s[10:11]
	v_cmp_eq_u32_e32 vcc, 4, v65
	v_cndmask_b32_e32 v68, v68, v21, vcc
	v_cmp_eq_u32_e32 vcc, 5, v65
	v_cndmask_b32_e32 v68, v68, v22, vcc
	;; [unrolled: 2-line block ×6, first 2 shown]
	v_cmp_eq_u32_e32 vcc, 10, v65
	ds_read_b32 v69, v66
	v_cndmask_b32_e32 v68, v68, v27, vcc
	v_cmp_eq_u32_e32 vcc, 11, v65
	v_cndmask_b32_e32 v68, v68, v28, vcc
	v_cmp_eq_u32_e32 vcc, 12, v65
	;; [unrolled: 2-line block ×4, first 2 shown]
	v_add_co_u32_e64 v65, s[0:1], 1, v65
	v_cndmask_b32_e32 v68, v68, v31, vcc
	v_add_u32_e32 v66, 4, v66
	v_addc_co_u32_e64 v67, s[0:1], 0, v67, s[0:1]
	s_waitcnt lgkmcnt(0)
	v_fmac_f32_e32 v64, v68, v69
	s_andn2_b64 exec, exec, s[10:11]
	s_cbranch_execnz .LBB14_29
; %bb.30:
	s_or_b64 exec, exec, s[10:11]
.LBB14_31:
	s_or_b64 exec, exec, s[8:9]
.LBB14_32:
	s_or_b64 exec, exec, s[6:7]
	v_mov_b32_e32 v28, 0
	ds_read_b32 v28, v28 offset:44
	s_waitcnt lgkmcnt(0)
	v_mul_f32_e32 v28, v64, v28
.LBB14_33:
	s_or_b64 exec, exec, s[4:5]
	v_cmp_lt_u32_e64 s[0:1], 10, v0
	ds_write_b32 v63, v27
	s_waitcnt lgkmcnt(0)
	; wave barrier
	s_and_saveexec_b64 s[4:5], s[0:1]
	s_cbranch_execz .LBB14_49
; %bb.34:
	s_andn2_b64 vcc, exec, s[30:31]
	s_cbranch_vccnz .LBB14_36
; %bb.35:
	v_cmp_eq_u32_e32 vcc, 1, v0
	v_cndmask_b32_e32 v64, v17, v18, vcc
	v_cmp_eq_u32_e32 vcc, 2, v0
	v_cndmask_b32_e32 v64, v64, v19, vcc
	;; [unrolled: 2-line block ×10, first 2 shown]
	v_cmp_eq_u32_e32 vcc, 11, v0
	ds_read_b32 v65, v63
	v_cndmask_b32_e32 v64, v64, v28, vcc
	v_cmp_eq_u32_e32 vcc, 12, v0
	v_cndmask_b32_e32 v64, v64, v29, vcc
	v_cmp_eq_u32_e32 vcc, 13, v0
	;; [unrolled: 2-line block ×3, first 2 shown]
	v_cndmask_b32_e32 v64, v64, v31, vcc
	s_waitcnt lgkmcnt(0)
	v_mul_f32_e32 v64, v64, v65
	s_cbranch_execz .LBB14_37
	s_branch .LBB14_38
.LBB14_36:
                                        ; implicit-def: $vgpr64
.LBB14_37:
	ds_read_b32 v64, v63
.LBB14_38:
	s_and_saveexec_b64 s[6:7], s[2:3]
	s_cbranch_execz .LBB14_48
; %bb.39:
	v_add_u32_e32 v65, -12, v0
	v_add_u32_e32 v66, -11, v0
	v_cmp_lt_u32_e32 vcc, 6, v65
	v_mov_b32_e32 v65, 11
	s_and_saveexec_b64 s[2:3], vcc
	s_cbranch_execz .LBB14_43
; %bb.40:
	v_and_b32_e32 v65, -8, v66
	v_sub_u32_e32 v67, 0, v65
	s_mov_b64 s[8:9], 18
	s_movk_i32 s12, 0x6c
	s_mov_b64 s[10:11], 0
.LBB14_41:                              ; =>This Inner Loop Header: Depth=1
	s_add_i32 s13, s8, -7
	v_mov_b32_e32 v65, s12
	s_add_i32 s14, s8, -6
	s_set_gpr_idx_on s13, gpr_idx(SRC0)
	v_mov_b32_e32 v74, v17
	s_set_gpr_idx_off
	ds_read2_b32 v[68:69], v65 offset1:1
	s_add_i32 s15, s8, -5
	s_set_gpr_idx_on s14, gpr_idx(SRC0)
	v_mov_b32_e32 v75, v17
	s_set_gpr_idx_off
	s_add_i32 s16, s8, -4
	s_set_gpr_idx_on s15, gpr_idx(SRC0)
	v_mov_b32_e32 v76, v17
	s_set_gpr_idx_off
	ds_read2_b32 v[70:71], v65 offset0:2 offset1:3
	s_add_i32 s17, s8, -3
	s_set_gpr_idx_on s16, gpr_idx(SRC0)
	v_mov_b32_e32 v77, v17
	s_set_gpr_idx_off
	s_add_i32 s18, s8, -2
	s_set_gpr_idx_on s17, gpr_idx(SRC0)
	v_mov_b32_e32 v78, v17
	s_set_gpr_idx_off
	ds_read2_b32 v[72:73], v65 offset0:4 offset1:5
	s_add_i32 s19, s8, -1
	s_waitcnt lgkmcnt(2)
	v_fmac_f32_e32 v64, v74, v68
	s_set_gpr_idx_on s18, gpr_idx(SRC0)
	v_mov_b32_e32 v74, v17
	s_set_gpr_idx_off
	v_fmac_f32_e32 v64, v75, v69
	s_set_gpr_idx_on s19, gpr_idx(SRC0)
	v_mov_b32_e32 v75, v17
	s_set_gpr_idx_off
	ds_read2_b32 v[68:69], v65 offset0:6 offset1:7
	s_waitcnt lgkmcnt(2)
	v_fmac_f32_e32 v64, v76, v70
	s_set_gpr_idx_on s8, gpr_idx(SRC0)
	v_mov_b32_e32 v70, v17
	s_set_gpr_idx_off
	v_fmac_f32_e32 v64, v77, v71
	s_add_u32 s8, s8, 8
	s_waitcnt lgkmcnt(1)
	v_fmac_f32_e32 v64, v78, v72
	v_add_u32_e32 v65, s8, v67
	v_fmac_f32_e32 v64, v74, v73
	s_addc_u32 s9, s9, 0
	s_add_i32 s12, s12, 32
	s_add_i32 s13, s8, -7
	v_cmp_eq_u32_e32 vcc, 18, v65
	s_waitcnt lgkmcnt(0)
	v_fmac_f32_e32 v64, v75, v68
	v_mov_b32_e32 v65, s13
	s_or_b64 s[10:11], vcc, s[10:11]
	v_fmac_f32_e32 v64, v70, v69
	s_andn2_b64 exec, exec, s[10:11]
	s_cbranch_execnz .LBB14_41
; %bb.42:
	s_or_b64 exec, exec, s[10:11]
.LBB14_43:
	s_or_b64 exec, exec, s[2:3]
	v_and_b32_e32 v32, 7, v66
	v_cmp_ne_u32_e32 vcc, 0, v32
	s_and_saveexec_b64 s[8:9], vcc
	s_cbranch_execz .LBB14_47
; %bb.44:
	v_lshl_add_u32 v66, v65, 2, 64
	v_mov_b32_e32 v67, 0
	s_mov_b64 s[10:11], 0
.LBB14_45:                              ; =>This Inner Loop Header: Depth=1
	v_cmp_eq_u32_e32 vcc, 1, v65
	v_cndmask_b32_e32 v68, v17, v18, vcc
	v_add_u32_e32 v32, -1, v32
	v_cmp_eq_u32_e32 vcc, 2, v65
	v_cndmask_b32_e32 v68, v68, v19, vcc
	v_cmp_eq_u32_e32 vcc, 0, v32
	v_cmp_eq_u32_e64 s[2:3], 3, v65
	v_cndmask_b32_e64 v68, v68, v20, s[2:3]
	s_or_b64 s[10:11], vcc, s[10:11]
	v_cmp_eq_u32_e32 vcc, 4, v65
	v_cndmask_b32_e32 v68, v68, v21, vcc
	v_cmp_eq_u32_e32 vcc, 5, v65
	v_cndmask_b32_e32 v68, v68, v22, vcc
	;; [unrolled: 2-line block ×6, first 2 shown]
	v_cmp_eq_u32_e32 vcc, 10, v65
	ds_read_b32 v69, v66
	v_cndmask_b32_e32 v68, v68, v27, vcc
	v_cmp_eq_u32_e32 vcc, 11, v65
	v_cndmask_b32_e32 v68, v68, v28, vcc
	v_cmp_eq_u32_e32 vcc, 12, v65
	;; [unrolled: 2-line block ×4, first 2 shown]
	v_add_co_u32_e64 v65, s[2:3], 1, v65
	v_cndmask_b32_e32 v68, v68, v31, vcc
	v_add_u32_e32 v66, 4, v66
	v_addc_co_u32_e64 v67, s[2:3], 0, v67, s[2:3]
	s_waitcnt lgkmcnt(0)
	v_fmac_f32_e32 v64, v68, v69
	s_andn2_b64 exec, exec, s[10:11]
	s_cbranch_execnz .LBB14_45
; %bb.46:
	s_or_b64 exec, exec, s[10:11]
.LBB14_47:
	s_or_b64 exec, exec, s[8:9]
.LBB14_48:
	s_or_b64 exec, exec, s[6:7]
	v_mov_b32_e32 v27, 0
	ds_read_b32 v27, v27 offset:40
	s_waitcnt lgkmcnt(0)
	v_mul_f32_e32 v27, v64, v27
.LBB14_49:
	s_or_b64 exec, exec, s[4:5]
	v_cmp_lt_u32_e64 s[2:3], 9, v0
	ds_write_b32 v63, v26
	s_waitcnt lgkmcnt(0)
	; wave barrier
	s_and_saveexec_b64 s[4:5], s[2:3]
	s_cbranch_execz .LBB14_65
; %bb.50:
	s_andn2_b64 vcc, exec, s[30:31]
	s_cbranch_vccnz .LBB14_52
; %bb.51:
	v_cmp_eq_u32_e32 vcc, 1, v0
	v_cndmask_b32_e32 v64, v17, v18, vcc
	v_cmp_eq_u32_e32 vcc, 2, v0
	v_cndmask_b32_e32 v64, v64, v19, vcc
	;; [unrolled: 2-line block ×10, first 2 shown]
	v_cmp_eq_u32_e32 vcc, 11, v0
	ds_read_b32 v65, v63
	v_cndmask_b32_e32 v64, v64, v28, vcc
	v_cmp_eq_u32_e32 vcc, 12, v0
	v_cndmask_b32_e32 v64, v64, v29, vcc
	v_cmp_eq_u32_e32 vcc, 13, v0
	;; [unrolled: 2-line block ×3, first 2 shown]
	v_cndmask_b32_e32 v64, v64, v31, vcc
	s_waitcnt lgkmcnt(0)
	v_mul_f32_e32 v64, v64, v65
	s_cbranch_execz .LBB14_53
	s_branch .LBB14_54
.LBB14_52:
                                        ; implicit-def: $vgpr64
.LBB14_53:
	ds_read_b32 v64, v63
.LBB14_54:
	s_and_saveexec_b64 s[6:7], s[0:1]
	s_cbranch_execz .LBB14_64
; %bb.55:
	v_add_u32_e32 v65, -11, v0
	v_add_u32_e32 v66, -10, v0
	v_cmp_lt_u32_e32 vcc, 6, v65
	v_mov_b32_e32 v65, 10
	s_and_saveexec_b64 s[0:1], vcc
	s_cbranch_execz .LBB14_59
; %bb.56:
	v_and_b32_e32 v65, -8, v66
	v_sub_u32_e32 v67, 0, v65
	s_mov_b64 s[8:9], 17
	s_movk_i32 s12, 0x68
	s_mov_b64 s[10:11], 0
.LBB14_57:                              ; =>This Inner Loop Header: Depth=1
	s_add_i32 s13, s8, -7
	v_mov_b32_e32 v65, s12
	s_add_i32 s14, s8, -6
	s_set_gpr_idx_on s13, gpr_idx(SRC0)
	v_mov_b32_e32 v76, v17
	s_set_gpr_idx_off
	ds_read2_b64 v[68:71], v65 offset1:1
	s_add_i32 s15, s8, -5
	s_set_gpr_idx_on s14, gpr_idx(SRC0)
	v_mov_b32_e32 v77, v17
	s_set_gpr_idx_off
	s_add_i32 s16, s8, -4
	s_set_gpr_idx_on s15, gpr_idx(SRC0)
	v_mov_b32_e32 v78, v17
	s_set_gpr_idx_off
	;; [unrolled: 4-line block ×4, first 2 shown]
	ds_read2_b64 v[72:75], v65 offset0:2 offset1:3
	s_add_i32 s19, s8, -1
	s_waitcnt lgkmcnt(1)
	v_fmac_f32_e32 v64, v76, v68
	s_set_gpr_idx_on s18, gpr_idx(SRC0)
	v_mov_b32_e32 v68, v17
	s_set_gpr_idx_off
	v_fmac_f32_e32 v64, v77, v69
	s_set_gpr_idx_on s19, gpr_idx(SRC0)
	v_mov_b32_e32 v69, v17
	s_set_gpr_idx_off
	;; [unrolled: 4-line block ×3, first 2 shown]
	v_fmac_f32_e32 v64, v79, v71
	s_add_u32 s8, s8, 8
	s_waitcnt lgkmcnt(0)
	v_fmac_f32_e32 v64, v80, v72
	v_add_u32_e32 v65, s8, v67
	v_fmac_f32_e32 v64, v68, v73
	s_addc_u32 s9, s9, 0
	s_add_i32 s12, s12, 32
	s_add_i32 s13, s8, -7
	v_cmp_eq_u32_e32 vcc, 17, v65
	v_fmac_f32_e32 v64, v69, v74
	v_mov_b32_e32 v65, s13
	s_or_b64 s[10:11], vcc, s[10:11]
	v_fmac_f32_e32 v64, v70, v75
	s_andn2_b64 exec, exec, s[10:11]
	s_cbranch_execnz .LBB14_57
; %bb.58:
	s_or_b64 exec, exec, s[10:11]
.LBB14_59:
	s_or_b64 exec, exec, s[0:1]
	v_and_b32_e32 v32, 7, v66
	v_cmp_ne_u32_e32 vcc, 0, v32
	s_and_saveexec_b64 s[8:9], vcc
	s_cbranch_execz .LBB14_63
; %bb.60:
	v_lshl_add_u32 v66, v65, 2, 64
	v_mov_b32_e32 v67, 0
	s_mov_b64 s[10:11], 0
.LBB14_61:                              ; =>This Inner Loop Header: Depth=1
	v_cmp_eq_u32_e32 vcc, 1, v65
	v_cndmask_b32_e32 v68, v17, v18, vcc
	v_add_u32_e32 v32, -1, v32
	v_cmp_eq_u32_e32 vcc, 2, v65
	v_cndmask_b32_e32 v68, v68, v19, vcc
	v_cmp_eq_u32_e32 vcc, 0, v32
	v_cmp_eq_u32_e64 s[0:1], 3, v65
	v_cndmask_b32_e64 v68, v68, v20, s[0:1]
	s_or_b64 s[10:11], vcc, s[10:11]
	v_cmp_eq_u32_e32 vcc, 4, v65
	v_cndmask_b32_e32 v68, v68, v21, vcc
	v_cmp_eq_u32_e32 vcc, 5, v65
	v_cndmask_b32_e32 v68, v68, v22, vcc
	;; [unrolled: 2-line block ×6, first 2 shown]
	v_cmp_eq_u32_e32 vcc, 10, v65
	ds_read_b32 v69, v66
	v_cndmask_b32_e32 v68, v68, v27, vcc
	v_cmp_eq_u32_e32 vcc, 11, v65
	v_cndmask_b32_e32 v68, v68, v28, vcc
	v_cmp_eq_u32_e32 vcc, 12, v65
	;; [unrolled: 2-line block ×4, first 2 shown]
	v_add_co_u32_e64 v65, s[0:1], 1, v65
	v_cndmask_b32_e32 v68, v68, v31, vcc
	v_add_u32_e32 v66, 4, v66
	v_addc_co_u32_e64 v67, s[0:1], 0, v67, s[0:1]
	s_waitcnt lgkmcnt(0)
	v_fmac_f32_e32 v64, v68, v69
	s_andn2_b64 exec, exec, s[10:11]
	s_cbranch_execnz .LBB14_61
; %bb.62:
	s_or_b64 exec, exec, s[10:11]
.LBB14_63:
	s_or_b64 exec, exec, s[8:9]
.LBB14_64:
	s_or_b64 exec, exec, s[6:7]
	v_mov_b32_e32 v26, 0
	ds_read_b32 v26, v26 offset:36
	s_waitcnt lgkmcnt(0)
	v_mul_f32_e32 v26, v64, v26
.LBB14_65:
	s_or_b64 exec, exec, s[4:5]
	v_cmp_lt_u32_e64 s[0:1], 8, v0
	ds_write_b32 v63, v25
	s_waitcnt lgkmcnt(0)
	; wave barrier
	s_and_saveexec_b64 s[4:5], s[0:1]
	s_cbranch_execz .LBB14_81
; %bb.66:
	s_andn2_b64 vcc, exec, s[30:31]
	s_cbranch_vccnz .LBB14_68
; %bb.67:
	v_cmp_eq_u32_e32 vcc, 1, v0
	v_cndmask_b32_e32 v64, v17, v18, vcc
	v_cmp_eq_u32_e32 vcc, 2, v0
	v_cndmask_b32_e32 v64, v64, v19, vcc
	;; [unrolled: 2-line block ×10, first 2 shown]
	v_cmp_eq_u32_e32 vcc, 11, v0
	ds_read_b32 v65, v63
	v_cndmask_b32_e32 v64, v64, v28, vcc
	v_cmp_eq_u32_e32 vcc, 12, v0
	v_cndmask_b32_e32 v64, v64, v29, vcc
	v_cmp_eq_u32_e32 vcc, 13, v0
	;; [unrolled: 2-line block ×3, first 2 shown]
	v_cndmask_b32_e32 v64, v64, v31, vcc
	s_waitcnt lgkmcnt(0)
	v_mul_f32_e32 v64, v64, v65
	s_cbranch_execz .LBB14_69
	s_branch .LBB14_70
.LBB14_68:
                                        ; implicit-def: $vgpr64
.LBB14_69:
	ds_read_b32 v64, v63
.LBB14_70:
	s_and_saveexec_b64 s[6:7], s[2:3]
	s_cbranch_execz .LBB14_80
; %bb.71:
	v_add_u32_e32 v65, -10, v0
	v_add_u32_e32 v66, -9, v0
	v_cmp_lt_u32_e32 vcc, 6, v65
	v_mov_b32_e32 v65, 9
	s_and_saveexec_b64 s[2:3], vcc
	s_cbranch_execz .LBB14_75
; %bb.72:
	v_and_b32_e32 v65, -8, v66
	v_sub_u32_e32 v67, 0, v65
	s_mov_b64 s[8:9], 16
	s_movk_i32 s12, 0x64
	s_mov_b64 s[10:11], 0
.LBB14_73:                              ; =>This Inner Loop Header: Depth=1
	s_add_i32 s13, s8, -7
	v_mov_b32_e32 v65, s12
	s_add_i32 s14, s8, -6
	s_set_gpr_idx_on s13, gpr_idx(SRC0)
	v_mov_b32_e32 v74, v17
	s_set_gpr_idx_off
	ds_read2_b32 v[68:69], v65 offset1:1
	s_add_i32 s15, s8, -5
	s_set_gpr_idx_on s14, gpr_idx(SRC0)
	v_mov_b32_e32 v75, v17
	s_set_gpr_idx_off
	s_add_i32 s16, s8, -4
	s_set_gpr_idx_on s15, gpr_idx(SRC0)
	v_mov_b32_e32 v76, v17
	s_set_gpr_idx_off
	ds_read2_b32 v[70:71], v65 offset0:2 offset1:3
	s_add_i32 s17, s8, -3
	s_set_gpr_idx_on s16, gpr_idx(SRC0)
	v_mov_b32_e32 v77, v17
	s_set_gpr_idx_off
	s_add_i32 s18, s8, -2
	s_set_gpr_idx_on s17, gpr_idx(SRC0)
	v_mov_b32_e32 v78, v17
	s_set_gpr_idx_off
	ds_read2_b32 v[72:73], v65 offset0:4 offset1:5
	s_add_i32 s19, s8, -1
	s_waitcnt lgkmcnt(2)
	v_fmac_f32_e32 v64, v74, v68
	s_set_gpr_idx_on s18, gpr_idx(SRC0)
	v_mov_b32_e32 v74, v17
	s_set_gpr_idx_off
	v_fmac_f32_e32 v64, v75, v69
	s_set_gpr_idx_on s19, gpr_idx(SRC0)
	v_mov_b32_e32 v75, v17
	s_set_gpr_idx_off
	ds_read2_b32 v[68:69], v65 offset0:6 offset1:7
	s_waitcnt lgkmcnt(2)
	v_fmac_f32_e32 v64, v76, v70
	s_set_gpr_idx_on s8, gpr_idx(SRC0)
	v_mov_b32_e32 v70, v17
	s_set_gpr_idx_off
	v_fmac_f32_e32 v64, v77, v71
	s_add_u32 s8, s8, 8
	s_waitcnt lgkmcnt(1)
	v_fmac_f32_e32 v64, v78, v72
	v_add_u32_e32 v65, s8, v67
	v_fmac_f32_e32 v64, v74, v73
	s_addc_u32 s9, s9, 0
	s_add_i32 s12, s12, 32
	s_add_i32 s13, s8, -7
	v_cmp_eq_u32_e32 vcc, 16, v65
	s_waitcnt lgkmcnt(0)
	v_fmac_f32_e32 v64, v75, v68
	v_mov_b32_e32 v65, s13
	s_or_b64 s[10:11], vcc, s[10:11]
	v_fmac_f32_e32 v64, v70, v69
	s_andn2_b64 exec, exec, s[10:11]
	s_cbranch_execnz .LBB14_73
; %bb.74:
	s_or_b64 exec, exec, s[10:11]
.LBB14_75:
	s_or_b64 exec, exec, s[2:3]
	v_and_b32_e32 v32, 7, v66
	v_cmp_ne_u32_e32 vcc, 0, v32
	s_and_saveexec_b64 s[8:9], vcc
	s_cbranch_execz .LBB14_79
; %bb.76:
	v_lshl_add_u32 v66, v65, 2, 64
	v_mov_b32_e32 v67, 0
	s_mov_b64 s[10:11], 0
.LBB14_77:                              ; =>This Inner Loop Header: Depth=1
	v_cmp_eq_u32_e32 vcc, 1, v65
	v_cndmask_b32_e32 v68, v17, v18, vcc
	v_add_u32_e32 v32, -1, v32
	v_cmp_eq_u32_e32 vcc, 2, v65
	v_cndmask_b32_e32 v68, v68, v19, vcc
	v_cmp_eq_u32_e32 vcc, 0, v32
	v_cmp_eq_u32_e64 s[2:3], 3, v65
	v_cndmask_b32_e64 v68, v68, v20, s[2:3]
	s_or_b64 s[10:11], vcc, s[10:11]
	v_cmp_eq_u32_e32 vcc, 4, v65
	v_cndmask_b32_e32 v68, v68, v21, vcc
	v_cmp_eq_u32_e32 vcc, 5, v65
	v_cndmask_b32_e32 v68, v68, v22, vcc
	;; [unrolled: 2-line block ×6, first 2 shown]
	v_cmp_eq_u32_e32 vcc, 10, v65
	ds_read_b32 v69, v66
	v_cndmask_b32_e32 v68, v68, v27, vcc
	v_cmp_eq_u32_e32 vcc, 11, v65
	v_cndmask_b32_e32 v68, v68, v28, vcc
	v_cmp_eq_u32_e32 vcc, 12, v65
	;; [unrolled: 2-line block ×4, first 2 shown]
	v_add_co_u32_e64 v65, s[2:3], 1, v65
	v_cndmask_b32_e32 v68, v68, v31, vcc
	v_add_u32_e32 v66, 4, v66
	v_addc_co_u32_e64 v67, s[2:3], 0, v67, s[2:3]
	s_waitcnt lgkmcnt(0)
	v_fmac_f32_e32 v64, v68, v69
	s_andn2_b64 exec, exec, s[10:11]
	s_cbranch_execnz .LBB14_77
; %bb.78:
	s_or_b64 exec, exec, s[10:11]
.LBB14_79:
	s_or_b64 exec, exec, s[8:9]
.LBB14_80:
	s_or_b64 exec, exec, s[6:7]
	v_mov_b32_e32 v25, 0
	ds_read_b32 v25, v25 offset:32
	s_waitcnt lgkmcnt(0)
	v_mul_f32_e32 v25, v64, v25
.LBB14_81:
	s_or_b64 exec, exec, s[4:5]
	v_cmp_lt_u32_e64 s[2:3], 7, v0
	ds_write_b32 v63, v24
	s_waitcnt lgkmcnt(0)
	; wave barrier
	s_and_saveexec_b64 s[4:5], s[2:3]
	s_cbranch_execz .LBB14_97
; %bb.82:
	s_andn2_b64 vcc, exec, s[30:31]
	s_cbranch_vccnz .LBB14_84
; %bb.83:
	v_cmp_eq_u32_e32 vcc, 1, v0
	v_cndmask_b32_e32 v64, v17, v18, vcc
	v_cmp_eq_u32_e32 vcc, 2, v0
	v_cndmask_b32_e32 v64, v64, v19, vcc
	;; [unrolled: 2-line block ×10, first 2 shown]
	v_cmp_eq_u32_e32 vcc, 11, v0
	ds_read_b32 v65, v63
	v_cndmask_b32_e32 v64, v64, v28, vcc
	v_cmp_eq_u32_e32 vcc, 12, v0
	v_cndmask_b32_e32 v64, v64, v29, vcc
	v_cmp_eq_u32_e32 vcc, 13, v0
	v_cndmask_b32_e32 v64, v64, v30, vcc
	v_cmp_eq_u32_e32 vcc, 14, v0
	v_cndmask_b32_e32 v64, v64, v31, vcc
	s_waitcnt lgkmcnt(0)
	v_mul_f32_e32 v64, v64, v65
	s_cbranch_execz .LBB14_85
	s_branch .LBB14_86
.LBB14_84:
                                        ; implicit-def: $vgpr64
.LBB14_85:
	ds_read_b32 v64, v63
.LBB14_86:
	s_and_saveexec_b64 s[6:7], s[0:1]
	s_cbranch_execz .LBB14_96
; %bb.87:
	v_add_u32_e32 v65, -9, v0
	v_cmp_lt_u32_e32 vcc, 6, v65
	v_mov_b32_e32 v65, 8
	s_and_saveexec_b64 s[0:1], vcc
	s_cbranch_execz .LBB14_91
; %bb.88:
	v_and_b32_e32 v65, 8, v0
	v_sub_u32_e32 v66, 0, v65
	s_mov_b64 s[8:9], 15
	s_movk_i32 s12, 0x60
	s_mov_b64 s[10:11], 0
.LBB14_89:                              ; =>This Inner Loop Header: Depth=1
	s_add_i32 s13, s8, -7
	v_mov_b32_e32 v65, s12
	s_add_i32 s14, s8, -6
	s_set_gpr_idx_on s13, gpr_idx(SRC0)
	v_mov_b32_e32 v75, v17
	s_set_gpr_idx_off
	s_add_i32 s15, s8, -5
	ds_read_b128 v[67:70], v65
	ds_read_b128 v[71:74], v65 offset:16
	s_set_gpr_idx_on s14, gpr_idx(SRC0)
	v_mov_b32_e32 v65, v17
	s_set_gpr_idx_off
	s_add_i32 s16, s8, -4
	s_set_gpr_idx_on s15, gpr_idx(SRC0)
	v_mov_b32_e32 v76, v17
	s_set_gpr_idx_off
	s_add_i32 s17, s8, -3
	;; [unrolled: 4-line block ×4, first 2 shown]
	s_waitcnt lgkmcnt(1)
	v_fmac_f32_e32 v64, v75, v67
	s_set_gpr_idx_on s18, gpr_idx(SRC0)
	v_mov_b32_e32 v67, v17
	s_set_gpr_idx_off
	v_fmac_f32_e32 v64, v65, v68
	s_set_gpr_idx_on s19, gpr_idx(SRC0)
	v_mov_b32_e32 v68, v17
	s_set_gpr_idx_off
	;; [unrolled: 4-line block ×3, first 2 shown]
	v_fmac_f32_e32 v64, v77, v70
	s_add_u32 s8, s8, 8
	s_waitcnt lgkmcnt(0)
	v_fmac_f32_e32 v64, v78, v71
	v_add_u32_e32 v65, s8, v66
	v_fmac_f32_e32 v64, v67, v72
	s_addc_u32 s9, s9, 0
	s_add_i32 s12, s12, 32
	s_add_i32 s13, s8, -7
	v_cmp_eq_u32_e32 vcc, 7, v65
	v_fmac_f32_e32 v64, v68, v73
	v_mov_b32_e32 v65, s13
	s_or_b64 s[10:11], vcc, s[10:11]
	v_fmac_f32_e32 v64, v69, v74
	s_andn2_b64 exec, exec, s[10:11]
	s_cbranch_execnz .LBB14_89
; %bb.90:
	s_or_b64 exec, exec, s[10:11]
.LBB14_91:
	s_or_b64 exec, exec, s[0:1]
	v_and_b32_e32 v32, 7, v0
	v_cmp_ne_u32_e32 vcc, 0, v32
	s_and_saveexec_b64 s[8:9], vcc
	s_cbranch_execz .LBB14_95
; %bb.92:
	v_lshl_add_u32 v66, v65, 2, 64
	v_mov_b32_e32 v67, 0
	s_mov_b64 s[10:11], 0
.LBB14_93:                              ; =>This Inner Loop Header: Depth=1
	v_cmp_eq_u32_e32 vcc, 1, v65
	v_cndmask_b32_e32 v68, v17, v18, vcc
	v_add_u32_e32 v32, -1, v32
	v_cmp_eq_u32_e32 vcc, 2, v65
	v_cndmask_b32_e32 v68, v68, v19, vcc
	v_cmp_eq_u32_e32 vcc, 0, v32
	v_cmp_eq_u32_e64 s[0:1], 3, v65
	v_cndmask_b32_e64 v68, v68, v20, s[0:1]
	s_or_b64 s[10:11], vcc, s[10:11]
	v_cmp_eq_u32_e32 vcc, 4, v65
	v_cndmask_b32_e32 v68, v68, v21, vcc
	v_cmp_eq_u32_e32 vcc, 5, v65
	v_cndmask_b32_e32 v68, v68, v22, vcc
	;; [unrolled: 2-line block ×6, first 2 shown]
	v_cmp_eq_u32_e32 vcc, 10, v65
	ds_read_b32 v69, v66
	v_cndmask_b32_e32 v68, v68, v27, vcc
	v_cmp_eq_u32_e32 vcc, 11, v65
	v_cndmask_b32_e32 v68, v68, v28, vcc
	v_cmp_eq_u32_e32 vcc, 12, v65
	v_cndmask_b32_e32 v68, v68, v29, vcc
	v_cmp_eq_u32_e32 vcc, 13, v65
	v_cndmask_b32_e32 v68, v68, v30, vcc
	v_cmp_eq_u32_e32 vcc, 14, v65
	v_add_co_u32_e64 v65, s[0:1], 1, v65
	v_cndmask_b32_e32 v68, v68, v31, vcc
	v_add_u32_e32 v66, 4, v66
	v_addc_co_u32_e64 v67, s[0:1], 0, v67, s[0:1]
	s_waitcnt lgkmcnt(0)
	v_fmac_f32_e32 v64, v68, v69
	s_andn2_b64 exec, exec, s[10:11]
	s_cbranch_execnz .LBB14_93
; %bb.94:
	s_or_b64 exec, exec, s[10:11]
.LBB14_95:
	s_or_b64 exec, exec, s[8:9]
.LBB14_96:
	s_or_b64 exec, exec, s[6:7]
	v_mov_b32_e32 v24, 0
	ds_read_b32 v24, v24 offset:28
	s_waitcnt lgkmcnt(0)
	v_mul_f32_e32 v24, v64, v24
.LBB14_97:
	s_or_b64 exec, exec, s[4:5]
	v_cmp_lt_u32_e64 s[0:1], 6, v0
	ds_write_b32 v63, v23
	s_waitcnt lgkmcnt(0)
	; wave barrier
	s_and_saveexec_b64 s[4:5], s[0:1]
	s_cbranch_execz .LBB14_113
; %bb.98:
	s_andn2_b64 vcc, exec, s[30:31]
	s_cbranch_vccnz .LBB14_100
; %bb.99:
	v_cmp_eq_u32_e32 vcc, 1, v0
	v_cndmask_b32_e32 v64, v17, v18, vcc
	v_cmp_eq_u32_e32 vcc, 2, v0
	v_cndmask_b32_e32 v64, v64, v19, vcc
	;; [unrolled: 2-line block ×10, first 2 shown]
	v_cmp_eq_u32_e32 vcc, 11, v0
	ds_read_b32 v65, v63
	v_cndmask_b32_e32 v64, v64, v28, vcc
	v_cmp_eq_u32_e32 vcc, 12, v0
	v_cndmask_b32_e32 v64, v64, v29, vcc
	v_cmp_eq_u32_e32 vcc, 13, v0
	;; [unrolled: 2-line block ×3, first 2 shown]
	v_cndmask_b32_e32 v64, v64, v31, vcc
	s_waitcnt lgkmcnt(0)
	v_mul_f32_e32 v64, v64, v65
	s_cbranch_execz .LBB14_101
	s_branch .LBB14_102
.LBB14_100:
                                        ; implicit-def: $vgpr64
.LBB14_101:
	ds_read_b32 v64, v63
.LBB14_102:
	s_and_saveexec_b64 s[6:7], s[2:3]
	s_cbranch_execz .LBB14_112
; %bb.103:
	v_add_u32_e32 v65, -8, v0
	v_add_u32_e32 v66, -7, v0
	v_cmp_lt_u32_e32 vcc, 6, v65
	v_mov_b32_e32 v65, 7
	s_and_saveexec_b64 s[2:3], vcc
	s_cbranch_execz .LBB14_107
; %bb.104:
	v_and_b32_e32 v65, -8, v66
	v_sub_u32_e32 v67, 0, v65
	s_mov_b64 s[8:9], 14
	s_movk_i32 s12, 0x5c
	s_mov_b64 s[10:11], 0
.LBB14_105:                             ; =>This Inner Loop Header: Depth=1
	s_add_i32 s13, s8, -7
	v_mov_b32_e32 v65, s12
	s_add_i32 s14, s8, -6
	s_set_gpr_idx_on s13, gpr_idx(SRC0)
	v_mov_b32_e32 v74, v17
	s_set_gpr_idx_off
	ds_read2_b32 v[68:69], v65 offset1:1
	s_add_i32 s15, s8, -5
	s_set_gpr_idx_on s14, gpr_idx(SRC0)
	v_mov_b32_e32 v75, v17
	s_set_gpr_idx_off
	s_add_i32 s16, s8, -4
	s_set_gpr_idx_on s15, gpr_idx(SRC0)
	v_mov_b32_e32 v76, v17
	s_set_gpr_idx_off
	ds_read2_b32 v[70:71], v65 offset0:2 offset1:3
	s_add_i32 s17, s8, -3
	s_set_gpr_idx_on s16, gpr_idx(SRC0)
	v_mov_b32_e32 v77, v17
	s_set_gpr_idx_off
	s_add_i32 s18, s8, -2
	s_set_gpr_idx_on s17, gpr_idx(SRC0)
	v_mov_b32_e32 v78, v17
	s_set_gpr_idx_off
	ds_read2_b32 v[72:73], v65 offset0:4 offset1:5
	s_add_i32 s19, s8, -1
	s_waitcnt lgkmcnt(2)
	v_fmac_f32_e32 v64, v74, v68
	s_set_gpr_idx_on s18, gpr_idx(SRC0)
	v_mov_b32_e32 v74, v17
	s_set_gpr_idx_off
	v_fmac_f32_e32 v64, v75, v69
	s_set_gpr_idx_on s19, gpr_idx(SRC0)
	v_mov_b32_e32 v75, v17
	s_set_gpr_idx_off
	ds_read2_b32 v[68:69], v65 offset0:6 offset1:7
	s_waitcnt lgkmcnt(2)
	v_fmac_f32_e32 v64, v76, v70
	s_set_gpr_idx_on s8, gpr_idx(SRC0)
	v_mov_b32_e32 v70, v17
	s_set_gpr_idx_off
	v_fmac_f32_e32 v64, v77, v71
	s_add_u32 s8, s8, 8
	s_waitcnt lgkmcnt(1)
	v_fmac_f32_e32 v64, v78, v72
	v_add_u32_e32 v65, s8, v67
	v_fmac_f32_e32 v64, v74, v73
	s_addc_u32 s9, s9, 0
	s_add_i32 s12, s12, 32
	s_add_i32 s13, s8, -7
	v_cmp_eq_u32_e32 vcc, 14, v65
	s_waitcnt lgkmcnt(0)
	v_fmac_f32_e32 v64, v75, v68
	v_mov_b32_e32 v65, s13
	s_or_b64 s[10:11], vcc, s[10:11]
	v_fmac_f32_e32 v64, v70, v69
	s_andn2_b64 exec, exec, s[10:11]
	s_cbranch_execnz .LBB14_105
; %bb.106:
	s_or_b64 exec, exec, s[10:11]
.LBB14_107:
	s_or_b64 exec, exec, s[2:3]
	v_and_b32_e32 v32, 7, v66
	v_cmp_ne_u32_e32 vcc, 0, v32
	s_and_saveexec_b64 s[8:9], vcc
	s_cbranch_execz .LBB14_111
; %bb.108:
	v_lshl_add_u32 v66, v65, 2, 64
	v_mov_b32_e32 v67, 0
	s_mov_b64 s[10:11], 0
.LBB14_109:                             ; =>This Inner Loop Header: Depth=1
	v_cmp_eq_u32_e32 vcc, 1, v65
	v_cndmask_b32_e32 v68, v17, v18, vcc
	v_add_u32_e32 v32, -1, v32
	v_cmp_eq_u32_e32 vcc, 2, v65
	v_cndmask_b32_e32 v68, v68, v19, vcc
	v_cmp_eq_u32_e32 vcc, 0, v32
	v_cmp_eq_u32_e64 s[2:3], 3, v65
	v_cndmask_b32_e64 v68, v68, v20, s[2:3]
	s_or_b64 s[10:11], vcc, s[10:11]
	v_cmp_eq_u32_e32 vcc, 4, v65
	v_cndmask_b32_e32 v68, v68, v21, vcc
	v_cmp_eq_u32_e32 vcc, 5, v65
	v_cndmask_b32_e32 v68, v68, v22, vcc
	;; [unrolled: 2-line block ×6, first 2 shown]
	v_cmp_eq_u32_e32 vcc, 10, v65
	ds_read_b32 v69, v66
	v_cndmask_b32_e32 v68, v68, v27, vcc
	v_cmp_eq_u32_e32 vcc, 11, v65
	v_cndmask_b32_e32 v68, v68, v28, vcc
	v_cmp_eq_u32_e32 vcc, 12, v65
	;; [unrolled: 2-line block ×4, first 2 shown]
	v_add_co_u32_e64 v65, s[2:3], 1, v65
	v_cndmask_b32_e32 v68, v68, v31, vcc
	v_add_u32_e32 v66, 4, v66
	v_addc_co_u32_e64 v67, s[2:3], 0, v67, s[2:3]
	s_waitcnt lgkmcnt(0)
	v_fmac_f32_e32 v64, v68, v69
	s_andn2_b64 exec, exec, s[10:11]
	s_cbranch_execnz .LBB14_109
; %bb.110:
	s_or_b64 exec, exec, s[10:11]
.LBB14_111:
	s_or_b64 exec, exec, s[8:9]
.LBB14_112:
	s_or_b64 exec, exec, s[6:7]
	v_mov_b32_e32 v23, 0
	ds_read_b32 v23, v23 offset:24
	s_waitcnt lgkmcnt(0)
	v_mul_f32_e32 v23, v64, v23
.LBB14_113:
	s_or_b64 exec, exec, s[4:5]
	v_cmp_lt_u32_e64 s[2:3], 5, v0
	ds_write_b32 v63, v22
	s_waitcnt lgkmcnt(0)
	; wave barrier
	s_and_saveexec_b64 s[4:5], s[2:3]
	s_cbranch_execz .LBB14_129
; %bb.114:
	s_andn2_b64 vcc, exec, s[30:31]
	s_cbranch_vccnz .LBB14_116
; %bb.115:
	v_cmp_eq_u32_e32 vcc, 1, v0
	v_cndmask_b32_e32 v64, v17, v18, vcc
	v_cmp_eq_u32_e32 vcc, 2, v0
	v_cndmask_b32_e32 v64, v64, v19, vcc
	;; [unrolled: 2-line block ×10, first 2 shown]
	v_cmp_eq_u32_e32 vcc, 11, v0
	ds_read_b32 v65, v63
	v_cndmask_b32_e32 v64, v64, v28, vcc
	v_cmp_eq_u32_e32 vcc, 12, v0
	v_cndmask_b32_e32 v64, v64, v29, vcc
	v_cmp_eq_u32_e32 vcc, 13, v0
	;; [unrolled: 2-line block ×3, first 2 shown]
	v_cndmask_b32_e32 v64, v64, v31, vcc
	s_waitcnt lgkmcnt(0)
	v_mul_f32_e32 v64, v64, v65
	s_cbranch_execz .LBB14_117
	s_branch .LBB14_118
.LBB14_116:
                                        ; implicit-def: $vgpr64
.LBB14_117:
	ds_read_b32 v64, v63
.LBB14_118:
	s_and_saveexec_b64 s[6:7], s[0:1]
	s_cbranch_execz .LBB14_128
; %bb.119:
	v_add_u32_e32 v67, -7, v0
	v_add_u32_e32 v66, -6, v0
	v_mov_b32_e32 v65, 6
	v_cmp_lt_u32_e32 vcc, 6, v67
	s_and_saveexec_b64 s[0:1], vcc
	s_cbranch_execz .LBB14_123
; %bb.120:
	v_and_b32_e32 v65, -8, v66
	v_sub_u32_e32 v67, 0, v65
	s_mov_b64 s[8:9], 13
	s_movk_i32 s12, 0x58
	s_mov_b64 s[10:11], 0
.LBB14_121:                             ; =>This Inner Loop Header: Depth=1
	s_add_i32 s13, s8, -7
	v_mov_b32_e32 v65, s12
	s_add_i32 s14, s8, -6
	s_set_gpr_idx_on s13, gpr_idx(SRC0)
	v_mov_b32_e32 v76, v17
	s_set_gpr_idx_off
	ds_read2_b64 v[68:71], v65 offset1:1
	s_add_i32 s15, s8, -5
	s_set_gpr_idx_on s14, gpr_idx(SRC0)
	v_mov_b32_e32 v77, v17
	s_set_gpr_idx_off
	s_add_i32 s16, s8, -4
	s_set_gpr_idx_on s15, gpr_idx(SRC0)
	v_mov_b32_e32 v78, v17
	s_set_gpr_idx_off
	;; [unrolled: 4-line block ×4, first 2 shown]
	ds_read2_b64 v[72:75], v65 offset0:2 offset1:3
	s_add_i32 s19, s8, -1
	s_waitcnt lgkmcnt(1)
	v_fmac_f32_e32 v64, v76, v68
	s_set_gpr_idx_on s18, gpr_idx(SRC0)
	v_mov_b32_e32 v68, v17
	s_set_gpr_idx_off
	v_fmac_f32_e32 v64, v77, v69
	s_set_gpr_idx_on s19, gpr_idx(SRC0)
	v_mov_b32_e32 v69, v17
	s_set_gpr_idx_off
	;; [unrolled: 4-line block ×3, first 2 shown]
	v_fmac_f32_e32 v64, v79, v71
	s_add_u32 s8, s8, 8
	s_waitcnt lgkmcnt(0)
	v_fmac_f32_e32 v64, v80, v72
	v_add_u32_e32 v65, s8, v67
	v_fmac_f32_e32 v64, v68, v73
	s_addc_u32 s9, s9, 0
	s_add_i32 s12, s12, 32
	s_add_i32 s13, s8, -7
	v_cmp_eq_u32_e32 vcc, 13, v65
	v_fmac_f32_e32 v64, v69, v74
	v_mov_b32_e32 v65, s13
	s_or_b64 s[10:11], vcc, s[10:11]
	v_fmac_f32_e32 v64, v70, v75
	s_andn2_b64 exec, exec, s[10:11]
	s_cbranch_execnz .LBB14_121
; %bb.122:
	s_or_b64 exec, exec, s[10:11]
.LBB14_123:
	s_or_b64 exec, exec, s[0:1]
	v_and_b32_e32 v32, 7, v66
	v_cmp_ne_u32_e32 vcc, 0, v32
	s_and_saveexec_b64 s[8:9], vcc
	s_cbranch_execz .LBB14_127
; %bb.124:
	v_lshl_add_u32 v66, v65, 2, 64
	v_mov_b32_e32 v67, 0
	s_mov_b64 s[10:11], 0
.LBB14_125:                             ; =>This Inner Loop Header: Depth=1
	v_cmp_eq_u32_e32 vcc, 1, v65
	v_cndmask_b32_e32 v68, v17, v18, vcc
	v_add_u32_e32 v32, -1, v32
	v_cmp_eq_u32_e32 vcc, 2, v65
	v_cndmask_b32_e32 v68, v68, v19, vcc
	v_cmp_eq_u32_e32 vcc, 0, v32
	v_cmp_eq_u32_e64 s[0:1], 3, v65
	v_cndmask_b32_e64 v68, v68, v20, s[0:1]
	s_or_b64 s[10:11], vcc, s[10:11]
	v_cmp_eq_u32_e32 vcc, 4, v65
	v_cndmask_b32_e32 v68, v68, v21, vcc
	v_cmp_eq_u32_e32 vcc, 5, v65
	v_cndmask_b32_e32 v68, v68, v22, vcc
	;; [unrolled: 2-line block ×6, first 2 shown]
	v_cmp_eq_u32_e32 vcc, 10, v65
	ds_read_b32 v69, v66
	v_cndmask_b32_e32 v68, v68, v27, vcc
	v_cmp_eq_u32_e32 vcc, 11, v65
	v_cndmask_b32_e32 v68, v68, v28, vcc
	v_cmp_eq_u32_e32 vcc, 12, v65
	;; [unrolled: 2-line block ×4, first 2 shown]
	v_add_co_u32_e64 v65, s[0:1], 1, v65
	v_cndmask_b32_e32 v68, v68, v31, vcc
	v_add_u32_e32 v66, 4, v66
	v_addc_co_u32_e64 v67, s[0:1], 0, v67, s[0:1]
	s_waitcnt lgkmcnt(0)
	v_fmac_f32_e32 v64, v68, v69
	s_andn2_b64 exec, exec, s[10:11]
	s_cbranch_execnz .LBB14_125
; %bb.126:
	s_or_b64 exec, exec, s[10:11]
.LBB14_127:
	s_or_b64 exec, exec, s[8:9]
.LBB14_128:
	s_or_b64 exec, exec, s[6:7]
	v_mov_b32_e32 v22, 0
	ds_read_b32 v22, v22 offset:20
	s_waitcnt lgkmcnt(0)
	v_mul_f32_e32 v22, v64, v22
.LBB14_129:
	s_or_b64 exec, exec, s[4:5]
	v_cmp_lt_u32_e64 s[0:1], 4, v0
	ds_write_b32 v63, v21
	s_waitcnt lgkmcnt(0)
	; wave barrier
	s_and_saveexec_b64 s[4:5], s[0:1]
	s_cbranch_execz .LBB14_145
; %bb.130:
	s_andn2_b64 vcc, exec, s[30:31]
	s_cbranch_vccnz .LBB14_132
; %bb.131:
	v_cmp_eq_u32_e32 vcc, 1, v0
	v_cndmask_b32_e32 v64, v17, v18, vcc
	v_cmp_eq_u32_e32 vcc, 2, v0
	v_cndmask_b32_e32 v64, v64, v19, vcc
	;; [unrolled: 2-line block ×10, first 2 shown]
	v_cmp_eq_u32_e32 vcc, 11, v0
	ds_read_b32 v65, v63
	v_cndmask_b32_e32 v64, v64, v28, vcc
	v_cmp_eq_u32_e32 vcc, 12, v0
	v_cndmask_b32_e32 v64, v64, v29, vcc
	v_cmp_eq_u32_e32 vcc, 13, v0
	;; [unrolled: 2-line block ×3, first 2 shown]
	v_cndmask_b32_e32 v64, v64, v31, vcc
	s_waitcnt lgkmcnt(0)
	v_mul_f32_e32 v64, v64, v65
	s_cbranch_execz .LBB14_133
	s_branch .LBB14_134
.LBB14_132:
                                        ; implicit-def: $vgpr64
.LBB14_133:
	ds_read_b32 v64, v63
.LBB14_134:
	s_and_saveexec_b64 s[6:7], s[2:3]
	s_cbranch_execz .LBB14_144
; %bb.135:
	v_add_u32_e32 v65, -6, v0
	v_add_u32_e32 v66, -5, v0
	v_cmp_lt_u32_e32 vcc, 6, v65
	v_mov_b32_e32 v65, 5
	s_and_saveexec_b64 s[2:3], vcc
	s_cbranch_execz .LBB14_139
; %bb.136:
	v_and_b32_e32 v65, -8, v66
	v_sub_u32_e32 v67, 0, v65
	s_mov_b64 s[8:9], 12
	s_movk_i32 s12, 0x54
	s_mov_b64 s[10:11], 0
.LBB14_137:                             ; =>This Inner Loop Header: Depth=1
	s_add_i32 s13, s8, -7
	v_mov_b32_e32 v65, s12
	s_add_i32 s14, s8, -6
	s_set_gpr_idx_on s13, gpr_idx(SRC0)
	v_mov_b32_e32 v74, v17
	s_set_gpr_idx_off
	ds_read2_b32 v[68:69], v65 offset1:1
	s_add_i32 s15, s8, -5
	s_set_gpr_idx_on s14, gpr_idx(SRC0)
	v_mov_b32_e32 v75, v17
	s_set_gpr_idx_off
	s_add_i32 s16, s8, -4
	s_set_gpr_idx_on s15, gpr_idx(SRC0)
	v_mov_b32_e32 v76, v17
	s_set_gpr_idx_off
	ds_read2_b32 v[70:71], v65 offset0:2 offset1:3
	s_add_i32 s17, s8, -3
	s_set_gpr_idx_on s16, gpr_idx(SRC0)
	v_mov_b32_e32 v77, v17
	s_set_gpr_idx_off
	s_add_i32 s18, s8, -2
	s_set_gpr_idx_on s17, gpr_idx(SRC0)
	v_mov_b32_e32 v78, v17
	s_set_gpr_idx_off
	ds_read2_b32 v[72:73], v65 offset0:4 offset1:5
	s_add_i32 s19, s8, -1
	s_waitcnt lgkmcnt(2)
	v_fmac_f32_e32 v64, v74, v68
	s_set_gpr_idx_on s18, gpr_idx(SRC0)
	v_mov_b32_e32 v74, v17
	s_set_gpr_idx_off
	v_fmac_f32_e32 v64, v75, v69
	s_set_gpr_idx_on s19, gpr_idx(SRC0)
	v_mov_b32_e32 v75, v17
	s_set_gpr_idx_off
	ds_read2_b32 v[68:69], v65 offset0:6 offset1:7
	s_waitcnt lgkmcnt(2)
	v_fmac_f32_e32 v64, v76, v70
	s_set_gpr_idx_on s8, gpr_idx(SRC0)
	v_mov_b32_e32 v70, v17
	s_set_gpr_idx_off
	v_fmac_f32_e32 v64, v77, v71
	s_add_u32 s8, s8, 8
	s_waitcnt lgkmcnt(1)
	v_fmac_f32_e32 v64, v78, v72
	v_add_u32_e32 v65, s8, v67
	v_fmac_f32_e32 v64, v74, v73
	s_addc_u32 s9, s9, 0
	s_add_i32 s12, s12, 32
	s_add_i32 s13, s8, -7
	v_cmp_eq_u32_e32 vcc, 12, v65
	s_waitcnt lgkmcnt(0)
	v_fmac_f32_e32 v64, v75, v68
	v_mov_b32_e32 v65, s13
	s_or_b64 s[10:11], vcc, s[10:11]
	v_fmac_f32_e32 v64, v70, v69
	s_andn2_b64 exec, exec, s[10:11]
	s_cbranch_execnz .LBB14_137
; %bb.138:
	s_or_b64 exec, exec, s[10:11]
.LBB14_139:
	s_or_b64 exec, exec, s[2:3]
	v_and_b32_e32 v32, 7, v66
	v_cmp_ne_u32_e32 vcc, 0, v32
	s_and_saveexec_b64 s[8:9], vcc
	s_cbranch_execz .LBB14_143
; %bb.140:
	v_lshl_add_u32 v66, v65, 2, 64
	v_mov_b32_e32 v67, 0
	s_mov_b64 s[10:11], 0
.LBB14_141:                             ; =>This Inner Loop Header: Depth=1
	v_cmp_eq_u32_e32 vcc, 1, v65
	v_cndmask_b32_e32 v68, v17, v18, vcc
	v_add_u32_e32 v32, -1, v32
	v_cmp_eq_u32_e32 vcc, 2, v65
	v_cndmask_b32_e32 v68, v68, v19, vcc
	v_cmp_eq_u32_e32 vcc, 0, v32
	v_cmp_eq_u32_e64 s[2:3], 3, v65
	v_cndmask_b32_e64 v68, v68, v20, s[2:3]
	s_or_b64 s[10:11], vcc, s[10:11]
	v_cmp_eq_u32_e32 vcc, 4, v65
	v_cndmask_b32_e32 v68, v68, v21, vcc
	v_cmp_eq_u32_e32 vcc, 5, v65
	v_cndmask_b32_e32 v68, v68, v22, vcc
	;; [unrolled: 2-line block ×6, first 2 shown]
	v_cmp_eq_u32_e32 vcc, 10, v65
	ds_read_b32 v69, v66
	v_cndmask_b32_e32 v68, v68, v27, vcc
	v_cmp_eq_u32_e32 vcc, 11, v65
	v_cndmask_b32_e32 v68, v68, v28, vcc
	v_cmp_eq_u32_e32 vcc, 12, v65
	;; [unrolled: 2-line block ×4, first 2 shown]
	v_add_co_u32_e64 v65, s[2:3], 1, v65
	v_cndmask_b32_e32 v68, v68, v31, vcc
	v_add_u32_e32 v66, 4, v66
	v_addc_co_u32_e64 v67, s[2:3], 0, v67, s[2:3]
	s_waitcnt lgkmcnt(0)
	v_fmac_f32_e32 v64, v68, v69
	s_andn2_b64 exec, exec, s[10:11]
	s_cbranch_execnz .LBB14_141
; %bb.142:
	s_or_b64 exec, exec, s[10:11]
.LBB14_143:
	s_or_b64 exec, exec, s[8:9]
.LBB14_144:
	s_or_b64 exec, exec, s[6:7]
	v_mov_b32_e32 v21, 0
	ds_read_b32 v21, v21 offset:16
	s_waitcnt lgkmcnt(0)
	v_mul_f32_e32 v21, v64, v21
.LBB14_145:
	s_or_b64 exec, exec, s[4:5]
	v_cmp_lt_u32_e64 s[2:3], 3, v0
	ds_write_b32 v63, v20
	s_waitcnt lgkmcnt(0)
	; wave barrier
	s_and_saveexec_b64 s[4:5], s[2:3]
	s_cbranch_execz .LBB14_161
; %bb.146:
	s_andn2_b64 vcc, exec, s[30:31]
	s_cbranch_vccnz .LBB14_148
; %bb.147:
	v_cmp_eq_u32_e32 vcc, 1, v0
	v_cndmask_b32_e32 v64, v17, v18, vcc
	v_cmp_eq_u32_e32 vcc, 2, v0
	v_cndmask_b32_e32 v64, v64, v19, vcc
	;; [unrolled: 2-line block ×10, first 2 shown]
	v_cmp_eq_u32_e32 vcc, 11, v0
	ds_read_b32 v65, v63
	v_cndmask_b32_e32 v64, v64, v28, vcc
	v_cmp_eq_u32_e32 vcc, 12, v0
	v_cndmask_b32_e32 v64, v64, v29, vcc
	v_cmp_eq_u32_e32 vcc, 13, v0
	;; [unrolled: 2-line block ×3, first 2 shown]
	v_cndmask_b32_e32 v64, v64, v31, vcc
	s_waitcnt lgkmcnt(0)
	v_mul_f32_e32 v64, v64, v65
	s_cbranch_execz .LBB14_149
	s_branch .LBB14_150
.LBB14_148:
                                        ; implicit-def: $vgpr64
.LBB14_149:
	ds_read_b32 v64, v63
.LBB14_150:
	s_and_saveexec_b64 s[6:7], s[0:1]
	s_cbranch_execz .LBB14_160
; %bb.151:
	v_add_u32_e32 v65, -5, v0
	v_add_u32_e32 v66, -4, v0
	v_cmp_lt_u32_e32 vcc, 6, v65
	v_mov_b32_e32 v65, 4
	s_and_saveexec_b64 s[0:1], vcc
	s_cbranch_execz .LBB14_155
; %bb.152:
	v_and_b32_e32 v65, -8, v66
	v_sub_u32_e32 v67, 0, v65
	s_mov_b64 s[8:9], 5
	s_movk_i32 s12, 0x50
	s_mov_b64 s[10:11], 0
.LBB14_153:                             ; =>This Inner Loop Header: Depth=1
	s_add_i32 s13, s8, -1
	v_mov_b32_e32 v65, s12
	s_set_gpr_idx_on s13, gpr_idx(SRC0)
	v_mov_b32_e32 v76, v17
	s_set_gpr_idx_off
	s_add_i32 s14, s8, 1
	ds_read_b128 v[68:71], v65
	ds_read_b128 v[72:75], v65 offset:16
	s_set_gpr_idx_on s8, gpr_idx(SRC0)
	v_mov_b32_e32 v77, v17
	s_set_gpr_idx_off
	s_add_i32 s15, s8, 2
	s_set_gpr_idx_on s14, gpr_idx(SRC0)
	v_mov_b32_e32 v78, v17
	s_set_gpr_idx_off
	s_add_i32 s16, s8, 3
	;; [unrolled: 4-line block ×4, first 2 shown]
	s_waitcnt lgkmcnt(1)
	v_fmac_f32_e32 v64, v76, v68
	s_set_gpr_idx_on s17, gpr_idx(SRC0)
	v_mov_b32_e32 v68, v17
	s_set_gpr_idx_off
	s_add_i32 s19, s8, 6
	v_fmac_f32_e32 v64, v77, v69
	s_set_gpr_idx_on s18, gpr_idx(SRC0)
	v_mov_b32_e32 v69, v17
	s_set_gpr_idx_off
	v_fmac_f32_e32 v64, v78, v70
	s_set_gpr_idx_on s19, gpr_idx(SRC0)
	v_mov_b32_e32 v70, v17
	s_set_gpr_idx_off
	v_fmac_f32_e32 v64, v79, v71
	s_add_u32 s8, s8, 8
	s_waitcnt lgkmcnt(0)
	v_fmac_f32_e32 v64, v80, v72
	v_add_u32_e32 v65, s8, v67
	v_fmac_f32_e32 v64, v68, v73
	s_addc_u32 s9, s9, 0
	s_add_i32 s12, s12, 32
	s_add_i32 s13, s8, -1
	v_cmp_eq_u32_e32 vcc, 5, v65
	v_fmac_f32_e32 v64, v69, v74
	v_mov_b32_e32 v65, s13
	s_or_b64 s[10:11], vcc, s[10:11]
	v_fmac_f32_e32 v64, v70, v75
	s_andn2_b64 exec, exec, s[10:11]
	s_cbranch_execnz .LBB14_153
; %bb.154:
	s_or_b64 exec, exec, s[10:11]
.LBB14_155:
	s_or_b64 exec, exec, s[0:1]
	v_and_b32_e32 v32, 7, v66
	v_cmp_ne_u32_e32 vcc, 0, v32
	s_and_saveexec_b64 s[8:9], vcc
	s_cbranch_execz .LBB14_159
; %bb.156:
	v_lshl_add_u32 v66, v65, 2, 64
	v_mov_b32_e32 v67, 0
	s_mov_b64 s[10:11], 0
.LBB14_157:                             ; =>This Inner Loop Header: Depth=1
	v_cmp_eq_u32_e32 vcc, 1, v65
	v_cndmask_b32_e32 v68, v17, v18, vcc
	v_add_u32_e32 v32, -1, v32
	v_cmp_eq_u32_e32 vcc, 2, v65
	v_cndmask_b32_e32 v68, v68, v19, vcc
	v_cmp_eq_u32_e32 vcc, 0, v32
	v_cmp_eq_u32_e64 s[0:1], 3, v65
	v_cndmask_b32_e64 v68, v68, v20, s[0:1]
	s_or_b64 s[10:11], vcc, s[10:11]
	v_cmp_eq_u32_e32 vcc, 4, v65
	v_cndmask_b32_e32 v68, v68, v21, vcc
	v_cmp_eq_u32_e32 vcc, 5, v65
	v_cndmask_b32_e32 v68, v68, v22, vcc
	;; [unrolled: 2-line block ×6, first 2 shown]
	v_cmp_eq_u32_e32 vcc, 10, v65
	ds_read_b32 v69, v66
	v_cndmask_b32_e32 v68, v68, v27, vcc
	v_cmp_eq_u32_e32 vcc, 11, v65
	v_cndmask_b32_e32 v68, v68, v28, vcc
	v_cmp_eq_u32_e32 vcc, 12, v65
	;; [unrolled: 2-line block ×4, first 2 shown]
	v_add_co_u32_e64 v65, s[0:1], 1, v65
	v_cndmask_b32_e32 v68, v68, v31, vcc
	v_add_u32_e32 v66, 4, v66
	v_addc_co_u32_e64 v67, s[0:1], 0, v67, s[0:1]
	s_waitcnt lgkmcnt(0)
	v_fmac_f32_e32 v64, v68, v69
	s_andn2_b64 exec, exec, s[10:11]
	s_cbranch_execnz .LBB14_157
; %bb.158:
	s_or_b64 exec, exec, s[10:11]
.LBB14_159:
	s_or_b64 exec, exec, s[8:9]
.LBB14_160:
	s_or_b64 exec, exec, s[6:7]
	v_mov_b32_e32 v20, 0
	ds_read_b32 v20, v20 offset:12
	s_waitcnt lgkmcnt(0)
	v_mul_f32_e32 v20, v64, v20
.LBB14_161:
	s_or_b64 exec, exec, s[4:5]
	v_cmp_lt_u32_e64 s[0:1], 2, v0
	ds_write_b32 v63, v19
	s_waitcnt lgkmcnt(0)
	; wave barrier
	s_and_saveexec_b64 s[4:5], s[0:1]
	s_cbranch_execz .LBB14_177
; %bb.162:
	s_andn2_b64 vcc, exec, s[30:31]
	s_cbranch_vccnz .LBB14_164
; %bb.163:
	v_cmp_eq_u32_e32 vcc, 1, v0
	v_cndmask_b32_e32 v64, v17, v18, vcc
	v_cmp_eq_u32_e32 vcc, 2, v0
	v_cndmask_b32_e32 v64, v64, v19, vcc
	;; [unrolled: 2-line block ×10, first 2 shown]
	v_cmp_eq_u32_e32 vcc, 11, v0
	ds_read_b32 v65, v63
	v_cndmask_b32_e32 v64, v64, v28, vcc
	v_cmp_eq_u32_e32 vcc, 12, v0
	v_cndmask_b32_e32 v64, v64, v29, vcc
	v_cmp_eq_u32_e32 vcc, 13, v0
	;; [unrolled: 2-line block ×3, first 2 shown]
	v_cndmask_b32_e32 v64, v64, v31, vcc
	s_waitcnt lgkmcnt(0)
	v_mul_f32_e32 v64, v64, v65
	s_cbranch_execz .LBB14_165
	s_branch .LBB14_166
.LBB14_164:
                                        ; implicit-def: $vgpr64
.LBB14_165:
	ds_read_b32 v64, v63
.LBB14_166:
	s_and_saveexec_b64 s[6:7], s[2:3]
	s_cbranch_execz .LBB14_176
; %bb.167:
	v_add_u32_e32 v65, -4, v0
	v_add_u32_e32 v66, -3, v0
	v_cmp_lt_u32_e32 vcc, 6, v65
	v_mov_b32_e32 v65, 3
	s_and_saveexec_b64 s[2:3], vcc
	s_cbranch_execz .LBB14_171
; %bb.168:
	v_and_b32_e32 v65, -8, v66
	v_sub_u32_e32 v67, 0, v65
	s_mov_b64 s[8:9], 10
	s_movk_i32 s12, 0x4c
	s_mov_b64 s[10:11], 0
.LBB14_169:                             ; =>This Inner Loop Header: Depth=1
	s_add_i32 s13, s8, -7
	v_mov_b32_e32 v65, s12
	s_add_i32 s14, s8, -6
	s_set_gpr_idx_on s13, gpr_idx(SRC0)
	v_mov_b32_e32 v74, v17
	s_set_gpr_idx_off
	ds_read2_b32 v[68:69], v65 offset1:1
	s_add_i32 s15, s8, -5
	s_set_gpr_idx_on s14, gpr_idx(SRC0)
	v_mov_b32_e32 v75, v17
	s_set_gpr_idx_off
	s_add_i32 s16, s8, -4
	s_set_gpr_idx_on s15, gpr_idx(SRC0)
	v_mov_b32_e32 v76, v17
	s_set_gpr_idx_off
	ds_read2_b32 v[70:71], v65 offset0:2 offset1:3
	s_add_i32 s17, s8, -3
	s_set_gpr_idx_on s16, gpr_idx(SRC0)
	v_mov_b32_e32 v77, v17
	s_set_gpr_idx_off
	s_add_i32 s18, s8, -2
	s_set_gpr_idx_on s17, gpr_idx(SRC0)
	v_mov_b32_e32 v78, v17
	s_set_gpr_idx_off
	ds_read2_b32 v[72:73], v65 offset0:4 offset1:5
	s_add_i32 s19, s8, -1
	s_waitcnt lgkmcnt(2)
	v_fmac_f32_e32 v64, v74, v68
	s_set_gpr_idx_on s18, gpr_idx(SRC0)
	v_mov_b32_e32 v74, v17
	s_set_gpr_idx_off
	v_fmac_f32_e32 v64, v75, v69
	s_set_gpr_idx_on s19, gpr_idx(SRC0)
	v_mov_b32_e32 v75, v17
	s_set_gpr_idx_off
	ds_read2_b32 v[68:69], v65 offset0:6 offset1:7
	s_waitcnt lgkmcnt(2)
	v_fmac_f32_e32 v64, v76, v70
	s_set_gpr_idx_on s8, gpr_idx(SRC0)
	v_mov_b32_e32 v70, v17
	s_set_gpr_idx_off
	v_fmac_f32_e32 v64, v77, v71
	s_add_u32 s8, s8, 8
	s_waitcnt lgkmcnt(1)
	v_fmac_f32_e32 v64, v78, v72
	v_add_u32_e32 v65, s8, v67
	v_fmac_f32_e32 v64, v74, v73
	s_addc_u32 s9, s9, 0
	s_add_i32 s12, s12, 32
	s_add_i32 s13, s8, -7
	v_cmp_eq_u32_e32 vcc, 10, v65
	s_waitcnt lgkmcnt(0)
	v_fmac_f32_e32 v64, v75, v68
	v_mov_b32_e32 v65, s13
	s_or_b64 s[10:11], vcc, s[10:11]
	v_fmac_f32_e32 v64, v70, v69
	s_andn2_b64 exec, exec, s[10:11]
	s_cbranch_execnz .LBB14_169
; %bb.170:
	s_or_b64 exec, exec, s[10:11]
.LBB14_171:
	s_or_b64 exec, exec, s[2:3]
	v_and_b32_e32 v32, 7, v66
	v_cmp_ne_u32_e32 vcc, 0, v32
	s_and_saveexec_b64 s[8:9], vcc
	s_cbranch_execz .LBB14_175
; %bb.172:
	v_lshl_add_u32 v66, v65, 2, 64
	v_mov_b32_e32 v67, 0
	s_mov_b64 s[10:11], 0
.LBB14_173:                             ; =>This Inner Loop Header: Depth=1
	v_cmp_eq_u32_e32 vcc, 1, v65
	v_cndmask_b32_e32 v68, v17, v18, vcc
	v_add_u32_e32 v32, -1, v32
	v_cmp_eq_u32_e32 vcc, 2, v65
	v_cndmask_b32_e32 v68, v68, v19, vcc
	v_cmp_eq_u32_e32 vcc, 0, v32
	v_cmp_eq_u32_e64 s[2:3], 3, v65
	v_cndmask_b32_e64 v68, v68, v20, s[2:3]
	s_or_b64 s[10:11], vcc, s[10:11]
	v_cmp_eq_u32_e32 vcc, 4, v65
	v_cndmask_b32_e32 v68, v68, v21, vcc
	v_cmp_eq_u32_e32 vcc, 5, v65
	v_cndmask_b32_e32 v68, v68, v22, vcc
	;; [unrolled: 2-line block ×6, first 2 shown]
	v_cmp_eq_u32_e32 vcc, 10, v65
	ds_read_b32 v69, v66
	v_cndmask_b32_e32 v68, v68, v27, vcc
	v_cmp_eq_u32_e32 vcc, 11, v65
	v_cndmask_b32_e32 v68, v68, v28, vcc
	v_cmp_eq_u32_e32 vcc, 12, v65
	;; [unrolled: 2-line block ×4, first 2 shown]
	v_add_co_u32_e64 v65, s[2:3], 1, v65
	v_cndmask_b32_e32 v68, v68, v31, vcc
	v_add_u32_e32 v66, 4, v66
	v_addc_co_u32_e64 v67, s[2:3], 0, v67, s[2:3]
	s_waitcnt lgkmcnt(0)
	v_fmac_f32_e32 v64, v68, v69
	s_andn2_b64 exec, exec, s[10:11]
	s_cbranch_execnz .LBB14_173
; %bb.174:
	s_or_b64 exec, exec, s[10:11]
.LBB14_175:
	s_or_b64 exec, exec, s[8:9]
.LBB14_176:
	s_or_b64 exec, exec, s[6:7]
	v_mov_b32_e32 v19, 0
	ds_read_b32 v19, v19 offset:8
	s_waitcnt lgkmcnt(0)
	v_mul_f32_e32 v19, v64, v19
.LBB14_177:
	s_or_b64 exec, exec, s[4:5]
	v_cmp_lt_u32_e64 s[2:3], 1, v0
	ds_write_b32 v63, v18
	s_waitcnt lgkmcnt(0)
	; wave barrier
	s_and_saveexec_b64 s[4:5], s[2:3]
	s_cbranch_execz .LBB14_193
; %bb.178:
	s_andn2_b64 vcc, exec, s[30:31]
	s_cbranch_vccnz .LBB14_180
; %bb.179:
	v_cmp_eq_u32_e32 vcc, 1, v0
	v_cndmask_b32_e32 v64, v17, v18, vcc
	v_cmp_eq_u32_e32 vcc, 2, v0
	v_cndmask_b32_e32 v64, v64, v19, vcc
	;; [unrolled: 2-line block ×10, first 2 shown]
	v_cmp_eq_u32_e32 vcc, 11, v0
	ds_read_b32 v65, v63
	v_cndmask_b32_e32 v64, v64, v28, vcc
	v_cmp_eq_u32_e32 vcc, 12, v0
	v_cndmask_b32_e32 v64, v64, v29, vcc
	v_cmp_eq_u32_e32 vcc, 13, v0
	;; [unrolled: 2-line block ×3, first 2 shown]
	v_cndmask_b32_e32 v64, v64, v31, vcc
	s_waitcnt lgkmcnt(0)
	v_mul_f32_e32 v64, v64, v65
	s_cbranch_execz .LBB14_181
	s_branch .LBB14_182
.LBB14_180:
                                        ; implicit-def: $vgpr64
.LBB14_181:
	ds_read_b32 v64, v63
.LBB14_182:
	s_and_saveexec_b64 s[6:7], s[0:1]
	s_cbranch_execz .LBB14_192
; %bb.183:
	v_add_u32_e32 v65, -3, v0
	v_add_u32_e32 v66, -2, v0
	v_cmp_lt_u32_e32 vcc, 6, v65
	v_mov_b32_e32 v65, 2
	s_and_saveexec_b64 s[0:1], vcc
	s_cbranch_execz .LBB14_187
; %bb.184:
	v_and_b32_e32 v65, -8, v66
	v_sub_u32_e32 v67, 0, v65
	s_mov_b64 s[8:9], 9
	s_movk_i32 s12, 0x48
	s_mov_b64 s[10:11], 0
.LBB14_185:                             ; =>This Inner Loop Header: Depth=1
	s_add_i32 s13, s8, -7
	v_mov_b32_e32 v65, s12
	s_add_i32 s14, s8, -6
	s_set_gpr_idx_on s13, gpr_idx(SRC0)
	v_mov_b32_e32 v76, v17
	s_set_gpr_idx_off
	ds_read2_b64 v[68:71], v65 offset1:1
	s_add_i32 s15, s8, -5
	s_set_gpr_idx_on s14, gpr_idx(SRC0)
	v_mov_b32_e32 v77, v17
	s_set_gpr_idx_off
	s_add_i32 s16, s8, -4
	s_set_gpr_idx_on s15, gpr_idx(SRC0)
	v_mov_b32_e32 v78, v17
	s_set_gpr_idx_off
	;; [unrolled: 4-line block ×4, first 2 shown]
	ds_read2_b64 v[72:75], v65 offset0:2 offset1:3
	s_add_i32 s19, s8, -1
	s_waitcnt lgkmcnt(1)
	v_fmac_f32_e32 v64, v76, v68
	s_set_gpr_idx_on s18, gpr_idx(SRC0)
	v_mov_b32_e32 v68, v17
	s_set_gpr_idx_off
	v_fmac_f32_e32 v64, v77, v69
	s_set_gpr_idx_on s19, gpr_idx(SRC0)
	v_mov_b32_e32 v69, v17
	s_set_gpr_idx_off
	;; [unrolled: 4-line block ×3, first 2 shown]
	v_fmac_f32_e32 v64, v79, v71
	s_add_u32 s8, s8, 8
	s_waitcnt lgkmcnt(0)
	v_fmac_f32_e32 v64, v80, v72
	v_add_u32_e32 v65, s8, v67
	v_fmac_f32_e32 v64, v68, v73
	s_addc_u32 s9, s9, 0
	s_add_i32 s12, s12, 32
	s_add_i32 s13, s8, -7
	v_cmp_eq_u32_e32 vcc, 9, v65
	v_fmac_f32_e32 v64, v69, v74
	v_mov_b32_e32 v65, s13
	s_or_b64 s[10:11], vcc, s[10:11]
	v_fmac_f32_e32 v64, v70, v75
	s_andn2_b64 exec, exec, s[10:11]
	s_cbranch_execnz .LBB14_185
; %bb.186:
	s_or_b64 exec, exec, s[10:11]
.LBB14_187:
	s_or_b64 exec, exec, s[0:1]
	v_and_b32_e32 v32, 7, v66
	v_cmp_ne_u32_e32 vcc, 0, v32
	s_and_saveexec_b64 s[8:9], vcc
	s_cbranch_execz .LBB14_191
; %bb.188:
	v_lshl_add_u32 v66, v65, 2, 64
	v_mov_b32_e32 v67, 0
	s_mov_b64 s[10:11], 0
.LBB14_189:                             ; =>This Inner Loop Header: Depth=1
	v_cmp_eq_u32_e32 vcc, 1, v65
	v_cndmask_b32_e32 v68, v17, v18, vcc
	v_add_u32_e32 v32, -1, v32
	v_cmp_eq_u32_e32 vcc, 2, v65
	v_cndmask_b32_e32 v68, v68, v19, vcc
	v_cmp_eq_u32_e32 vcc, 0, v32
	v_cmp_eq_u32_e64 s[0:1], 3, v65
	v_cndmask_b32_e64 v68, v68, v20, s[0:1]
	s_or_b64 s[10:11], vcc, s[10:11]
	v_cmp_eq_u32_e32 vcc, 4, v65
	v_cndmask_b32_e32 v68, v68, v21, vcc
	v_cmp_eq_u32_e32 vcc, 5, v65
	v_cndmask_b32_e32 v68, v68, v22, vcc
	;; [unrolled: 2-line block ×6, first 2 shown]
	v_cmp_eq_u32_e32 vcc, 10, v65
	ds_read_b32 v69, v66
	v_cndmask_b32_e32 v68, v68, v27, vcc
	v_cmp_eq_u32_e32 vcc, 11, v65
	v_cndmask_b32_e32 v68, v68, v28, vcc
	v_cmp_eq_u32_e32 vcc, 12, v65
	;; [unrolled: 2-line block ×4, first 2 shown]
	v_add_co_u32_e64 v65, s[0:1], 1, v65
	v_cndmask_b32_e32 v68, v68, v31, vcc
	v_add_u32_e32 v66, 4, v66
	v_addc_co_u32_e64 v67, s[0:1], 0, v67, s[0:1]
	s_waitcnt lgkmcnt(0)
	v_fmac_f32_e32 v64, v68, v69
	s_andn2_b64 exec, exec, s[10:11]
	s_cbranch_execnz .LBB14_189
; %bb.190:
	s_or_b64 exec, exec, s[10:11]
.LBB14_191:
	s_or_b64 exec, exec, s[8:9]
.LBB14_192:
	s_or_b64 exec, exec, s[6:7]
	v_mov_b32_e32 v18, 0
	ds_read_b32 v18, v18 offset:4
	s_waitcnt lgkmcnt(0)
	v_mul_f32_e32 v18, v64, v18
.LBB14_193:
	s_or_b64 exec, exec, s[4:5]
	v_cmp_ne_u32_e32 vcc, 0, v0
	ds_write_b32 v63, v17
	s_waitcnt lgkmcnt(0)
	; wave barrier
	s_and_saveexec_b64 s[4:5], vcc
	s_cbranch_execz .LBB14_209
; %bb.194:
	s_andn2_b64 vcc, exec, s[30:31]
	s_cbranch_vccnz .LBB14_196
; %bb.195:
	v_cmp_eq_u32_e32 vcc, 1, v0
	v_cndmask_b32_e32 v64, v17, v18, vcc
	v_cmp_eq_u32_e32 vcc, 2, v0
	v_cndmask_b32_e32 v64, v64, v19, vcc
	v_cmp_eq_u32_e32 vcc, 3, v0
	v_cndmask_b32_e32 v64, v64, v20, vcc
	v_cmp_eq_u32_e32 vcc, 4, v0
	v_cndmask_b32_e32 v64, v64, v21, vcc
	v_cmp_eq_u32_e32 vcc, 5, v0
	v_cndmask_b32_e32 v64, v64, v22, vcc
	v_cmp_eq_u32_e32 vcc, 6, v0
	v_cndmask_b32_e32 v64, v64, v23, vcc
	v_cmp_eq_u32_e32 vcc, 7, v0
	v_cndmask_b32_e32 v64, v64, v24, vcc
	v_cmp_eq_u32_e32 vcc, 8, v0
	v_cndmask_b32_e32 v64, v64, v25, vcc
	v_cmp_eq_u32_e32 vcc, 9, v0
	v_cndmask_b32_e32 v64, v64, v26, vcc
	v_cmp_eq_u32_e32 vcc, 10, v0
	v_cndmask_b32_e32 v64, v64, v27, vcc
	v_cmp_eq_u32_e32 vcc, 11, v0
	ds_read_b32 v65, v63
	v_cndmask_b32_e32 v64, v64, v28, vcc
	v_cmp_eq_u32_e32 vcc, 12, v0
	v_cndmask_b32_e32 v64, v64, v29, vcc
	v_cmp_eq_u32_e32 vcc, 13, v0
	;; [unrolled: 2-line block ×3, first 2 shown]
	v_cndmask_b32_e32 v64, v64, v31, vcc
	s_waitcnt lgkmcnt(0)
	v_mul_f32_e32 v64, v64, v65
	s_cbranch_execz .LBB14_197
	s_branch .LBB14_198
.LBB14_196:
                                        ; implicit-def: $vgpr64
.LBB14_197:
	ds_read_b32 v64, v63
.LBB14_198:
	s_and_saveexec_b64 s[6:7], s[2:3]
	s_cbranch_execz .LBB14_208
; %bb.199:
	v_add_u32_e32 v65, -2, v0
	v_add_u32_e32 v66, -1, v0
	v_cmp_lt_u32_e32 vcc, 6, v65
	v_mov_b32_e32 v65, 1
	s_and_saveexec_b64 s[0:1], vcc
	s_cbranch_execz .LBB14_203
; %bb.200:
	v_and_b32_e32 v65, -8, v66
	v_sub_u32_e32 v67, 0, v65
	s_mov_b64 s[2:3], 8
	s_movk_i32 s10, 0x44
	s_mov_b64 s[8:9], 0
.LBB14_201:                             ; =>This Inner Loop Header: Depth=1
	s_add_i32 s11, s2, -7
	v_mov_b32_e32 v65, s10
	s_add_i32 s12, s2, -6
	s_set_gpr_idx_on s11, gpr_idx(SRC0)
	v_mov_b32_e32 v74, v17
	s_set_gpr_idx_off
	ds_read2_b32 v[68:69], v65 offset1:1
	s_add_i32 s13, s2, -5
	s_set_gpr_idx_on s12, gpr_idx(SRC0)
	v_mov_b32_e32 v75, v17
	s_set_gpr_idx_off
	s_add_i32 s14, s2, -4
	s_set_gpr_idx_on s13, gpr_idx(SRC0)
	v_mov_b32_e32 v76, v17
	s_set_gpr_idx_off
	ds_read2_b32 v[70:71], v65 offset0:2 offset1:3
	s_add_i32 s15, s2, -3
	s_set_gpr_idx_on s14, gpr_idx(SRC0)
	v_mov_b32_e32 v77, v17
	s_set_gpr_idx_off
	s_add_i32 s16, s2, -2
	s_set_gpr_idx_on s15, gpr_idx(SRC0)
	v_mov_b32_e32 v78, v17
	s_set_gpr_idx_off
	ds_read2_b32 v[72:73], v65 offset0:4 offset1:5
	s_add_i32 s17, s2, -1
	s_waitcnt lgkmcnt(2)
	v_fmac_f32_e32 v64, v74, v68
	s_set_gpr_idx_on s16, gpr_idx(SRC0)
	v_mov_b32_e32 v74, v17
	s_set_gpr_idx_off
	v_fmac_f32_e32 v64, v75, v69
	s_set_gpr_idx_on s17, gpr_idx(SRC0)
	v_mov_b32_e32 v75, v17
	s_set_gpr_idx_off
	ds_read2_b32 v[68:69], v65 offset0:6 offset1:7
	s_waitcnt lgkmcnt(2)
	v_fmac_f32_e32 v64, v76, v70
	s_set_gpr_idx_on s2, gpr_idx(SRC0)
	v_mov_b32_e32 v70, v17
	s_set_gpr_idx_off
	v_fmac_f32_e32 v64, v77, v71
	s_add_u32 s2, s2, 8
	s_waitcnt lgkmcnt(1)
	v_fmac_f32_e32 v64, v78, v72
	v_add_u32_e32 v65, s2, v67
	v_fmac_f32_e32 v64, v74, v73
	s_addc_u32 s3, s3, 0
	s_add_i32 s10, s10, 32
	s_add_i32 s11, s2, -7
	v_cmp_eq_u32_e32 vcc, 8, v65
	s_waitcnt lgkmcnt(0)
	v_fmac_f32_e32 v64, v75, v68
	v_mov_b32_e32 v65, s11
	s_or_b64 s[8:9], vcc, s[8:9]
	v_fmac_f32_e32 v64, v70, v69
	s_andn2_b64 exec, exec, s[8:9]
	s_cbranch_execnz .LBB14_201
; %bb.202:
	s_or_b64 exec, exec, s[8:9]
.LBB14_203:
	s_or_b64 exec, exec, s[0:1]
	v_and_b32_e32 v32, 7, v66
	v_cmp_ne_u32_e32 vcc, 0, v32
	s_and_saveexec_b64 s[2:3], vcc
	s_cbranch_execz .LBB14_207
; %bb.204:
	v_lshl_add_u32 v66, v65, 2, 64
	v_mov_b32_e32 v67, 0
	s_mov_b64 s[8:9], 0
.LBB14_205:                             ; =>This Inner Loop Header: Depth=1
	v_cmp_eq_u32_e32 vcc, 1, v65
	v_cndmask_b32_e32 v68, v17, v18, vcc
	v_add_u32_e32 v32, -1, v32
	v_cmp_eq_u32_e32 vcc, 2, v65
	v_cndmask_b32_e32 v68, v68, v19, vcc
	v_cmp_eq_u32_e32 vcc, 0, v32
	v_cmp_eq_u32_e64 s[0:1], 3, v65
	v_cndmask_b32_e64 v68, v68, v20, s[0:1]
	s_or_b64 s[8:9], vcc, s[8:9]
	v_cmp_eq_u32_e32 vcc, 4, v65
	v_cndmask_b32_e32 v68, v68, v21, vcc
	v_cmp_eq_u32_e32 vcc, 5, v65
	v_cndmask_b32_e32 v68, v68, v22, vcc
	;; [unrolled: 2-line block ×6, first 2 shown]
	v_cmp_eq_u32_e32 vcc, 10, v65
	ds_read_b32 v69, v66
	v_cndmask_b32_e32 v68, v68, v27, vcc
	v_cmp_eq_u32_e32 vcc, 11, v65
	v_cndmask_b32_e32 v68, v68, v28, vcc
	v_cmp_eq_u32_e32 vcc, 12, v65
	;; [unrolled: 2-line block ×4, first 2 shown]
	v_add_co_u32_e64 v65, s[0:1], 1, v65
	v_cndmask_b32_e32 v68, v68, v31, vcc
	v_add_u32_e32 v66, 4, v66
	v_addc_co_u32_e64 v67, s[0:1], 0, v67, s[0:1]
	s_waitcnt lgkmcnt(0)
	v_fmac_f32_e32 v64, v68, v69
	s_andn2_b64 exec, exec, s[8:9]
	s_cbranch_execnz .LBB14_205
; %bb.206:
	s_or_b64 exec, exec, s[8:9]
.LBB14_207:
	s_or_b64 exec, exec, s[2:3]
.LBB14_208:
	s_or_b64 exec, exec, s[6:7]
	v_mov_b32_e32 v17, 0
	ds_read_b32 v17, v17
	s_waitcnt lgkmcnt(0)
	v_mul_f32_e32 v17, v64, v17
.LBB14_209:
	s_or_b64 exec, exec, s[4:5]
	s_branch .LBB14_353
.LBB14_210:
	v_cmp_eq_u32_e64 s[2:3], 0, v0
	s_waitcnt vmcnt(14)
	ds_write_b32 v63, v3
	s_waitcnt lgkmcnt(0)
	; wave barrier
	s_and_saveexec_b64 s[0:1], s[2:3]
	s_cbranch_execz .LBB14_216
; %bb.211:
	s_and_b64 vcc, exec, s[30:31]
	s_cbranch_vccz .LBB14_213
; %bb.212:
	v_cmp_eq_u32_e32 vcc, 1, v0
	s_waitcnt vmcnt(6)
	v_cndmask_b32_e32 v3, v2, v3, vcc
	v_cmp_eq_u32_e32 vcc, 2, v0
	v_cndmask_b32_e32 v3, v3, v4, vcc
	v_cmp_eq_u32_e32 vcc, 3, v0
	;; [unrolled: 2-line block ×8, first 2 shown]
	s_waitcnt vmcnt(5)
	v_cndmask_b32_e32 v3, v3, v11, vcc
	v_cmp_eq_u32_e32 vcc, 10, v0
	s_waitcnt vmcnt(4)
	v_cndmask_b32_e32 v3, v3, v12, vcc
	v_cmp_eq_u32_e32 vcc, 11, v0
	ds_read_b32 v17, v63
	s_waitcnt vmcnt(3)
	v_cndmask_b32_e32 v3, v3, v13, vcc
	v_cmp_eq_u32_e32 vcc, 12, v0
	s_waitcnt vmcnt(2)
	v_cndmask_b32_e32 v3, v3, v14, vcc
	v_cmp_eq_u32_e32 vcc, 13, v0
	;; [unrolled: 3-line block ×3, first 2 shown]
	s_waitcnt vmcnt(0)
	v_cndmask_b32_e32 v3, v3, v16, vcc
	s_waitcnt lgkmcnt(0)
	v_mul_f32_e32 v3, v3, v17
	s_cbranch_execz .LBB14_214
	s_branch .LBB14_215
.LBB14_213:
                                        ; implicit-def: $vgpr3
.LBB14_214:
	ds_read_b32 v3, v63
.LBB14_215:
	v_mov_b32_e32 v17, 0
	ds_read_b32 v17, v17 offset:4
	s_waitcnt lgkmcnt(0)
	v_mul_f32_e32 v3, v3, v17
.LBB14_216:
	s_or_b64 exec, exec, s[0:1]
	v_cndmask_b32_e64 v17, 0, 1, s[30:31]
	v_cmp_gt_u32_e32 vcc, 2, v0
	v_cmp_ne_u32_e64 s[0:1], 1, v17
	s_waitcnt vmcnt(13)
	ds_write_b32 v63, v4
	s_waitcnt lgkmcnt(0)
	; wave barrier
	s_and_saveexec_b64 s[4:5], vcc
	s_cbranch_execz .LBB14_222
; %bb.217:
	s_and_b64 vcc, exec, s[0:1]
	s_cbranch_vccnz .LBB14_219
; %bb.218:
	v_cmp_eq_u32_e32 vcc, 1, v0
	s_waitcnt vmcnt(6)
	v_cndmask_b32_e32 v17, v2, v3, vcc
	v_cmp_eq_u32_e32 vcc, 2, v0
	v_cndmask_b32_e32 v4, v17, v4, vcc
	v_cmp_eq_u32_e32 vcc, 3, v0
	;; [unrolled: 2-line block ×8, first 2 shown]
	s_waitcnt vmcnt(5)
	v_cndmask_b32_e32 v4, v4, v11, vcc
	v_cmp_eq_u32_e32 vcc, 10, v0
	s_waitcnt vmcnt(4)
	v_cndmask_b32_e32 v4, v4, v12, vcc
	v_cmp_eq_u32_e32 vcc, 11, v0
	ds_read_b32 v17, v63
	s_waitcnt vmcnt(3)
	v_cndmask_b32_e32 v4, v4, v13, vcc
	v_cmp_eq_u32_e32 vcc, 12, v0
	s_waitcnt vmcnt(2)
	v_cndmask_b32_e32 v4, v4, v14, vcc
	v_cmp_eq_u32_e32 vcc, 13, v0
	;; [unrolled: 3-line block ×3, first 2 shown]
	s_waitcnt vmcnt(0)
	v_cndmask_b32_e32 v4, v4, v16, vcc
	s_waitcnt lgkmcnt(0)
	v_mul_f32_e32 v4, v4, v17
	s_cbranch_execz .LBB14_220
	s_branch .LBB14_221
.LBB14_219:
                                        ; implicit-def: $vgpr4
.LBB14_220:
	ds_read_b32 v4, v63
.LBB14_221:
	v_mov_b32_e32 v17, 0
	ds_read2_b32 v[17:18], v17 offset0:2 offset1:17
	s_waitcnt lgkmcnt(0)
	v_fma_f32 v18, v3, v18, v4
	v_cndmask_b32_e64 v4, v4, v18, s[2:3]
	v_mul_f32_e32 v4, v4, v17
.LBB14_222:
	s_or_b64 exec, exec, s[4:5]
	v_add_u32_e32 v19, 1, v0
	v_cmp_gt_u32_e64 s[4:5], 3, v0
	s_waitcnt vmcnt(12)
	ds_write_b32 v63, v5
	s_waitcnt lgkmcnt(0)
	; wave barrier
	s_and_saveexec_b64 s[6:7], s[4:5]
	s_cbranch_execz .LBB14_230
; %bb.223:
	s_and_b64 vcc, exec, s[0:1]
	s_cbranch_vccnz .LBB14_225
; %bb.224:
	v_cmp_eq_u32_e32 vcc, 1, v0
	s_waitcnt vmcnt(6)
	v_cndmask_b32_e32 v17, v2, v3, vcc
	v_cmp_eq_u32_e32 vcc, 2, v0
	v_cndmask_b32_e32 v17, v17, v4, vcc
	v_cmp_eq_u32_e32 vcc, 3, v0
	;; [unrolled: 2-line block ×8, first 2 shown]
	s_waitcnt vmcnt(5)
	v_cndmask_b32_e32 v17, v17, v11, vcc
	v_cmp_eq_u32_e32 vcc, 10, v0
	s_waitcnt vmcnt(4)
	v_cndmask_b32_e32 v17, v17, v12, vcc
	v_cmp_eq_u32_e32 vcc, 11, v0
	ds_read_b32 v18, v63
	s_waitcnt vmcnt(3)
	v_cndmask_b32_e32 v17, v17, v13, vcc
	v_cmp_eq_u32_e32 vcc, 12, v0
	s_waitcnt vmcnt(2)
	v_cndmask_b32_e32 v17, v17, v14, vcc
	v_cmp_eq_u32_e32 vcc, 13, v0
	;; [unrolled: 3-line block ×3, first 2 shown]
	s_waitcnt vmcnt(0)
	v_cndmask_b32_e32 v17, v17, v16, vcc
	s_waitcnt lgkmcnt(0)
	v_mul_f32_e32 v17, v17, v18
	s_cbranch_execz .LBB14_226
	s_branch .LBB14_227
.LBB14_225:
                                        ; implicit-def: $vgpr17
.LBB14_226:
	ds_read_b32 v17, v63
.LBB14_227:
	v_cmp_ne_u32_e32 vcc, 2, v0
	s_and_saveexec_b64 s[8:9], vcc
	s_cbranch_execz .LBB14_229
; %bb.228:
	v_cmp_eq_u32_e32 vcc, 1, v19
	s_waitcnt vmcnt(6)
	v_cndmask_b32_e32 v18, v2, v3, vcc
	v_cmp_eq_u32_e32 vcc, 2, v19
	v_cndmask_b32_e32 v18, v18, v4, vcc
	v_cmp_eq_u32_e32 vcc, 3, v19
	;; [unrolled: 2-line block ×8, first 2 shown]
	s_waitcnt vmcnt(5)
	v_cndmask_b32_e32 v5, v5, v11, vcc
	v_cmp_eq_u32_e32 vcc, 10, v19
	s_waitcnt vmcnt(4)
	v_cndmask_b32_e32 v5, v5, v12, vcc
	v_cmp_eq_u32_e32 vcc, 11, v19
	v_mov_b32_e32 v18, 0
	s_waitcnt vmcnt(3)
	v_cndmask_b32_e32 v5, v5, v13, vcc
	v_cmp_eq_u32_e32 vcc, 12, v19
	ds_read_b32 v20, v63 offset:4
	ds_read_b32 v18, v18 offset:72
	s_waitcnt vmcnt(2)
	v_cndmask_b32_e32 v5, v5, v14, vcc
	v_cmp_eq_u32_e32 vcc, 13, v19
	s_waitcnt vmcnt(1)
	v_cndmask_b32_e32 v5, v5, v15, vcc
	v_cmp_eq_u32_e32 vcc, 14, v19
	s_waitcnt vmcnt(0)
	v_cndmask_b32_e32 v5, v5, v16, vcc
	s_waitcnt lgkmcnt(1)
	v_fmac_f32_e32 v17, v5, v20
	s_waitcnt lgkmcnt(0)
	v_fma_f32 v5, v4, v18, v17
	v_cndmask_b32_e64 v17, v17, v5, s[2:3]
.LBB14_229:
	s_or_b64 exec, exec, s[8:9]
	v_mov_b32_e32 v5, 0
	ds_read_b32 v5, v5 offset:12
	s_waitcnt lgkmcnt(0)
	v_mul_f32_e32 v5, v17, v5
.LBB14_230:
	s_or_b64 exec, exec, s[6:7]
	v_cmp_gt_u32_e32 vcc, 4, v0
	s_waitcnt vmcnt(11)
	ds_write_b32 v63, v6
	s_waitcnt lgkmcnt(0)
	; wave barrier
	s_and_saveexec_b64 s[8:9], vcc
	s_cbranch_execz .LBB14_240
; %bb.231:
	s_and_b64 vcc, exec, s[0:1]
	s_cbranch_vccnz .LBB14_233
; %bb.232:
	v_cmp_eq_u32_e32 vcc, 1, v0
	s_waitcnt vmcnt(6)
	v_cndmask_b32_e32 v17, v2, v3, vcc
	v_cmp_eq_u32_e32 vcc, 2, v0
	v_cndmask_b32_e32 v17, v17, v4, vcc
	v_cmp_eq_u32_e32 vcc, 3, v0
	;; [unrolled: 2-line block ×8, first 2 shown]
	s_waitcnt vmcnt(5)
	v_cndmask_b32_e32 v17, v17, v11, vcc
	v_cmp_eq_u32_e32 vcc, 10, v0
	s_waitcnt vmcnt(4)
	v_cndmask_b32_e32 v17, v17, v12, vcc
	v_cmp_eq_u32_e32 vcc, 11, v0
	ds_read_b32 v18, v63
	s_waitcnt vmcnt(3)
	v_cndmask_b32_e32 v17, v17, v13, vcc
	v_cmp_eq_u32_e32 vcc, 12, v0
	s_waitcnt vmcnt(2)
	v_cndmask_b32_e32 v17, v17, v14, vcc
	v_cmp_eq_u32_e32 vcc, 13, v0
	;; [unrolled: 3-line block ×3, first 2 shown]
	s_waitcnt vmcnt(0)
	v_cndmask_b32_e32 v17, v17, v16, vcc
	s_waitcnt lgkmcnt(0)
	v_mul_f32_e32 v20, v17, v18
	s_cbranch_execz .LBB14_234
	s_branch .LBB14_235
.LBB14_233:
                                        ; implicit-def: $vgpr20
.LBB14_234:
	ds_read_b32 v20, v63
.LBB14_235:
	v_cmp_ne_u32_e32 vcc, 3, v0
	s_and_saveexec_b64 s[10:11], vcc
	s_cbranch_execz .LBB14_239
; %bb.236:
	v_mov_b32_e32 v17, 0x44
	v_lshl_add_u32 v21, v0, 2, v17
	v_mov_b32_e32 v18, v1
	s_mov_b64 s[12:13], 0
	v_mov_b32_e32 v17, v0
.LBB14_237:                             ; =>This Inner Loop Header: Depth=1
	v_add_co_u32_e32 v17, vcc, 1, v17
	v_addc_co_u32_e32 v18, vcc, 0, v18, vcc
	v_cmp_eq_u32_e32 vcc, 1, v17
	s_waitcnt vmcnt(6)
	v_cndmask_b32_e32 v23, v2, v3, vcc
	v_cmp_lt_u32_e32 vcc, 2, v17
	v_cmp_eq_u32_e64 s[6:7], 2, v17
	v_cndmask_b32_e64 v23, v23, v4, s[6:7]
	s_or_b64 s[12:13], vcc, s[12:13]
	v_cmp_eq_u32_e32 vcc, 3, v17
	v_cndmask_b32_e32 v23, v23, v5, vcc
	v_cmp_eq_u32_e32 vcc, 4, v17
	v_cndmask_b32_e32 v23, v23, v6, vcc
	;; [unrolled: 2-line block ×6, first 2 shown]
	v_cmp_eq_u32_e32 vcc, 9, v17
	s_waitcnt vmcnt(5)
	v_cndmask_b32_e32 v23, v23, v11, vcc
	v_cmp_eq_u32_e32 vcc, 10, v17
	ds_read_b32 v22, v21
	s_waitcnt vmcnt(4)
	v_cndmask_b32_e32 v23, v23, v12, vcc
	v_cmp_eq_u32_e32 vcc, 11, v17
	s_waitcnt vmcnt(3)
	v_cndmask_b32_e32 v23, v23, v13, vcc
	v_cmp_eq_u32_e32 vcc, 12, v17
	;; [unrolled: 3-line block ×4, first 2 shown]
	s_waitcnt vmcnt(0)
	v_cndmask_b32_e32 v23, v23, v16, vcc
	v_add_u32_e32 v21, 4, v21
	s_waitcnt lgkmcnt(0)
	v_fmac_f32_e32 v20, v23, v22
	s_andn2_b64 exec, exec, s[12:13]
	s_cbranch_execnz .LBB14_237
; %bb.238:
	s_or_b64 exec, exec, s[12:13]
.LBB14_239:
	s_or_b64 exec, exec, s[10:11]
	v_mov_b32_e32 v6, 0
	ds_read_b32 v6, v6 offset:16
	s_waitcnt lgkmcnt(0)
	v_mul_f32_e32 v6, v20, v6
.LBB14_240:
	s_or_b64 exec, exec, s[8:9]
	v_cmp_gt_u32_e64 s[6:7], 5, v0
	s_waitcnt vmcnt(10)
	ds_write_b32 v63, v7
	s_waitcnt lgkmcnt(0)
	; wave barrier
	s_and_saveexec_b64 s[10:11], s[6:7]
	s_cbranch_execz .LBB14_250
; %bb.241:
	s_and_b64 vcc, exec, s[0:1]
	s_cbranch_vccnz .LBB14_243
; %bb.242:
	v_cmp_eq_u32_e32 vcc, 1, v0
	s_waitcnt vmcnt(6)
	v_cndmask_b32_e32 v17, v2, v3, vcc
	v_cmp_eq_u32_e32 vcc, 2, v0
	v_cndmask_b32_e32 v17, v17, v4, vcc
	v_cmp_eq_u32_e32 vcc, 3, v0
	;; [unrolled: 2-line block ×8, first 2 shown]
	s_waitcnt vmcnt(5)
	v_cndmask_b32_e32 v17, v17, v11, vcc
	v_cmp_eq_u32_e32 vcc, 10, v0
	s_waitcnt vmcnt(4)
	v_cndmask_b32_e32 v17, v17, v12, vcc
	v_cmp_eq_u32_e32 vcc, 11, v0
	ds_read_b32 v18, v63
	s_waitcnt vmcnt(3)
	v_cndmask_b32_e32 v17, v17, v13, vcc
	v_cmp_eq_u32_e32 vcc, 12, v0
	s_waitcnt vmcnt(2)
	v_cndmask_b32_e32 v17, v17, v14, vcc
	v_cmp_eq_u32_e32 vcc, 13, v0
	;; [unrolled: 3-line block ×3, first 2 shown]
	s_waitcnt vmcnt(0)
	v_cndmask_b32_e32 v17, v17, v16, vcc
	s_waitcnt lgkmcnt(0)
	v_mul_f32_e32 v20, v17, v18
	s_cbranch_execz .LBB14_244
	s_branch .LBB14_245
.LBB14_243:
                                        ; implicit-def: $vgpr20
.LBB14_244:
	ds_read_b32 v20, v63
.LBB14_245:
	v_cmp_ne_u32_e32 vcc, 4, v0
	s_and_saveexec_b64 s[12:13], vcc
	s_cbranch_execz .LBB14_249
; %bb.246:
	v_mov_b32_e32 v17, 0x44
	v_lshl_add_u32 v21, v0, 2, v17
	v_mov_b32_e32 v18, v1
	s_mov_b64 s[14:15], 0
	v_mov_b32_e32 v17, v0
.LBB14_247:                             ; =>This Inner Loop Header: Depth=1
	v_add_co_u32_e32 v17, vcc, 1, v17
	v_addc_co_u32_e32 v18, vcc, 0, v18, vcc
	v_cmp_eq_u32_e32 vcc, 1, v17
	s_waitcnt vmcnt(6)
	v_cndmask_b32_e32 v23, v2, v3, vcc
	v_cmp_lt_u32_e32 vcc, 3, v17
	v_cmp_eq_u32_e64 s[8:9], 2, v17
	v_cndmask_b32_e64 v23, v23, v4, s[8:9]
	s_or_b64 s[14:15], vcc, s[14:15]
	v_cmp_eq_u32_e32 vcc, 3, v17
	v_cndmask_b32_e32 v23, v23, v5, vcc
	v_cmp_eq_u32_e32 vcc, 4, v17
	v_cndmask_b32_e32 v23, v23, v6, vcc
	;; [unrolled: 2-line block ×6, first 2 shown]
	v_cmp_eq_u32_e32 vcc, 9, v17
	s_waitcnt vmcnt(5)
	v_cndmask_b32_e32 v23, v23, v11, vcc
	v_cmp_eq_u32_e32 vcc, 10, v17
	ds_read_b32 v22, v21
	s_waitcnt vmcnt(4)
	v_cndmask_b32_e32 v23, v23, v12, vcc
	v_cmp_eq_u32_e32 vcc, 11, v17
	s_waitcnt vmcnt(3)
	v_cndmask_b32_e32 v23, v23, v13, vcc
	v_cmp_eq_u32_e32 vcc, 12, v17
	;; [unrolled: 3-line block ×4, first 2 shown]
	s_waitcnt vmcnt(0)
	v_cndmask_b32_e32 v23, v23, v16, vcc
	v_add_u32_e32 v21, 4, v21
	s_waitcnt lgkmcnt(0)
	v_fmac_f32_e32 v20, v23, v22
	s_andn2_b64 exec, exec, s[14:15]
	s_cbranch_execnz .LBB14_247
; %bb.248:
	s_or_b64 exec, exec, s[14:15]
.LBB14_249:
	s_or_b64 exec, exec, s[12:13]
	v_mov_b32_e32 v7, 0
	ds_read_b32 v7, v7 offset:20
	s_waitcnt lgkmcnt(0)
	v_mul_f32_e32 v7, v20, v7
.LBB14_250:
	s_or_b64 exec, exec, s[10:11]
	v_cmp_gt_u32_e32 vcc, 6, v0
	s_waitcnt vmcnt(9)
	ds_write_b32 v63, v8
	s_waitcnt lgkmcnt(0)
	; wave barrier
	s_and_saveexec_b64 s[10:11], vcc
	s_cbranch_execz .LBB14_260
; %bb.251:
	s_and_b64 vcc, exec, s[0:1]
	s_cbranch_vccnz .LBB14_253
; %bb.252:
	v_cmp_eq_u32_e32 vcc, 1, v0
	s_waitcnt vmcnt(6)
	v_cndmask_b32_e32 v17, v2, v3, vcc
	v_cmp_eq_u32_e32 vcc, 2, v0
	v_cndmask_b32_e32 v17, v17, v4, vcc
	v_cmp_eq_u32_e32 vcc, 3, v0
	v_cndmask_b32_e32 v17, v17, v5, vcc
	v_cmp_eq_u32_e32 vcc, 4, v0
	v_cndmask_b32_e32 v17, v17, v6, vcc
	v_cmp_eq_u32_e32 vcc, 5, v0
	v_cndmask_b32_e32 v17, v17, v7, vcc
	v_cmp_eq_u32_e32 vcc, 6, v0
	v_cndmask_b32_e32 v17, v17, v8, vcc
	v_cmp_eq_u32_e32 vcc, 7, v0
	v_cndmask_b32_e32 v17, v17, v9, vcc
	v_cmp_eq_u32_e32 vcc, 8, v0
	v_cndmask_b32_e32 v17, v17, v10, vcc
	v_cmp_eq_u32_e32 vcc, 9, v0
	s_waitcnt vmcnt(5)
	v_cndmask_b32_e32 v17, v17, v11, vcc
	v_cmp_eq_u32_e32 vcc, 10, v0
	s_waitcnt vmcnt(4)
	v_cndmask_b32_e32 v17, v17, v12, vcc
	v_cmp_eq_u32_e32 vcc, 11, v0
	ds_read_b32 v18, v63
	s_waitcnt vmcnt(3)
	v_cndmask_b32_e32 v17, v17, v13, vcc
	v_cmp_eq_u32_e32 vcc, 12, v0
	s_waitcnt vmcnt(2)
	v_cndmask_b32_e32 v17, v17, v14, vcc
	v_cmp_eq_u32_e32 vcc, 13, v0
	;; [unrolled: 3-line block ×3, first 2 shown]
	s_waitcnt vmcnt(0)
	v_cndmask_b32_e32 v17, v17, v16, vcc
	s_waitcnt lgkmcnt(0)
	v_mul_f32_e32 v20, v17, v18
	s_cbranch_execz .LBB14_254
	s_branch .LBB14_255
.LBB14_253:
                                        ; implicit-def: $vgpr20
.LBB14_254:
	ds_read_b32 v20, v63
.LBB14_255:
	v_cmp_ne_u32_e32 vcc, 5, v0
	s_and_saveexec_b64 s[12:13], vcc
	s_cbranch_execz .LBB14_259
; %bb.256:
	v_mov_b32_e32 v17, 0x44
	v_lshl_add_u32 v21, v0, 2, v17
	v_mov_b32_e32 v18, v1
	s_mov_b64 s[14:15], 0
	v_mov_b32_e32 v17, v0
.LBB14_257:                             ; =>This Inner Loop Header: Depth=1
	v_add_co_u32_e32 v17, vcc, 1, v17
	v_addc_co_u32_e32 v18, vcc, 0, v18, vcc
	v_cmp_eq_u32_e32 vcc, 1, v17
	s_waitcnt vmcnt(6)
	v_cndmask_b32_e32 v23, v2, v3, vcc
	v_cmp_lt_u32_e32 vcc, 4, v17
	v_cmp_eq_u32_e64 s[8:9], 2, v17
	v_cndmask_b32_e64 v23, v23, v4, s[8:9]
	s_or_b64 s[14:15], vcc, s[14:15]
	v_cmp_eq_u32_e32 vcc, 3, v17
	v_cndmask_b32_e32 v23, v23, v5, vcc
	v_cmp_eq_u32_e32 vcc, 4, v17
	v_cndmask_b32_e32 v23, v23, v6, vcc
	;; [unrolled: 2-line block ×6, first 2 shown]
	v_cmp_eq_u32_e32 vcc, 9, v17
	s_waitcnt vmcnt(5)
	v_cndmask_b32_e32 v23, v23, v11, vcc
	v_cmp_eq_u32_e32 vcc, 10, v17
	ds_read_b32 v22, v21
	s_waitcnt vmcnt(4)
	v_cndmask_b32_e32 v23, v23, v12, vcc
	v_cmp_eq_u32_e32 vcc, 11, v17
	s_waitcnt vmcnt(3)
	v_cndmask_b32_e32 v23, v23, v13, vcc
	v_cmp_eq_u32_e32 vcc, 12, v17
	;; [unrolled: 3-line block ×4, first 2 shown]
	s_waitcnt vmcnt(0)
	v_cndmask_b32_e32 v23, v23, v16, vcc
	v_add_u32_e32 v21, 4, v21
	s_waitcnt lgkmcnt(0)
	v_fmac_f32_e32 v20, v23, v22
	s_andn2_b64 exec, exec, s[14:15]
	s_cbranch_execnz .LBB14_257
; %bb.258:
	s_or_b64 exec, exec, s[14:15]
.LBB14_259:
	s_or_b64 exec, exec, s[12:13]
	v_mov_b32_e32 v8, 0
	ds_read_b32 v8, v8 offset:24
	s_waitcnt lgkmcnt(0)
	v_mul_f32_e32 v8, v20, v8
.LBB14_260:
	s_or_b64 exec, exec, s[10:11]
	v_cmp_gt_u32_e64 s[8:9], 7, v0
	s_waitcnt vmcnt(8)
	ds_write_b32 v63, v9
	s_waitcnt lgkmcnt(0)
	; wave barrier
	s_and_saveexec_b64 s[12:13], s[8:9]
	s_cbranch_execz .LBB14_270
; %bb.261:
	s_and_b64 vcc, exec, s[0:1]
	s_cbranch_vccnz .LBB14_263
; %bb.262:
	v_cmp_eq_u32_e32 vcc, 1, v0
	s_waitcnt vmcnt(6)
	v_cndmask_b32_e32 v17, v2, v3, vcc
	v_cmp_eq_u32_e32 vcc, 2, v0
	v_cndmask_b32_e32 v17, v17, v4, vcc
	v_cmp_eq_u32_e32 vcc, 3, v0
	;; [unrolled: 2-line block ×8, first 2 shown]
	s_waitcnt vmcnt(5)
	v_cndmask_b32_e32 v17, v17, v11, vcc
	v_cmp_eq_u32_e32 vcc, 10, v0
	s_waitcnt vmcnt(4)
	v_cndmask_b32_e32 v17, v17, v12, vcc
	v_cmp_eq_u32_e32 vcc, 11, v0
	ds_read_b32 v18, v63
	s_waitcnt vmcnt(3)
	v_cndmask_b32_e32 v17, v17, v13, vcc
	v_cmp_eq_u32_e32 vcc, 12, v0
	s_waitcnt vmcnt(2)
	v_cndmask_b32_e32 v17, v17, v14, vcc
	v_cmp_eq_u32_e32 vcc, 13, v0
	;; [unrolled: 3-line block ×3, first 2 shown]
	s_waitcnt vmcnt(0)
	v_cndmask_b32_e32 v17, v17, v16, vcc
	s_waitcnt lgkmcnt(0)
	v_mul_f32_e32 v20, v17, v18
	s_cbranch_execz .LBB14_264
	s_branch .LBB14_265
.LBB14_263:
                                        ; implicit-def: $vgpr20
.LBB14_264:
	ds_read_b32 v20, v63
.LBB14_265:
	v_cmp_ne_u32_e32 vcc, 6, v0
	s_and_saveexec_b64 s[14:15], vcc
	s_cbranch_execz .LBB14_269
; %bb.266:
	v_mov_b32_e32 v17, 0x44
	v_lshl_add_u32 v21, v0, 2, v17
	v_mov_b32_e32 v18, v1
	s_mov_b64 s[16:17], 0
	v_mov_b32_e32 v17, v0
.LBB14_267:                             ; =>This Inner Loop Header: Depth=1
	v_add_co_u32_e32 v17, vcc, 1, v17
	v_addc_co_u32_e32 v18, vcc, 0, v18, vcc
	v_cmp_eq_u32_e32 vcc, 1, v17
	s_waitcnt vmcnt(6)
	v_cndmask_b32_e32 v23, v2, v3, vcc
	v_cmp_lt_u32_e32 vcc, 5, v17
	v_cmp_eq_u32_e64 s[10:11], 2, v17
	v_cndmask_b32_e64 v23, v23, v4, s[10:11]
	s_or_b64 s[16:17], vcc, s[16:17]
	v_cmp_eq_u32_e32 vcc, 3, v17
	v_cndmask_b32_e32 v23, v23, v5, vcc
	v_cmp_eq_u32_e32 vcc, 4, v17
	v_cndmask_b32_e32 v23, v23, v6, vcc
	;; [unrolled: 2-line block ×6, first 2 shown]
	v_cmp_eq_u32_e32 vcc, 9, v17
	s_waitcnt vmcnt(5)
	v_cndmask_b32_e32 v23, v23, v11, vcc
	v_cmp_eq_u32_e32 vcc, 10, v17
	ds_read_b32 v22, v21
	s_waitcnt vmcnt(4)
	v_cndmask_b32_e32 v23, v23, v12, vcc
	v_cmp_eq_u32_e32 vcc, 11, v17
	s_waitcnt vmcnt(3)
	v_cndmask_b32_e32 v23, v23, v13, vcc
	v_cmp_eq_u32_e32 vcc, 12, v17
	;; [unrolled: 3-line block ×4, first 2 shown]
	s_waitcnt vmcnt(0)
	v_cndmask_b32_e32 v23, v23, v16, vcc
	v_add_u32_e32 v21, 4, v21
	s_waitcnt lgkmcnt(0)
	v_fmac_f32_e32 v20, v23, v22
	s_andn2_b64 exec, exec, s[16:17]
	s_cbranch_execnz .LBB14_267
; %bb.268:
	s_or_b64 exec, exec, s[16:17]
.LBB14_269:
	s_or_b64 exec, exec, s[14:15]
	v_mov_b32_e32 v9, 0
	ds_read_b32 v9, v9 offset:28
	s_waitcnt lgkmcnt(0)
	v_mul_f32_e32 v9, v20, v9
.LBB14_270:
	s_or_b64 exec, exec, s[12:13]
	v_cmp_gt_u32_e32 vcc, 8, v0
	s_waitcnt vmcnt(7)
	ds_write_b32 v63, v10
	s_waitcnt lgkmcnt(0)
	; wave barrier
	s_and_saveexec_b64 s[12:13], vcc
	s_cbranch_execz .LBB14_280
; %bb.271:
	s_and_b64 vcc, exec, s[0:1]
	s_cbranch_vccnz .LBB14_273
; %bb.272:
	v_cmp_eq_u32_e32 vcc, 1, v0
	s_waitcnt vmcnt(6)
	v_cndmask_b32_e32 v17, v2, v3, vcc
	v_cmp_eq_u32_e32 vcc, 2, v0
	v_cndmask_b32_e32 v17, v17, v4, vcc
	v_cmp_eq_u32_e32 vcc, 3, v0
	;; [unrolled: 2-line block ×8, first 2 shown]
	s_waitcnt vmcnt(5)
	v_cndmask_b32_e32 v17, v17, v11, vcc
	v_cmp_eq_u32_e32 vcc, 10, v0
	s_waitcnt vmcnt(4)
	v_cndmask_b32_e32 v17, v17, v12, vcc
	v_cmp_eq_u32_e32 vcc, 11, v0
	ds_read_b32 v18, v63
	s_waitcnt vmcnt(3)
	v_cndmask_b32_e32 v17, v17, v13, vcc
	v_cmp_eq_u32_e32 vcc, 12, v0
	s_waitcnt vmcnt(2)
	v_cndmask_b32_e32 v17, v17, v14, vcc
	v_cmp_eq_u32_e32 vcc, 13, v0
	;; [unrolled: 3-line block ×3, first 2 shown]
	s_waitcnt vmcnt(0)
	v_cndmask_b32_e32 v17, v17, v16, vcc
	s_waitcnt lgkmcnt(0)
	v_mul_f32_e32 v20, v17, v18
	s_cbranch_execz .LBB14_274
	s_branch .LBB14_275
.LBB14_273:
                                        ; implicit-def: $vgpr20
.LBB14_274:
	ds_read_b32 v20, v63
.LBB14_275:
	v_cmp_ne_u32_e32 vcc, 7, v0
	s_and_saveexec_b64 s[14:15], vcc
	s_cbranch_execz .LBB14_279
; %bb.276:
	v_mov_b32_e32 v17, 0x44
	v_lshl_add_u32 v21, v0, 2, v17
	v_mov_b32_e32 v18, v1
	s_mov_b64 s[16:17], 0
	v_mov_b32_e32 v17, v0
.LBB14_277:                             ; =>This Inner Loop Header: Depth=1
	v_add_co_u32_e32 v17, vcc, 1, v17
	v_addc_co_u32_e32 v18, vcc, 0, v18, vcc
	v_cmp_eq_u32_e32 vcc, 1, v17
	s_waitcnt vmcnt(6)
	v_cndmask_b32_e32 v23, v2, v3, vcc
	v_cmp_lt_u32_e32 vcc, 6, v17
	v_cmp_eq_u32_e64 s[10:11], 2, v17
	v_cndmask_b32_e64 v23, v23, v4, s[10:11]
	s_or_b64 s[16:17], vcc, s[16:17]
	v_cmp_eq_u32_e32 vcc, 3, v17
	v_cndmask_b32_e32 v23, v23, v5, vcc
	v_cmp_eq_u32_e32 vcc, 4, v17
	v_cndmask_b32_e32 v23, v23, v6, vcc
	;; [unrolled: 2-line block ×6, first 2 shown]
	v_cmp_eq_u32_e32 vcc, 9, v17
	s_waitcnt vmcnt(5)
	v_cndmask_b32_e32 v23, v23, v11, vcc
	v_cmp_eq_u32_e32 vcc, 10, v17
	ds_read_b32 v22, v21
	s_waitcnt vmcnt(4)
	v_cndmask_b32_e32 v23, v23, v12, vcc
	v_cmp_eq_u32_e32 vcc, 11, v17
	s_waitcnt vmcnt(3)
	v_cndmask_b32_e32 v23, v23, v13, vcc
	v_cmp_eq_u32_e32 vcc, 12, v17
	;; [unrolled: 3-line block ×4, first 2 shown]
	s_waitcnt vmcnt(0)
	v_cndmask_b32_e32 v23, v23, v16, vcc
	v_add_u32_e32 v21, 4, v21
	s_waitcnt lgkmcnt(0)
	v_fmac_f32_e32 v20, v23, v22
	s_andn2_b64 exec, exec, s[16:17]
	s_cbranch_execnz .LBB14_277
; %bb.278:
	s_or_b64 exec, exec, s[16:17]
.LBB14_279:
	s_or_b64 exec, exec, s[14:15]
	v_mov_b32_e32 v10, 0
	ds_read_b32 v10, v10 offset:32
	s_waitcnt lgkmcnt(0)
	v_mul_f32_e32 v10, v20, v10
.LBB14_280:
	s_or_b64 exec, exec, s[12:13]
	v_cmp_gt_u32_e32 vcc, 9, v0
	s_waitcnt vmcnt(5)
	ds_write_b32 v63, v11
	s_waitcnt lgkmcnt(0)
	; wave barrier
	s_and_saveexec_b64 s[10:11], vcc
	s_cbranch_execz .LBB14_302
; %bb.281:
	s_and_b64 vcc, exec, s[0:1]
	s_cbranch_vccnz .LBB14_283
; %bb.282:
	v_cmp_eq_u32_e32 vcc, 1, v0
	v_cndmask_b32_e32 v17, v2, v3, vcc
	v_cmp_eq_u32_e32 vcc, 2, v0
	v_cndmask_b32_e32 v17, v17, v4, vcc
	v_cmp_eq_u32_e32 vcc, 3, v0
	v_cndmask_b32_e32 v17, v17, v5, vcc
	v_cmp_eq_u32_e32 vcc, 4, v0
	v_cndmask_b32_e32 v17, v17, v6, vcc
	v_cmp_eq_u32_e32 vcc, 5, v0
	v_cndmask_b32_e32 v17, v17, v7, vcc
	v_cmp_eq_u32_e32 vcc, 6, v0
	v_cndmask_b32_e32 v17, v17, v8, vcc
	v_cmp_eq_u32_e32 vcc, 7, v0
	v_cndmask_b32_e32 v17, v17, v9, vcc
	v_cmp_eq_u32_e32 vcc, 8, v0
	v_cndmask_b32_e32 v17, v17, v10, vcc
	v_cmp_eq_u32_e32 vcc, 9, v0
	v_cndmask_b32_e32 v17, v17, v11, vcc
	v_cmp_eq_u32_e32 vcc, 10, v0
	s_waitcnt vmcnt(4)
	v_cndmask_b32_e32 v17, v17, v12, vcc
	v_cmp_eq_u32_e32 vcc, 11, v0
	ds_read_b32 v18, v63
	s_waitcnt vmcnt(3)
	v_cndmask_b32_e32 v17, v17, v13, vcc
	v_cmp_eq_u32_e32 vcc, 12, v0
	s_waitcnt vmcnt(2)
	v_cndmask_b32_e32 v17, v17, v14, vcc
	v_cmp_eq_u32_e32 vcc, 13, v0
	;; [unrolled: 3-line block ×3, first 2 shown]
	s_waitcnt vmcnt(0)
	v_cndmask_b32_e32 v17, v17, v16, vcc
	s_waitcnt lgkmcnt(0)
	v_mul_f32_e32 v17, v17, v18
	s_cbranch_execz .LBB14_284
	s_branch .LBB14_285
.LBB14_283:
                                        ; implicit-def: $vgpr17
.LBB14_284:
	ds_read_b32 v17, v63
.LBB14_285:
	v_cmp_ne_u32_e32 vcc, 8, v0
	s_and_saveexec_b64 s[12:13], vcc
	s_cbranch_execz .LBB14_301
; %bb.286:
	v_cmp_eq_u32_e32 vcc, 1, v19
	v_cndmask_b32_e32 v18, v2, v3, vcc
	v_cmp_eq_u32_e32 vcc, 2, v19
	v_cndmask_b32_e32 v18, v18, v4, vcc
	;; [unrolled: 2-line block ×9, first 2 shown]
	v_cmp_eq_u32_e32 vcc, 10, v19
	s_waitcnt vmcnt(4)
	v_cndmask_b32_e32 v18, v18, v12, vcc
	v_cmp_eq_u32_e32 vcc, 11, v19
	ds_read_b32 v20, v63 offset:4
	s_waitcnt vmcnt(3)
	v_cndmask_b32_e32 v18, v18, v13, vcc
	v_cmp_eq_u32_e32 vcc, 12, v19
	s_waitcnt vmcnt(2)
	v_cndmask_b32_e32 v18, v18, v14, vcc
	v_cmp_eq_u32_e32 vcc, 13, v19
	;; [unrolled: 3-line block ×3, first 2 shown]
	s_waitcnt vmcnt(0)
	v_cndmask_b32_e32 v18, v18, v16, vcc
	s_waitcnt lgkmcnt(0)
	v_fmac_f32_e32 v17, v18, v20
	s_and_saveexec_b64 s[14:15], s[8:9]
	s_cbranch_execz .LBB14_300
; %bb.287:
	v_add_u32_e32 v18, 2, v0
	v_cmp_eq_u32_e32 vcc, 1, v18
	v_cndmask_b32_e32 v19, v2, v3, vcc
	v_cmp_eq_u32_e32 vcc, 2, v18
	v_cndmask_b32_e32 v19, v19, v4, vcc
	;; [unrolled: 2-line block ×10, first 2 shown]
	v_cmp_eq_u32_e32 vcc, 11, v18
	ds_read_b32 v20, v63 offset:8
	v_cndmask_b32_e32 v19, v19, v13, vcc
	v_cmp_eq_u32_e32 vcc, 12, v18
	v_cndmask_b32_e32 v19, v19, v14, vcc
	v_cmp_eq_u32_e32 vcc, 13, v18
	v_cndmask_b32_e32 v19, v19, v15, vcc
	v_cmp_eq_u32_e32 vcc, 14, v18
	v_cndmask_b32_e32 v18, v19, v16, vcc
	s_waitcnt lgkmcnt(0)
	v_fmac_f32_e32 v17, v18, v20
	v_cmp_ne_u32_e32 vcc, 6, v0
	s_and_saveexec_b64 s[8:9], vcc
	s_cbranch_execz .LBB14_299
; %bb.288:
	v_add_u32_e32 v18, 3, v0
	v_cmp_eq_u32_e32 vcc, 1, v18
	v_cndmask_b32_e32 v19, v2, v3, vcc
	v_cmp_eq_u32_e32 vcc, 2, v18
	v_cndmask_b32_e32 v19, v19, v4, vcc
	v_cmp_eq_u32_e32 vcc, 3, v18
	v_cndmask_b32_e32 v19, v19, v5, vcc
	v_cmp_eq_u32_e32 vcc, 4, v18
	v_cndmask_b32_e32 v19, v19, v6, vcc
	v_cmp_eq_u32_e32 vcc, 5, v18
	v_cndmask_b32_e32 v19, v19, v7, vcc
	v_cmp_eq_u32_e32 vcc, 6, v18
	v_cndmask_b32_e32 v19, v19, v8, vcc
	v_cmp_eq_u32_e32 vcc, 7, v18
	v_cndmask_b32_e32 v19, v19, v9, vcc
	v_cmp_eq_u32_e32 vcc, 8, v18
	v_cndmask_b32_e32 v19, v19, v10, vcc
	v_cmp_eq_u32_e32 vcc, 9, v18
	v_cndmask_b32_e32 v19, v19, v11, vcc
	v_cmp_eq_u32_e32 vcc, 10, v18
	v_cndmask_b32_e32 v19, v19, v12, vcc
	v_cmp_eq_u32_e32 vcc, 11, v18
	ds_read_b32 v20, v63 offset:12
	v_cndmask_b32_e32 v19, v19, v13, vcc
	v_cmp_eq_u32_e32 vcc, 12, v18
	v_cndmask_b32_e32 v19, v19, v14, vcc
	v_cmp_eq_u32_e32 vcc, 13, v18
	;; [unrolled: 2-line block ×3, first 2 shown]
	v_cndmask_b32_e32 v18, v19, v16, vcc
	s_waitcnt lgkmcnt(0)
	v_fmac_f32_e32 v17, v18, v20
	s_and_saveexec_b64 s[16:17], s[6:7]
	s_cbranch_execz .LBB14_298
; %bb.289:
	v_add_u32_e32 v18, 4, v0
	v_cmp_eq_u32_e32 vcc, 1, v18
	v_cndmask_b32_e32 v19, v2, v3, vcc
	v_cmp_eq_u32_e32 vcc, 2, v18
	v_cndmask_b32_e32 v19, v19, v4, vcc
	;; [unrolled: 2-line block ×10, first 2 shown]
	v_cmp_eq_u32_e32 vcc, 11, v18
	ds_read_b32 v20, v63 offset:16
	v_cndmask_b32_e32 v19, v19, v13, vcc
	v_cmp_eq_u32_e32 vcc, 12, v18
	v_cndmask_b32_e32 v19, v19, v14, vcc
	v_cmp_eq_u32_e32 vcc, 13, v18
	;; [unrolled: 2-line block ×3, first 2 shown]
	v_cndmask_b32_e32 v18, v19, v16, vcc
	s_waitcnt lgkmcnt(0)
	v_fmac_f32_e32 v17, v18, v20
	v_cmp_ne_u32_e32 vcc, 4, v0
	s_and_saveexec_b64 s[6:7], vcc
	s_cbranch_execz .LBB14_297
; %bb.290:
	v_add_u32_e32 v18, 5, v0
	v_cmp_eq_u32_e32 vcc, 1, v18
	v_cndmask_b32_e32 v19, v2, v3, vcc
	v_cmp_eq_u32_e32 vcc, 2, v18
	v_cndmask_b32_e32 v19, v19, v4, vcc
	;; [unrolled: 2-line block ×10, first 2 shown]
	v_cmp_eq_u32_e32 vcc, 11, v18
	ds_read_b32 v20, v63 offset:20
	v_cndmask_b32_e32 v19, v19, v13, vcc
	v_cmp_eq_u32_e32 vcc, 12, v18
	v_cndmask_b32_e32 v19, v19, v14, vcc
	v_cmp_eq_u32_e32 vcc, 13, v18
	;; [unrolled: 2-line block ×3, first 2 shown]
	v_cndmask_b32_e32 v18, v19, v16, vcc
	s_waitcnt lgkmcnt(0)
	v_fmac_f32_e32 v17, v18, v20
	s_and_saveexec_b64 s[18:19], s[4:5]
	s_cbranch_execz .LBB14_296
; %bb.291:
	v_add_u32_e32 v18, 6, v0
	v_cmp_eq_u32_e32 vcc, 1, v18
	v_cndmask_b32_e32 v19, v2, v3, vcc
	v_cmp_eq_u32_e32 vcc, 2, v18
	v_cndmask_b32_e32 v19, v19, v4, vcc
	;; [unrolled: 2-line block ×10, first 2 shown]
	v_cmp_eq_u32_e32 vcc, 11, v18
	ds_read_b32 v20, v63 offset:24
	v_cndmask_b32_e32 v19, v19, v13, vcc
	v_cmp_eq_u32_e32 vcc, 12, v18
	v_cndmask_b32_e32 v19, v19, v14, vcc
	v_cmp_eq_u32_e32 vcc, 13, v18
	;; [unrolled: 2-line block ×3, first 2 shown]
	v_cndmask_b32_e32 v18, v19, v16, vcc
	s_waitcnt lgkmcnt(0)
	v_fmac_f32_e32 v17, v18, v20
	v_cmp_ne_u32_e32 vcc, 2, v0
	s_and_saveexec_b64 s[4:5], vcc
	s_cbranch_execz .LBB14_295
; %bb.292:
	v_add_u32_e32 v18, 7, v0
	v_cmp_eq_u32_e32 vcc, 1, v18
	v_cndmask_b32_e32 v19, v2, v3, vcc
	v_cmp_eq_u32_e32 vcc, 2, v18
	v_cndmask_b32_e32 v19, v19, v4, vcc
	v_cmp_eq_u32_e32 vcc, 3, v18
	v_cndmask_b32_e32 v19, v19, v5, vcc
	v_cmp_eq_u32_e32 vcc, 4, v18
	v_cndmask_b32_e32 v19, v19, v6, vcc
	v_cmp_eq_u32_e32 vcc, 5, v18
	v_cndmask_b32_e32 v19, v19, v7, vcc
	v_cmp_eq_u32_e32 vcc, 6, v18
	v_cndmask_b32_e32 v19, v19, v8, vcc
	v_cmp_eq_u32_e32 vcc, 7, v18
	v_cndmask_b32_e32 v19, v19, v9, vcc
	v_cmp_eq_u32_e32 vcc, 8, v18
	v_cndmask_b32_e32 v19, v19, v10, vcc
	v_cmp_eq_u32_e32 vcc, 9, v18
	v_cndmask_b32_e32 v11, v19, v11, vcc
	v_cmp_eq_u32_e32 vcc, 10, v18
	v_cndmask_b32_e32 v11, v11, v12, vcc
	v_cmp_eq_u32_e32 vcc, 11, v18
	ds_read_b32 v19, v63 offset:28
	v_cndmask_b32_e32 v11, v11, v13, vcc
	v_cmp_eq_u32_e32 vcc, 12, v18
	v_cndmask_b32_e32 v11, v11, v14, vcc
	v_cmp_eq_u32_e32 vcc, 13, v18
	;; [unrolled: 2-line block ×3, first 2 shown]
	v_cndmask_b32_e32 v11, v11, v16, vcc
	s_waitcnt lgkmcnt(0)
	v_fmac_f32_e32 v17, v11, v19
	s_and_saveexec_b64 s[20:21], s[2:3]
	s_cbranch_execz .LBB14_294
; %bb.293:
	ds_read_b32 v11, v63 offset:32
	s_waitcnt lgkmcnt(0)
	v_fmac_f32_e32 v17, v10, v11
.LBB14_294:
	s_or_b64 exec, exec, s[20:21]
.LBB14_295:
	s_or_b64 exec, exec, s[4:5]
.LBB14_296:
	s_or_b64 exec, exec, s[18:19]
.LBB14_297:
	s_or_b64 exec, exec, s[6:7]
.LBB14_298:
	s_or_b64 exec, exec, s[16:17]
.LBB14_299:
	s_or_b64 exec, exec, s[8:9]
.LBB14_300:
	s_or_b64 exec, exec, s[14:15]
.LBB14_301:
	s_or_b64 exec, exec, s[12:13]
	v_mov_b32_e32 v11, 0
	ds_read_b32 v11, v11 offset:36
	s_waitcnt lgkmcnt(0)
	v_mul_f32_e32 v11, v17, v11
.LBB14_302:
	s_or_b64 exec, exec, s[10:11]
	v_cmp_gt_u32_e32 vcc, 10, v0
	s_waitcnt vmcnt(4)
	ds_write_b32 v63, v12
	s_waitcnt lgkmcnt(0)
	; wave barrier
	s_and_saveexec_b64 s[4:5], vcc
	s_cbranch_execz .LBB14_312
; %bb.303:
	s_and_b64 vcc, exec, s[0:1]
	s_cbranch_vccnz .LBB14_305
; %bb.304:
	v_cmp_eq_u32_e32 vcc, 1, v0
	v_cndmask_b32_e32 v17, v2, v3, vcc
	v_cmp_eq_u32_e32 vcc, 2, v0
	v_cndmask_b32_e32 v17, v17, v4, vcc
	;; [unrolled: 2-line block ×10, first 2 shown]
	v_cmp_eq_u32_e32 vcc, 11, v0
	ds_read_b32 v18, v63
	s_waitcnt vmcnt(3)
	v_cndmask_b32_e32 v17, v17, v13, vcc
	v_cmp_eq_u32_e32 vcc, 12, v0
	s_waitcnt vmcnt(2)
	v_cndmask_b32_e32 v17, v17, v14, vcc
	v_cmp_eq_u32_e32 vcc, 13, v0
	;; [unrolled: 3-line block ×3, first 2 shown]
	s_waitcnt vmcnt(0)
	v_cndmask_b32_e32 v17, v17, v16, vcc
	s_waitcnt lgkmcnt(0)
	v_mul_f32_e32 v19, v17, v18
	s_cbranch_execz .LBB14_306
	s_branch .LBB14_307
.LBB14_305:
                                        ; implicit-def: $vgpr19
.LBB14_306:
	ds_read_b32 v19, v63
.LBB14_307:
	v_cmp_ne_u32_e32 vcc, 9, v0
	s_and_saveexec_b64 s[6:7], vcc
	s_cbranch_execz .LBB14_311
; %bb.308:
	v_mov_b32_e32 v17, 0x44
	v_lshl_add_u32 v20, v0, 2, v17
	v_mov_b32_e32 v18, v1
	s_mov_b64 s[8:9], 0
	v_mov_b32_e32 v17, v0
.LBB14_309:                             ; =>This Inner Loop Header: Depth=1
	v_add_co_u32_e32 v17, vcc, 1, v17
	v_addc_co_u32_e32 v18, vcc, 0, v18, vcc
	v_cmp_eq_u32_e32 vcc, 1, v17
	v_cndmask_b32_e32 v22, v2, v3, vcc
	v_cmp_lt_u32_e32 vcc, 8, v17
	v_cmp_eq_u32_e64 s[2:3], 2, v17
	v_cndmask_b32_e64 v22, v22, v4, s[2:3]
	s_or_b64 s[8:9], vcc, s[8:9]
	v_cmp_eq_u32_e32 vcc, 3, v17
	v_cndmask_b32_e32 v22, v22, v5, vcc
	v_cmp_eq_u32_e32 vcc, 4, v17
	v_cndmask_b32_e32 v22, v22, v6, vcc
	;; [unrolled: 2-line block ×7, first 2 shown]
	v_cmp_eq_u32_e32 vcc, 10, v17
	ds_read_b32 v21, v20
	v_cndmask_b32_e32 v22, v22, v12, vcc
	v_cmp_eq_u32_e32 vcc, 11, v17
	s_waitcnt vmcnt(3)
	v_cndmask_b32_e32 v22, v22, v13, vcc
	v_cmp_eq_u32_e32 vcc, 12, v17
	s_waitcnt vmcnt(2)
	;; [unrolled: 3-line block ×4, first 2 shown]
	v_cndmask_b32_e32 v22, v22, v16, vcc
	v_add_u32_e32 v20, 4, v20
	s_waitcnt lgkmcnt(0)
	v_fmac_f32_e32 v19, v22, v21
	s_andn2_b64 exec, exec, s[8:9]
	s_cbranch_execnz .LBB14_309
; %bb.310:
	s_or_b64 exec, exec, s[8:9]
.LBB14_311:
	s_or_b64 exec, exec, s[6:7]
	v_mov_b32_e32 v12, 0
	ds_read_b32 v12, v12 offset:40
	s_waitcnt lgkmcnt(0)
	v_mul_f32_e32 v12, v19, v12
.LBB14_312:
	s_or_b64 exec, exec, s[4:5]
	v_cmp_gt_u32_e32 vcc, 11, v0
	s_waitcnt vmcnt(3)
	ds_write_b32 v63, v13
	s_waitcnt lgkmcnt(0)
	; wave barrier
	s_and_saveexec_b64 s[4:5], vcc
	s_cbranch_execz .LBB14_322
; %bb.313:
	s_and_b64 vcc, exec, s[0:1]
	s_cbranch_vccnz .LBB14_315
; %bb.314:
	v_cmp_eq_u32_e32 vcc, 1, v0
	v_cndmask_b32_e32 v17, v2, v3, vcc
	v_cmp_eq_u32_e32 vcc, 2, v0
	v_cndmask_b32_e32 v17, v17, v4, vcc
	;; [unrolled: 2-line block ×10, first 2 shown]
	v_cmp_eq_u32_e32 vcc, 11, v0
	ds_read_b32 v18, v63
	v_cndmask_b32_e32 v17, v17, v13, vcc
	v_cmp_eq_u32_e32 vcc, 12, v0
	s_waitcnt vmcnt(2)
	v_cndmask_b32_e32 v17, v17, v14, vcc
	v_cmp_eq_u32_e32 vcc, 13, v0
	s_waitcnt vmcnt(1)
	;; [unrolled: 3-line block ×3, first 2 shown]
	v_cndmask_b32_e32 v17, v17, v16, vcc
	s_waitcnt lgkmcnt(0)
	v_mul_f32_e32 v19, v17, v18
	s_cbranch_execz .LBB14_316
	s_branch .LBB14_317
.LBB14_315:
                                        ; implicit-def: $vgpr19
.LBB14_316:
	ds_read_b32 v19, v63
.LBB14_317:
	v_cmp_ne_u32_e32 vcc, 10, v0
	s_and_saveexec_b64 s[6:7], vcc
	s_cbranch_execz .LBB14_321
; %bb.318:
	v_mov_b32_e32 v17, 0x44
	v_lshl_add_u32 v20, v0, 2, v17
	v_mov_b32_e32 v18, v1
	s_mov_b64 s[8:9], 0
	v_mov_b32_e32 v17, v0
.LBB14_319:                             ; =>This Inner Loop Header: Depth=1
	v_add_co_u32_e32 v17, vcc, 1, v17
	v_addc_co_u32_e32 v18, vcc, 0, v18, vcc
	v_cmp_eq_u32_e32 vcc, 1, v17
	v_cndmask_b32_e32 v22, v2, v3, vcc
	v_cmp_lt_u32_e32 vcc, 9, v17
	v_cmp_eq_u32_e64 s[2:3], 2, v17
	v_cndmask_b32_e64 v22, v22, v4, s[2:3]
	s_or_b64 s[8:9], vcc, s[8:9]
	v_cmp_eq_u32_e32 vcc, 3, v17
	v_cndmask_b32_e32 v22, v22, v5, vcc
	v_cmp_eq_u32_e32 vcc, 4, v17
	v_cndmask_b32_e32 v22, v22, v6, vcc
	;; [unrolled: 2-line block ×7, first 2 shown]
	v_cmp_eq_u32_e32 vcc, 10, v17
	ds_read_b32 v21, v20
	v_cndmask_b32_e32 v22, v22, v12, vcc
	v_cmp_eq_u32_e32 vcc, 11, v17
	v_cndmask_b32_e32 v22, v22, v13, vcc
	v_cmp_eq_u32_e32 vcc, 12, v17
	s_waitcnt vmcnt(2)
	v_cndmask_b32_e32 v22, v22, v14, vcc
	v_cmp_eq_u32_e32 vcc, 13, v17
	s_waitcnt vmcnt(1)
	;; [unrolled: 3-line block ×3, first 2 shown]
	v_cndmask_b32_e32 v22, v22, v16, vcc
	v_add_u32_e32 v20, 4, v20
	s_waitcnt lgkmcnt(0)
	v_fmac_f32_e32 v19, v22, v21
	s_andn2_b64 exec, exec, s[8:9]
	s_cbranch_execnz .LBB14_319
; %bb.320:
	s_or_b64 exec, exec, s[8:9]
.LBB14_321:
	s_or_b64 exec, exec, s[6:7]
	v_mov_b32_e32 v13, 0
	ds_read_b32 v13, v13 offset:44
	s_waitcnt lgkmcnt(0)
	v_mul_f32_e32 v13, v19, v13
.LBB14_322:
	s_or_b64 exec, exec, s[4:5]
	v_cmp_gt_u32_e32 vcc, 12, v0
	s_waitcnt vmcnt(2)
	ds_write_b32 v63, v14
	s_waitcnt lgkmcnt(0)
	; wave barrier
	s_and_saveexec_b64 s[4:5], vcc
	s_cbranch_execz .LBB14_332
; %bb.323:
	s_and_b64 vcc, exec, s[0:1]
	s_cbranch_vccnz .LBB14_325
; %bb.324:
	v_cmp_eq_u32_e32 vcc, 1, v0
	v_cndmask_b32_e32 v17, v2, v3, vcc
	v_cmp_eq_u32_e32 vcc, 2, v0
	v_cndmask_b32_e32 v17, v17, v4, vcc
	;; [unrolled: 2-line block ×10, first 2 shown]
	v_cmp_eq_u32_e32 vcc, 11, v0
	ds_read_b32 v18, v63
	v_cndmask_b32_e32 v17, v17, v13, vcc
	v_cmp_eq_u32_e32 vcc, 12, v0
	v_cndmask_b32_e32 v17, v17, v14, vcc
	v_cmp_eq_u32_e32 vcc, 13, v0
	s_waitcnt vmcnt(1)
	v_cndmask_b32_e32 v17, v17, v15, vcc
	v_cmp_eq_u32_e32 vcc, 14, v0
	s_waitcnt vmcnt(0)
	v_cndmask_b32_e32 v17, v17, v16, vcc
	s_waitcnt lgkmcnt(0)
	v_mul_f32_e32 v19, v17, v18
	s_cbranch_execz .LBB14_326
	s_branch .LBB14_327
.LBB14_325:
                                        ; implicit-def: $vgpr19
.LBB14_326:
	ds_read_b32 v19, v63
.LBB14_327:
	v_cmp_ne_u32_e32 vcc, 11, v0
	s_and_saveexec_b64 s[6:7], vcc
	s_cbranch_execz .LBB14_331
; %bb.328:
	v_mov_b32_e32 v17, 0x44
	v_lshl_add_u32 v20, v0, 2, v17
	v_mov_b32_e32 v18, v1
	s_mov_b64 s[8:9], 0
	v_mov_b32_e32 v17, v0
.LBB14_329:                             ; =>This Inner Loop Header: Depth=1
	v_add_co_u32_e32 v17, vcc, 1, v17
	v_addc_co_u32_e32 v18, vcc, 0, v18, vcc
	v_cmp_eq_u32_e32 vcc, 1, v17
	v_cndmask_b32_e32 v22, v2, v3, vcc
	v_cmp_lt_u32_e32 vcc, 10, v17
	v_cmp_eq_u32_e64 s[2:3], 2, v17
	v_cndmask_b32_e64 v22, v22, v4, s[2:3]
	s_or_b64 s[8:9], vcc, s[8:9]
	v_cmp_eq_u32_e32 vcc, 3, v17
	v_cndmask_b32_e32 v22, v22, v5, vcc
	v_cmp_eq_u32_e32 vcc, 4, v17
	v_cndmask_b32_e32 v22, v22, v6, vcc
	;; [unrolled: 2-line block ×7, first 2 shown]
	v_cmp_eq_u32_e32 vcc, 10, v17
	ds_read_b32 v21, v20
	v_cndmask_b32_e32 v22, v22, v12, vcc
	v_cmp_eq_u32_e32 vcc, 11, v17
	v_cndmask_b32_e32 v22, v22, v13, vcc
	v_cmp_eq_u32_e32 vcc, 12, v17
	;; [unrolled: 2-line block ×3, first 2 shown]
	s_waitcnt vmcnt(1)
	v_cndmask_b32_e32 v22, v22, v15, vcc
	v_cmp_eq_u32_e32 vcc, 14, v17
	s_waitcnt vmcnt(0)
	v_cndmask_b32_e32 v22, v22, v16, vcc
	v_add_u32_e32 v20, 4, v20
	s_waitcnt lgkmcnt(0)
	v_fmac_f32_e32 v19, v22, v21
	s_andn2_b64 exec, exec, s[8:9]
	s_cbranch_execnz .LBB14_329
; %bb.330:
	s_or_b64 exec, exec, s[8:9]
.LBB14_331:
	s_or_b64 exec, exec, s[6:7]
	v_mov_b32_e32 v14, 0
	ds_read_b32 v14, v14 offset:48
	s_waitcnt lgkmcnt(0)
	v_mul_f32_e32 v14, v19, v14
.LBB14_332:
	s_or_b64 exec, exec, s[4:5]
	v_cmp_gt_u32_e64 s[2:3], 13, v0
	s_waitcnt vmcnt(1)
	ds_write_b32 v63, v15
	s_waitcnt lgkmcnt(0)
	; wave barrier
	s_and_saveexec_b64 s[6:7], s[2:3]
	s_cbranch_execz .LBB14_342
; %bb.333:
	s_and_b64 vcc, exec, s[0:1]
	s_cbranch_vccnz .LBB14_335
; %bb.334:
	v_cmp_eq_u32_e32 vcc, 1, v0
	v_cndmask_b32_e32 v17, v2, v3, vcc
	v_cmp_eq_u32_e32 vcc, 2, v0
	v_cndmask_b32_e32 v17, v17, v4, vcc
	;; [unrolled: 2-line block ×10, first 2 shown]
	v_cmp_eq_u32_e32 vcc, 11, v0
	ds_read_b32 v18, v63
	v_cndmask_b32_e32 v17, v17, v13, vcc
	v_cmp_eq_u32_e32 vcc, 12, v0
	v_cndmask_b32_e32 v17, v17, v14, vcc
	v_cmp_eq_u32_e32 vcc, 13, v0
	;; [unrolled: 2-line block ×3, first 2 shown]
	s_waitcnt vmcnt(0)
	v_cndmask_b32_e32 v17, v17, v16, vcc
	s_waitcnt lgkmcnt(0)
	v_mul_f32_e32 v19, v17, v18
	s_cbranch_execz .LBB14_336
	s_branch .LBB14_337
.LBB14_335:
                                        ; implicit-def: $vgpr19
.LBB14_336:
	ds_read_b32 v19, v63
.LBB14_337:
	v_cmp_ne_u32_e32 vcc, 12, v0
	s_and_saveexec_b64 s[8:9], vcc
	s_cbranch_execz .LBB14_341
; %bb.338:
	v_mov_b32_e32 v17, 0x44
	v_lshl_add_u32 v20, v0, 2, v17
	v_mov_b32_e32 v18, v1
	s_mov_b64 s[10:11], 0
	v_mov_b32_e32 v17, v0
.LBB14_339:                             ; =>This Inner Loop Header: Depth=1
	v_add_co_u32_e32 v17, vcc, 1, v17
	v_addc_co_u32_e32 v18, vcc, 0, v18, vcc
	v_cmp_eq_u32_e32 vcc, 1, v17
	v_cndmask_b32_e32 v22, v2, v3, vcc
	v_cmp_lt_u32_e32 vcc, 11, v17
	v_cmp_eq_u32_e64 s[4:5], 2, v17
	v_cndmask_b32_e64 v22, v22, v4, s[4:5]
	s_or_b64 s[10:11], vcc, s[10:11]
	v_cmp_eq_u32_e32 vcc, 3, v17
	v_cndmask_b32_e32 v22, v22, v5, vcc
	v_cmp_eq_u32_e32 vcc, 4, v17
	v_cndmask_b32_e32 v22, v22, v6, vcc
	;; [unrolled: 2-line block ×7, first 2 shown]
	v_cmp_eq_u32_e32 vcc, 10, v17
	ds_read_b32 v21, v20
	v_cndmask_b32_e32 v22, v22, v12, vcc
	v_cmp_eq_u32_e32 vcc, 11, v17
	v_cndmask_b32_e32 v22, v22, v13, vcc
	v_cmp_eq_u32_e32 vcc, 12, v17
	;; [unrolled: 2-line block ×4, first 2 shown]
	s_waitcnt vmcnt(0)
	v_cndmask_b32_e32 v22, v22, v16, vcc
	v_add_u32_e32 v20, 4, v20
	s_waitcnt lgkmcnt(0)
	v_fmac_f32_e32 v19, v22, v21
	s_andn2_b64 exec, exec, s[10:11]
	s_cbranch_execnz .LBB14_339
; %bb.340:
	s_or_b64 exec, exec, s[10:11]
.LBB14_341:
	s_or_b64 exec, exec, s[8:9]
	v_mov_b32_e32 v15, 0
	ds_read_b32 v15, v15 offset:52
	s_waitcnt lgkmcnt(0)
	v_mul_f32_e32 v15, v19, v15
.LBB14_342:
	s_or_b64 exec, exec, s[6:7]
	v_cmp_ne_u32_e32 vcc, 14, v0
	s_waitcnt vmcnt(0)
	ds_write_b32 v63, v16
	s_waitcnt lgkmcnt(0)
	; wave barrier
	s_and_saveexec_b64 s[4:5], vcc
	s_cbranch_execz .LBB14_352
; %bb.343:
	s_and_b64 vcc, exec, s[0:1]
	s_cbranch_vccnz .LBB14_345
; %bb.344:
	v_cmp_eq_u32_e32 vcc, 1, v0
	v_cndmask_b32_e32 v17, v2, v3, vcc
	v_cmp_eq_u32_e32 vcc, 2, v0
	v_cndmask_b32_e32 v17, v17, v4, vcc
	;; [unrolled: 2-line block ×10, first 2 shown]
	v_cmp_eq_u32_e32 vcc, 11, v0
	ds_read_b32 v18, v63
	v_cndmask_b32_e32 v17, v17, v13, vcc
	v_cmp_eq_u32_e32 vcc, 12, v0
	v_cndmask_b32_e32 v17, v17, v14, vcc
	v_cmp_eq_u32_e32 vcc, 13, v0
	;; [unrolled: 2-line block ×3, first 2 shown]
	v_cndmask_b32_e32 v17, v17, v16, vcc
	s_waitcnt lgkmcnt(0)
	v_mul_f32_e32 v17, v17, v18
	s_cbranch_execz .LBB14_346
	s_branch .LBB14_347
.LBB14_345:
                                        ; implicit-def: $vgpr17
.LBB14_346:
	ds_read_b32 v17, v63
.LBB14_347:
	s_and_saveexec_b64 s[6:7], s[2:3]
	s_cbranch_execz .LBB14_351
; %bb.348:
	v_mov_b32_e32 v18, 0x44
	v_lshl_add_u32 v18, v0, 2, v18
	s_mov_b64 s[2:3], 0
.LBB14_349:                             ; =>This Inner Loop Header: Depth=1
	v_add_co_u32_e32 v0, vcc, 1, v0
	v_addc_co_u32_e32 v1, vcc, 0, v1, vcc
	v_cmp_eq_u32_e32 vcc, 1, v0
	v_cndmask_b32_e32 v20, v2, v3, vcc
	v_cmp_lt_u32_e32 vcc, 12, v0
	v_cmp_eq_u32_e64 s[0:1], 2, v0
	v_cndmask_b32_e64 v20, v20, v4, s[0:1]
	s_or_b64 s[2:3], vcc, s[2:3]
	v_cmp_eq_u32_e32 vcc, 3, v0
	v_cndmask_b32_e32 v20, v20, v5, vcc
	v_cmp_eq_u32_e32 vcc, 4, v0
	v_cndmask_b32_e32 v20, v20, v6, vcc
	;; [unrolled: 2-line block ×7, first 2 shown]
	v_cmp_eq_u32_e32 vcc, 10, v0
	ds_read_b32 v19, v18
	v_cndmask_b32_e32 v20, v20, v12, vcc
	v_cmp_eq_u32_e32 vcc, 11, v0
	v_cndmask_b32_e32 v20, v20, v13, vcc
	v_cmp_eq_u32_e32 vcc, 12, v0
	;; [unrolled: 2-line block ×4, first 2 shown]
	v_cndmask_b32_e32 v20, v20, v16, vcc
	v_add_u32_e32 v18, 4, v18
	s_waitcnt lgkmcnt(0)
	v_fmac_f32_e32 v17, v20, v19
	s_andn2_b64 exec, exec, s[2:3]
	s_cbranch_execnz .LBB14_349
; %bb.350:
	s_or_b64 exec, exec, s[2:3]
.LBB14_351:
	s_or_b64 exec, exec, s[6:7]
	v_mov_b32_e32 v0, 0
	ds_read_b32 v0, v0 offset:56
	s_waitcnt lgkmcnt(0)
	v_mul_f32_e32 v16, v17, v0
.LBB14_352:
	s_or_b64 exec, exec, s[4:5]
	v_mov_b32_e32 v32, v17
	v_mov_b32_e32 v31, v16
	;; [unrolled: 1-line block ×16, first 2 shown]
.LBB14_353:
	global_store_dword v[59:60], v17, off
	global_store_dword v[61:62], v18, off
	global_store_dword v[33:34], v19, off
	global_store_dword v[35:36], v20, off
	global_store_dword v[37:38], v21, off
	global_store_dword v[39:40], v22, off
	global_store_dword v[41:42], v23, off
	global_store_dword v[43:44], v24, off
	global_store_dword v[45:46], v25, off
	global_store_dword v[47:48], v26, off
	global_store_dword v[49:50], v27, off
	global_store_dword v[51:52], v28, off
	global_store_dword v[53:54], v29, off
	global_store_dword v[55:56], v30, off
	global_store_dword v[57:58], v31, off
.LBB14_354:
	s_endpgm
	.section	.rodata,"a",@progbits
	.p2align	6, 0x0
	.amdhsa_kernel _ZN9rocsolver6v33100L18trti2_kernel_smallILi15EfPfEEv13rocblas_fill_17rocblas_diagonal_T1_iil
		.amdhsa_group_segment_fixed_size 124
		.amdhsa_private_segment_fixed_size 0
		.amdhsa_kernarg_size 32
		.amdhsa_user_sgpr_count 6
		.amdhsa_user_sgpr_private_segment_buffer 1
		.amdhsa_user_sgpr_dispatch_ptr 0
		.amdhsa_user_sgpr_queue_ptr 0
		.amdhsa_user_sgpr_kernarg_segment_ptr 1
		.amdhsa_user_sgpr_dispatch_id 0
		.amdhsa_user_sgpr_flat_scratch_init 0
		.amdhsa_user_sgpr_private_segment_size 0
		.amdhsa_uses_dynamic_stack 0
		.amdhsa_system_sgpr_private_segment_wavefront_offset 0
		.amdhsa_system_sgpr_workgroup_id_x 1
		.amdhsa_system_sgpr_workgroup_id_y 0
		.amdhsa_system_sgpr_workgroup_id_z 0
		.amdhsa_system_sgpr_workgroup_info 0
		.amdhsa_system_vgpr_workitem_id 0
		.amdhsa_next_free_vgpr 81
		.amdhsa_next_free_sgpr 44
		.amdhsa_reserve_vcc 1
		.amdhsa_reserve_flat_scratch 0
		.amdhsa_float_round_mode_32 0
		.amdhsa_float_round_mode_16_64 0
		.amdhsa_float_denorm_mode_32 3
		.amdhsa_float_denorm_mode_16_64 3
		.amdhsa_dx10_clamp 1
		.amdhsa_ieee_mode 1
		.amdhsa_fp16_overflow 0
		.amdhsa_exception_fp_ieee_invalid_op 0
		.amdhsa_exception_fp_denorm_src 0
		.amdhsa_exception_fp_ieee_div_zero 0
		.amdhsa_exception_fp_ieee_overflow 0
		.amdhsa_exception_fp_ieee_underflow 0
		.amdhsa_exception_fp_ieee_inexact 0
		.amdhsa_exception_int_div_zero 0
	.end_amdhsa_kernel
	.section	.text._ZN9rocsolver6v33100L18trti2_kernel_smallILi15EfPfEEv13rocblas_fill_17rocblas_diagonal_T1_iil,"axG",@progbits,_ZN9rocsolver6v33100L18trti2_kernel_smallILi15EfPfEEv13rocblas_fill_17rocblas_diagonal_T1_iil,comdat
.Lfunc_end14:
	.size	_ZN9rocsolver6v33100L18trti2_kernel_smallILi15EfPfEEv13rocblas_fill_17rocblas_diagonal_T1_iil, .Lfunc_end14-_ZN9rocsolver6v33100L18trti2_kernel_smallILi15EfPfEEv13rocblas_fill_17rocblas_diagonal_T1_iil
                                        ; -- End function
	.set _ZN9rocsolver6v33100L18trti2_kernel_smallILi15EfPfEEv13rocblas_fill_17rocblas_diagonal_T1_iil.num_vgpr, 81
	.set _ZN9rocsolver6v33100L18trti2_kernel_smallILi15EfPfEEv13rocblas_fill_17rocblas_diagonal_T1_iil.num_agpr, 0
	.set _ZN9rocsolver6v33100L18trti2_kernel_smallILi15EfPfEEv13rocblas_fill_17rocblas_diagonal_T1_iil.numbered_sgpr, 44
	.set _ZN9rocsolver6v33100L18trti2_kernel_smallILi15EfPfEEv13rocblas_fill_17rocblas_diagonal_T1_iil.num_named_barrier, 0
	.set _ZN9rocsolver6v33100L18trti2_kernel_smallILi15EfPfEEv13rocblas_fill_17rocblas_diagonal_T1_iil.private_seg_size, 0
	.set _ZN9rocsolver6v33100L18trti2_kernel_smallILi15EfPfEEv13rocblas_fill_17rocblas_diagonal_T1_iil.uses_vcc, 1
	.set _ZN9rocsolver6v33100L18trti2_kernel_smallILi15EfPfEEv13rocblas_fill_17rocblas_diagonal_T1_iil.uses_flat_scratch, 0
	.set _ZN9rocsolver6v33100L18trti2_kernel_smallILi15EfPfEEv13rocblas_fill_17rocblas_diagonal_T1_iil.has_dyn_sized_stack, 0
	.set _ZN9rocsolver6v33100L18trti2_kernel_smallILi15EfPfEEv13rocblas_fill_17rocblas_diagonal_T1_iil.has_recursion, 0
	.set _ZN9rocsolver6v33100L18trti2_kernel_smallILi15EfPfEEv13rocblas_fill_17rocblas_diagonal_T1_iil.has_indirect_call, 0
	.section	.AMDGPU.csdata,"",@progbits
; Kernel info:
; codeLenInByte = 17208
; TotalNumSgprs: 48
; NumVgprs: 81
; ScratchSize: 0
; MemoryBound: 0
; FloatMode: 240
; IeeeMode: 1
; LDSByteSize: 124 bytes/workgroup (compile time only)
; SGPRBlocks: 5
; VGPRBlocks: 20
; NumSGPRsForWavesPerEU: 48
; NumVGPRsForWavesPerEU: 81
; Occupancy: 3
; WaveLimiterHint : 0
; COMPUTE_PGM_RSRC2:SCRATCH_EN: 0
; COMPUTE_PGM_RSRC2:USER_SGPR: 6
; COMPUTE_PGM_RSRC2:TRAP_HANDLER: 0
; COMPUTE_PGM_RSRC2:TGID_X_EN: 1
; COMPUTE_PGM_RSRC2:TGID_Y_EN: 0
; COMPUTE_PGM_RSRC2:TGID_Z_EN: 0
; COMPUTE_PGM_RSRC2:TIDIG_COMP_CNT: 0
	.section	.text._ZN9rocsolver6v33100L18trti2_kernel_smallILi16EfPfEEv13rocblas_fill_17rocblas_diagonal_T1_iil,"axG",@progbits,_ZN9rocsolver6v33100L18trti2_kernel_smallILi16EfPfEEv13rocblas_fill_17rocblas_diagonal_T1_iil,comdat
	.globl	_ZN9rocsolver6v33100L18trti2_kernel_smallILi16EfPfEEv13rocblas_fill_17rocblas_diagonal_T1_iil ; -- Begin function _ZN9rocsolver6v33100L18trti2_kernel_smallILi16EfPfEEv13rocblas_fill_17rocblas_diagonal_T1_iil
	.p2align	8
	.type	_ZN9rocsolver6v33100L18trti2_kernel_smallILi16EfPfEEv13rocblas_fill_17rocblas_diagonal_T1_iil,@function
_ZN9rocsolver6v33100L18trti2_kernel_smallILi16EfPfEEv13rocblas_fill_17rocblas_diagonal_T1_iil: ; @_ZN9rocsolver6v33100L18trti2_kernel_smallILi16EfPfEEv13rocblas_fill_17rocblas_diagonal_T1_iil
; %bb.0:
	v_cmp_gt_u32_e32 vcc, 16, v0
	s_and_saveexec_b64 s[0:1], vcc
	s_cbranch_execz .LBB15_380
; %bb.1:
	s_load_dwordx8 s[36:43], s[4:5], 0x0
	s_ashr_i32 s2, s6, 31
	v_lshlrev_b32_e32 v18, 2, v0
	v_mov_b32_e32 v19, -1.0
	s_waitcnt lgkmcnt(0)
	s_mul_hi_u32 s3, s42, s6
	s_mul_i32 s2, s42, s2
	s_add_i32 s2, s3, s2
	s_mul_i32 s3, s43, s6
	s_add_i32 s3, s2, s3
	s_mul_i32 s2, s42, s6
	s_ashr_i32 s1, s40, 31
	s_lshl_b64 s[2:3], s[2:3], 2
	s_mov_b32 s0, s40
	s_add_u32 s2, s38, s2
	s_addc_u32 s3, s39, s3
	s_lshl_b64 s[0:1], s[0:1], 2
	s_add_u32 s0, s2, s0
	s_addc_u32 s1, s3, s1
	s_add_i32 s2, s41, s41
	v_add_u32_e32 v1, s2, v0
	v_ashrrev_i32_e32 v2, 31, v1
	v_lshlrev_b64 v[2:3], 2, v[1:2]
	v_add_u32_e32 v1, s41, v1
	v_mov_b32_e32 v4, s1
	v_add_co_u32_e32 v34, vcc, s0, v2
	v_ashrrev_i32_e32 v2, 31, v1
	v_addc_co_u32_e32 v35, vcc, v4, v3, vcc
	v_lshlrev_b64 v[2:3], 2, v[1:2]
	v_add_u32_e32 v1, s41, v1
	v_add_co_u32_e32 v36, vcc, s0, v2
	v_ashrrev_i32_e32 v2, 31, v1
	v_addc_co_u32_e32 v37, vcc, v4, v3, vcc
	v_lshlrev_b64 v[2:3], 2, v[1:2]
	v_add_u32_e32 v1, s41, v1
	;; [unrolled: 5-line block ×12, first 2 shown]
	v_add_co_u32_e32 v58, vcc, s0, v2
	v_ashrrev_i32_e32 v2, 31, v1
	v_lshlrev_b64 v[1:2], 2, v[1:2]
	v_addc_co_u32_e32 v59, vcc, v4, v3, vcc
	v_mov_b32_e32 v3, s1
	v_add_co_u32_e32 v60, vcc, s0, v1
	v_addc_co_u32_e32 v61, vcc, v3, v2, vcc
	v_mov_b32_e32 v1, s1
	v_add_co_u32_e32 v62, vcc, s0, v18
	s_ashr_i32 s3, s41, 31
	s_mov_b32 s2, s41
	v_addc_co_u32_e32 v63, vcc, 0, v1, vcc
	s_lshl_b64 s[2:3], s[2:3], 2
	v_mov_b32_e32 v1, s3
	v_add_co_u32_e32 v64, vcc, s2, v62
	v_addc_co_u32_e32 v65, vcc, v63, v1, vcc
	global_load_dword v3, v[64:65], off
	global_load_dword v4, v[34:35], off
	;; [unrolled: 1-line block ×8, first 2 shown]
	global_load_dword v2, v18, s[0:1]
	global_load_dword v11, v[48:49], off
	global_load_dword v12, v[50:51], off
	global_load_dword v13, v[52:53], off
	global_load_dword v14, v[54:55], off
	global_load_dword v15, v[56:57], off
	global_load_dword v16, v[58:59], off
                                        ; kill: killed $sgpr0 killed $sgpr1
	global_load_dword v17, v[60:61], off
	s_cmpk_lg_i32 s37, 0x84
	v_mov_b32_e32 v1, 0
	s_cselect_b64 s[34:35], -1, 0
	s_cmpk_eq_i32 s37, 0x84
	v_cmp_eq_u32_e64 s[0:1], 0, v0
	s_cbranch_scc1 .LBB15_3
; %bb.2:
	v_cmp_eq_u32_e64 s[2:3], 1, v0
	s_waitcnt vmcnt(7)
	v_cndmask_b32_e64 v19, v2, v3, s[2:3]
	v_cmp_eq_u32_e64 s[4:5], 2, v0
	v_cndmask_b32_e64 v19, v19, v4, s[4:5]
	v_cmp_eq_u32_e64 s[6:7], 3, v0
	;; [unrolled: 2-line block ×8, first 2 shown]
	s_waitcnt vmcnt(6)
	v_cndmask_b32_e64 v19, v19, v11, s[18:19]
	v_cmp_eq_u32_e64 s[20:21], 10, v0
	s_waitcnt vmcnt(5)
	v_cndmask_b32_e64 v19, v19, v12, s[20:21]
	v_cmp_eq_u32_e64 s[22:23], 11, v0
	;; [unrolled: 3-line block ×6, first 2 shown]
	s_waitcnt vmcnt(0)
	v_cndmask_b32_e64 v19, v19, v17, s[30:31]
	v_div_scale_f32 v20, s[38:39], v19, v19, 1.0
	v_div_scale_f32 v21, vcc, 1.0, v19, 1.0
	v_rcp_f32_e32 v22, v20
	v_fma_f32 v23, -v20, v22, 1.0
	v_fmac_f32_e32 v22, v23, v22
	v_mul_f32_e32 v23, v21, v22
	v_fma_f32 v24, -v20, v23, v21
	v_fmac_f32_e32 v23, v24, v22
	v_fma_f32 v20, -v20, v23, v21
	v_div_fmas_f32 v20, v20, v22, v23
	v_div_fixup_f32 v19, v20, v19, 1.0
	v_cndmask_b32_e64 v17, v17, v19, s[30:31]
	v_cndmask_b32_e64 v16, v16, v19, s[28:29]
	;; [unrolled: 1-line block ×16, first 2 shown]
	v_xor_b32_e32 v19, 0x80000000, v19
.LBB15_3:
	s_cmpk_eq_i32 s36, 0x79
	v_add_u32_e32 v66, 64, v18
	ds_write_b32 v18, v19
	s_cbranch_scc1 .LBB15_7
; %bb.4:
	s_waitcnt vmcnt(0)
	v_mov_b32_e32 v33, v17
	v_mov_b32_e32 v32, v16
	;; [unrolled: 1-line block ×16, first 2 shown]
	v_cmp_eq_u32_e64 s[0:1], 15, v0
	ds_write_b32 v66, v16
	s_waitcnt lgkmcnt(0)
	; wave barrier
	s_and_saveexec_b64 s[2:3], s[0:1]
	s_cbranch_execz .LBB15_11
; %bb.5:
	s_and_b64 vcc, exec, s[34:35]
	s_cbranch_vccz .LBB15_8
; %bb.6:
	v_cmp_eq_u32_e32 vcc, 1, v0
	v_cndmask_b32_e32 v18, v2, v3, vcc
	v_cmp_eq_u32_e32 vcc, 2, v0
	v_cndmask_b32_e32 v18, v18, v4, vcc
	;; [unrolled: 2-line block ×11, first 2 shown]
	v_cmp_eq_u32_e32 vcc, 12, v0
	ds_read_b32 v19, v66
	v_cndmask_b32_e32 v18, v18, v14, vcc
	v_cmp_eq_u32_e32 vcc, 13, v0
	v_cndmask_b32_e32 v18, v18, v15, vcc
	v_cmp_eq_u32_e32 vcc, 14, v0
	;; [unrolled: 2-line block ×3, first 2 shown]
	v_cndmask_b32_e32 v18, v18, v17, vcc
	s_waitcnt lgkmcnt(0)
	v_mul_f32_e32 v18, v18, v19
	s_cbranch_execz .LBB15_9
	s_branch .LBB15_10
.LBB15_7:
                                        ; implicit-def: $vgpr18_vgpr19_vgpr20_vgpr21_vgpr22_vgpr23_vgpr24_vgpr25_vgpr26_vgpr27_vgpr28_vgpr29_vgpr30_vgpr31_vgpr32_vgpr33
	s_cbranch_execnz .LBB15_226
	s_branch .LBB15_379
.LBB15_8:
                                        ; implicit-def: $vgpr18
.LBB15_9:
	ds_read_b32 v18, v66
.LBB15_10:
	v_mov_b32_e32 v19, 0
	ds_read_b32 v19, v19 offset:56
	s_waitcnt lgkmcnt(0)
	v_mul_f32_e32 v67, v18, v19
	v_mov_b32_e32 v33, v17
	v_mov_b32_e32 v32, v16
	;; [unrolled: 1-line block ×17, first 2 shown]
.LBB15_11:
	s_or_b64 exec, exec, s[2:3]
	v_cmp_lt_u32_e64 s[2:3], 13, v0
	ds_write_b32 v66, v31
	s_waitcnt lgkmcnt(0)
	; wave barrier
	s_and_saveexec_b64 s[4:5], s[2:3]
	s_cbranch_execz .LBB15_17
; %bb.12:
	s_andn2_b64 vcc, exec, s[34:35]
	s_cbranch_vccnz .LBB15_14
; %bb.13:
	v_cmp_eq_u32_e32 vcc, 1, v0
	v_cndmask_b32_e32 v67, v18, v19, vcc
	v_cmp_eq_u32_e32 vcc, 2, v0
	v_cndmask_b32_e32 v67, v67, v20, vcc
	v_cmp_eq_u32_e32 vcc, 3, v0
	v_cndmask_b32_e32 v67, v67, v21, vcc
	v_cmp_eq_u32_e32 vcc, 4, v0
	v_cndmask_b32_e32 v67, v67, v22, vcc
	v_cmp_eq_u32_e32 vcc, 5, v0
	v_cndmask_b32_e32 v67, v67, v23, vcc
	v_cmp_eq_u32_e32 vcc, 6, v0
	v_cndmask_b32_e32 v67, v67, v24, vcc
	v_cmp_eq_u32_e32 vcc, 7, v0
	v_cndmask_b32_e32 v67, v67, v25, vcc
	v_cmp_eq_u32_e32 vcc, 8, v0
	v_cndmask_b32_e32 v67, v67, v26, vcc
	v_cmp_eq_u32_e32 vcc, 9, v0
	v_cndmask_b32_e32 v67, v67, v27, vcc
	v_cmp_eq_u32_e32 vcc, 10, v0
	v_cndmask_b32_e32 v67, v67, v28, vcc
	v_cmp_eq_u32_e32 vcc, 11, v0
	v_cndmask_b32_e32 v67, v67, v29, vcc
	v_cmp_eq_u32_e32 vcc, 12, v0
	v_cndmask_b32_e32 v67, v67, v30, vcc
	v_cmp_eq_u32_e32 vcc, 13, v0
	v_cndmask_b32_e32 v31, v67, v31, vcc
	ds_read_b32 v67, v66
	v_cmp_eq_u32_e32 vcc, 14, v0
	v_cndmask_b32_e32 v31, v31, v32, vcc
	v_cmp_eq_u32_e32 vcc, 15, v0
	v_cndmask_b32_e32 v31, v31, v33, vcc
	s_waitcnt lgkmcnt(0)
	v_mul_f32_e32 v31, v31, v67
	s_cbranch_execz .LBB15_15
	s_branch .LBB15_16
.LBB15_14:
                                        ; implicit-def: $vgpr31
.LBB15_15:
	ds_read_b32 v31, v66
.LBB15_16:
	v_mov_b32_e32 v67, 0
	ds_read2_b32 v[67:68], v67 offset0:13 offset1:30
	s_waitcnt lgkmcnt(0)
	v_fma_f32 v68, v32, v68, v31
	v_cndmask_b32_e64 v31, v31, v68, s[0:1]
	v_mul_f32_e32 v31, v31, v67
.LBB15_17:
	s_or_b64 exec, exec, s[4:5]
	v_cmp_lt_u32_e64 s[0:1], 12, v0
	ds_write_b32 v66, v30
	s_waitcnt lgkmcnt(0)
	; wave barrier
	s_and_saveexec_b64 s[4:5], s[0:1]
	s_cbranch_execz .LBB15_33
; %bb.18:
	s_andn2_b64 vcc, exec, s[34:35]
	s_cbranch_vccnz .LBB15_20
; %bb.19:
	v_cmp_eq_u32_e32 vcc, 1, v0
	v_cndmask_b32_e32 v67, v18, v19, vcc
	v_cmp_eq_u32_e32 vcc, 2, v0
	v_cndmask_b32_e32 v67, v67, v20, vcc
	;; [unrolled: 2-line block ×11, first 2 shown]
	v_cmp_eq_u32_e32 vcc, 12, v0
	ds_read_b32 v68, v66
	v_cndmask_b32_e32 v67, v67, v30, vcc
	v_cmp_eq_u32_e32 vcc, 13, v0
	v_cndmask_b32_e32 v67, v67, v31, vcc
	v_cmp_eq_u32_e32 vcc, 14, v0
	;; [unrolled: 2-line block ×3, first 2 shown]
	v_cndmask_b32_e32 v67, v67, v33, vcc
	s_waitcnt lgkmcnt(0)
	v_mul_f32_e32 v67, v67, v68
	s_cbranch_execz .LBB15_21
	s_branch .LBB15_22
.LBB15_20:
                                        ; implicit-def: $vgpr67
.LBB15_21:
	ds_read_b32 v67, v66
.LBB15_22:
	s_and_saveexec_b64 s[6:7], s[2:3]
	s_cbranch_execz .LBB15_32
; %bb.23:
	v_add_u32_e32 v68, -14, v0
	v_add_u32_e32 v69, -13, v0
	v_cmp_lt_u32_e32 vcc, 6, v68
	v_mov_b32_e32 v68, 13
	s_and_saveexec_b64 s[2:3], vcc
	s_cbranch_execz .LBB15_27
; %bb.24:
	v_and_b32_e32 v68, -8, v69
	v_sub_u32_e32 v70, 0, v68
	s_mov_b64 s[8:9], 20
	s_movk_i32 s12, 0x74
	s_mov_b64 s[10:11], 0
.LBB15_25:                              ; =>This Inner Loop Header: Depth=1
	s_add_i32 s13, s8, -7
	v_mov_b32_e32 v68, s12
	s_add_i32 s14, s8, -6
	s_set_gpr_idx_on s13, gpr_idx(SRC0)
	v_mov_b32_e32 v77, v18
	s_set_gpr_idx_off
	ds_read2_b32 v[71:72], v68 offset1:1
	s_add_i32 s15, s8, -5
	s_set_gpr_idx_on s14, gpr_idx(SRC0)
	v_mov_b32_e32 v78, v18
	s_set_gpr_idx_off
	s_add_i32 s16, s8, -4
	s_set_gpr_idx_on s15, gpr_idx(SRC0)
	v_mov_b32_e32 v79, v18
	s_set_gpr_idx_off
	ds_read2_b32 v[73:74], v68 offset0:2 offset1:3
	s_add_i32 s17, s8, -3
	s_set_gpr_idx_on s16, gpr_idx(SRC0)
	v_mov_b32_e32 v80, v18
	s_set_gpr_idx_off
	s_add_i32 s18, s8, -2
	s_set_gpr_idx_on s17, gpr_idx(SRC0)
	v_mov_b32_e32 v81, v18
	s_set_gpr_idx_off
	ds_read2_b32 v[75:76], v68 offset0:4 offset1:5
	s_add_i32 s19, s8, -1
	s_waitcnt lgkmcnt(2)
	v_fmac_f32_e32 v67, v77, v71
	s_set_gpr_idx_on s18, gpr_idx(SRC0)
	v_mov_b32_e32 v77, v18
	s_set_gpr_idx_off
	v_fmac_f32_e32 v67, v78, v72
	s_set_gpr_idx_on s19, gpr_idx(SRC0)
	v_mov_b32_e32 v78, v18
	s_set_gpr_idx_off
	ds_read2_b32 v[71:72], v68 offset0:6 offset1:7
	s_waitcnt lgkmcnt(2)
	v_fmac_f32_e32 v67, v79, v73
	s_set_gpr_idx_on s8, gpr_idx(SRC0)
	v_mov_b32_e32 v73, v18
	s_set_gpr_idx_off
	v_fmac_f32_e32 v67, v80, v74
	s_add_u32 s8, s8, 8
	s_waitcnt lgkmcnt(1)
	v_fmac_f32_e32 v67, v81, v75
	v_add_u32_e32 v68, s8, v70
	v_fmac_f32_e32 v67, v77, v76
	s_addc_u32 s9, s9, 0
	s_add_i32 s12, s12, 32
	s_add_i32 s13, s8, -7
	v_cmp_eq_u32_e32 vcc, 20, v68
	s_waitcnt lgkmcnt(0)
	v_fmac_f32_e32 v67, v78, v71
	v_mov_b32_e32 v68, s13
	s_or_b64 s[10:11], vcc, s[10:11]
	v_fmac_f32_e32 v67, v73, v72
	s_andn2_b64 exec, exec, s[10:11]
	s_cbranch_execnz .LBB15_25
; %bb.26:
	s_or_b64 exec, exec, s[10:11]
.LBB15_27:
	s_or_b64 exec, exec, s[2:3]
	v_and_b32_e32 v69, 7, v69
	v_cmp_ne_u32_e32 vcc, 0, v69
	s_and_saveexec_b64 s[8:9], vcc
	s_cbranch_execz .LBB15_31
; %bb.28:
	v_lshl_add_u32 v70, v68, 2, 64
	v_mov_b32_e32 v71, 0
	s_mov_b64 s[10:11], 0
.LBB15_29:                              ; =>This Inner Loop Header: Depth=1
	v_cmp_eq_u32_e32 vcc, 1, v68
	v_cndmask_b32_e32 v72, v18, v19, vcc
	v_add_u32_e32 v69, -1, v69
	v_cmp_eq_u32_e32 vcc, 2, v68
	v_cndmask_b32_e32 v72, v72, v20, vcc
	v_cmp_eq_u32_e32 vcc, 0, v69
	v_cmp_eq_u32_e64 s[2:3], 3, v68
	v_cndmask_b32_e64 v72, v72, v21, s[2:3]
	s_or_b64 s[10:11], vcc, s[10:11]
	v_cmp_eq_u32_e32 vcc, 4, v68
	v_cndmask_b32_e32 v72, v72, v22, vcc
	v_cmp_eq_u32_e32 vcc, 5, v68
	v_cndmask_b32_e32 v72, v72, v23, vcc
	v_cmp_eq_u32_e32 vcc, 6, v68
	v_cndmask_b32_e32 v72, v72, v24, vcc
	v_cmp_eq_u32_e32 vcc, 7, v68
	v_cndmask_b32_e32 v72, v72, v25, vcc
	v_cmp_eq_u32_e32 vcc, 8, v68
	v_cndmask_b32_e32 v72, v72, v26, vcc
	v_cmp_eq_u32_e32 vcc, 9, v68
	v_cndmask_b32_e32 v72, v72, v27, vcc
	v_cmp_eq_u32_e32 vcc, 10, v68
	v_cndmask_b32_e32 v72, v72, v28, vcc
	v_cmp_eq_u32_e32 vcc, 11, v68
	ds_read_b32 v73, v70
	v_cndmask_b32_e32 v72, v72, v29, vcc
	v_cmp_eq_u32_e32 vcc, 12, v68
	v_cndmask_b32_e32 v72, v72, v30, vcc
	v_cmp_eq_u32_e32 vcc, 13, v68
	;; [unrolled: 2-line block ×4, first 2 shown]
	v_add_co_u32_e64 v68, s[2:3], 1, v68
	v_cndmask_b32_e32 v72, v72, v33, vcc
	v_add_u32_e32 v70, 4, v70
	v_addc_co_u32_e64 v71, s[2:3], 0, v71, s[2:3]
	s_waitcnt lgkmcnt(0)
	v_fmac_f32_e32 v67, v72, v73
	s_andn2_b64 exec, exec, s[10:11]
	s_cbranch_execnz .LBB15_29
; %bb.30:
	s_or_b64 exec, exec, s[10:11]
.LBB15_31:
	s_or_b64 exec, exec, s[8:9]
.LBB15_32:
	s_or_b64 exec, exec, s[6:7]
	v_mov_b32_e32 v30, 0
	ds_read_b32 v30, v30 offset:48
	s_waitcnt lgkmcnt(0)
	v_mul_f32_e32 v30, v67, v30
.LBB15_33:
	s_or_b64 exec, exec, s[4:5]
	v_cmp_lt_u32_e64 s[2:3], 11, v0
	ds_write_b32 v66, v29
	s_waitcnt lgkmcnt(0)
	; wave barrier
	s_and_saveexec_b64 s[4:5], s[2:3]
	s_cbranch_execz .LBB15_49
; %bb.34:
	s_andn2_b64 vcc, exec, s[34:35]
	s_cbranch_vccnz .LBB15_36
; %bb.35:
	v_cmp_eq_u32_e32 vcc, 1, v0
	v_cndmask_b32_e32 v67, v18, v19, vcc
	v_cmp_eq_u32_e32 vcc, 2, v0
	v_cndmask_b32_e32 v67, v67, v20, vcc
	;; [unrolled: 2-line block ×11, first 2 shown]
	v_cmp_eq_u32_e32 vcc, 12, v0
	ds_read_b32 v68, v66
	v_cndmask_b32_e32 v67, v67, v30, vcc
	v_cmp_eq_u32_e32 vcc, 13, v0
	v_cndmask_b32_e32 v67, v67, v31, vcc
	v_cmp_eq_u32_e32 vcc, 14, v0
	;; [unrolled: 2-line block ×3, first 2 shown]
	v_cndmask_b32_e32 v67, v67, v33, vcc
	s_waitcnt lgkmcnt(0)
	v_mul_f32_e32 v67, v67, v68
	s_cbranch_execz .LBB15_37
	s_branch .LBB15_38
.LBB15_36:
                                        ; implicit-def: $vgpr67
.LBB15_37:
	ds_read_b32 v67, v66
.LBB15_38:
	s_and_saveexec_b64 s[6:7], s[0:1]
	s_cbranch_execz .LBB15_48
; %bb.39:
	v_add_u32_e32 v68, -13, v0
	v_add_u32_e32 v69, -12, v0
	v_cmp_lt_u32_e32 vcc, 6, v68
	v_mov_b32_e32 v68, 12
	s_and_saveexec_b64 s[0:1], vcc
	s_cbranch_execz .LBB15_43
; %bb.40:
	v_and_b32_e32 v68, -8, v69
	v_sub_u32_e32 v70, 0, v68
	s_mov_b64 s[8:9], 19
	s_movk_i32 s12, 0x70
	s_mov_b64 s[10:11], 0
.LBB15_41:                              ; =>This Inner Loop Header: Depth=1
	s_add_i32 s13, s8, -7
	v_mov_b32_e32 v68, s12
	s_add_i32 s14, s8, -6
	s_set_gpr_idx_on s13, gpr_idx(SRC0)
	v_mov_b32_e32 v79, v18
	s_set_gpr_idx_off
	s_add_i32 s15, s8, -5
	ds_read_b128 v[71:74], v68
	ds_read_b128 v[75:78], v68 offset:16
	s_set_gpr_idx_on s14, gpr_idx(SRC0)
	v_mov_b32_e32 v68, v18
	s_set_gpr_idx_off
	s_add_i32 s16, s8, -4
	s_set_gpr_idx_on s15, gpr_idx(SRC0)
	v_mov_b32_e32 v80, v18
	s_set_gpr_idx_off
	s_add_i32 s17, s8, -3
	;; [unrolled: 4-line block ×4, first 2 shown]
	s_waitcnt lgkmcnt(1)
	v_fmac_f32_e32 v67, v79, v71
	s_set_gpr_idx_on s18, gpr_idx(SRC0)
	v_mov_b32_e32 v71, v18
	s_set_gpr_idx_off
	v_fmac_f32_e32 v67, v68, v72
	s_set_gpr_idx_on s19, gpr_idx(SRC0)
	v_mov_b32_e32 v72, v18
	s_set_gpr_idx_off
	;; [unrolled: 4-line block ×3, first 2 shown]
	v_fmac_f32_e32 v67, v81, v74
	s_add_u32 s8, s8, 8
	s_waitcnt lgkmcnt(0)
	v_fmac_f32_e32 v67, v82, v75
	v_add_u32_e32 v68, s8, v70
	v_fmac_f32_e32 v67, v71, v76
	s_addc_u32 s9, s9, 0
	s_add_i32 s12, s12, 32
	s_add_i32 s13, s8, -7
	v_cmp_eq_u32_e32 vcc, 19, v68
	v_fmac_f32_e32 v67, v72, v77
	v_mov_b32_e32 v68, s13
	s_or_b64 s[10:11], vcc, s[10:11]
	v_fmac_f32_e32 v67, v73, v78
	s_andn2_b64 exec, exec, s[10:11]
	s_cbranch_execnz .LBB15_41
; %bb.42:
	s_or_b64 exec, exec, s[10:11]
.LBB15_43:
	s_or_b64 exec, exec, s[0:1]
	v_and_b32_e32 v69, 7, v69
	v_cmp_ne_u32_e32 vcc, 0, v69
	s_and_saveexec_b64 s[8:9], vcc
	s_cbranch_execz .LBB15_47
; %bb.44:
	v_lshl_add_u32 v70, v68, 2, 64
	v_mov_b32_e32 v71, 0
	s_mov_b64 s[10:11], 0
.LBB15_45:                              ; =>This Inner Loop Header: Depth=1
	v_cmp_eq_u32_e32 vcc, 1, v68
	v_cndmask_b32_e32 v72, v18, v19, vcc
	v_add_u32_e32 v69, -1, v69
	v_cmp_eq_u32_e32 vcc, 2, v68
	v_cndmask_b32_e32 v72, v72, v20, vcc
	v_cmp_eq_u32_e32 vcc, 0, v69
	v_cmp_eq_u32_e64 s[0:1], 3, v68
	v_cndmask_b32_e64 v72, v72, v21, s[0:1]
	s_or_b64 s[10:11], vcc, s[10:11]
	v_cmp_eq_u32_e32 vcc, 4, v68
	v_cndmask_b32_e32 v72, v72, v22, vcc
	v_cmp_eq_u32_e32 vcc, 5, v68
	v_cndmask_b32_e32 v72, v72, v23, vcc
	;; [unrolled: 2-line block ×7, first 2 shown]
	v_cmp_eq_u32_e32 vcc, 11, v68
	ds_read_b32 v73, v70
	v_cndmask_b32_e32 v72, v72, v29, vcc
	v_cmp_eq_u32_e32 vcc, 12, v68
	v_cndmask_b32_e32 v72, v72, v30, vcc
	v_cmp_eq_u32_e32 vcc, 13, v68
	;; [unrolled: 2-line block ×4, first 2 shown]
	v_add_co_u32_e64 v68, s[0:1], 1, v68
	v_cndmask_b32_e32 v72, v72, v33, vcc
	v_add_u32_e32 v70, 4, v70
	v_addc_co_u32_e64 v71, s[0:1], 0, v71, s[0:1]
	s_waitcnt lgkmcnt(0)
	v_fmac_f32_e32 v67, v72, v73
	s_andn2_b64 exec, exec, s[10:11]
	s_cbranch_execnz .LBB15_45
; %bb.46:
	s_or_b64 exec, exec, s[10:11]
.LBB15_47:
	s_or_b64 exec, exec, s[8:9]
.LBB15_48:
	s_or_b64 exec, exec, s[6:7]
	v_mov_b32_e32 v29, 0
	ds_read_b32 v29, v29 offset:44
	s_waitcnt lgkmcnt(0)
	v_mul_f32_e32 v29, v67, v29
.LBB15_49:
	s_or_b64 exec, exec, s[4:5]
	v_cmp_lt_u32_e64 s[0:1], 10, v0
	ds_write_b32 v66, v28
	s_waitcnt lgkmcnt(0)
	; wave barrier
	s_and_saveexec_b64 s[4:5], s[0:1]
	s_cbranch_execz .LBB15_65
; %bb.50:
	s_andn2_b64 vcc, exec, s[34:35]
	s_cbranch_vccnz .LBB15_52
; %bb.51:
	v_cmp_eq_u32_e32 vcc, 1, v0
	v_cndmask_b32_e32 v67, v18, v19, vcc
	v_cmp_eq_u32_e32 vcc, 2, v0
	v_cndmask_b32_e32 v67, v67, v20, vcc
	;; [unrolled: 2-line block ×11, first 2 shown]
	v_cmp_eq_u32_e32 vcc, 12, v0
	ds_read_b32 v68, v66
	v_cndmask_b32_e32 v67, v67, v30, vcc
	v_cmp_eq_u32_e32 vcc, 13, v0
	v_cndmask_b32_e32 v67, v67, v31, vcc
	v_cmp_eq_u32_e32 vcc, 14, v0
	;; [unrolled: 2-line block ×3, first 2 shown]
	v_cndmask_b32_e32 v67, v67, v33, vcc
	s_waitcnt lgkmcnt(0)
	v_mul_f32_e32 v67, v67, v68
	s_cbranch_execz .LBB15_53
	s_branch .LBB15_54
.LBB15_52:
                                        ; implicit-def: $vgpr67
.LBB15_53:
	ds_read_b32 v67, v66
.LBB15_54:
	s_and_saveexec_b64 s[6:7], s[2:3]
	s_cbranch_execz .LBB15_64
; %bb.55:
	v_add_u32_e32 v68, -12, v0
	v_add_u32_e32 v69, -11, v0
	v_cmp_lt_u32_e32 vcc, 6, v68
	v_mov_b32_e32 v68, 11
	s_and_saveexec_b64 s[2:3], vcc
	s_cbranch_execz .LBB15_59
; %bb.56:
	v_and_b32_e32 v68, -8, v69
	v_sub_u32_e32 v70, 0, v68
	s_mov_b64 s[8:9], 18
	s_movk_i32 s12, 0x6c
	s_mov_b64 s[10:11], 0
.LBB15_57:                              ; =>This Inner Loop Header: Depth=1
	s_add_i32 s13, s8, -7
	v_mov_b32_e32 v68, s12
	s_add_i32 s14, s8, -6
	s_set_gpr_idx_on s13, gpr_idx(SRC0)
	v_mov_b32_e32 v77, v18
	s_set_gpr_idx_off
	ds_read2_b32 v[71:72], v68 offset1:1
	s_add_i32 s15, s8, -5
	s_set_gpr_idx_on s14, gpr_idx(SRC0)
	v_mov_b32_e32 v78, v18
	s_set_gpr_idx_off
	s_add_i32 s16, s8, -4
	s_set_gpr_idx_on s15, gpr_idx(SRC0)
	v_mov_b32_e32 v79, v18
	s_set_gpr_idx_off
	ds_read2_b32 v[73:74], v68 offset0:2 offset1:3
	s_add_i32 s17, s8, -3
	s_set_gpr_idx_on s16, gpr_idx(SRC0)
	v_mov_b32_e32 v80, v18
	s_set_gpr_idx_off
	s_add_i32 s18, s8, -2
	s_set_gpr_idx_on s17, gpr_idx(SRC0)
	v_mov_b32_e32 v81, v18
	s_set_gpr_idx_off
	ds_read2_b32 v[75:76], v68 offset0:4 offset1:5
	s_add_i32 s19, s8, -1
	s_waitcnt lgkmcnt(2)
	v_fmac_f32_e32 v67, v77, v71
	s_set_gpr_idx_on s18, gpr_idx(SRC0)
	v_mov_b32_e32 v77, v18
	s_set_gpr_idx_off
	v_fmac_f32_e32 v67, v78, v72
	s_set_gpr_idx_on s19, gpr_idx(SRC0)
	v_mov_b32_e32 v78, v18
	s_set_gpr_idx_off
	ds_read2_b32 v[71:72], v68 offset0:6 offset1:7
	s_waitcnt lgkmcnt(2)
	v_fmac_f32_e32 v67, v79, v73
	s_set_gpr_idx_on s8, gpr_idx(SRC0)
	v_mov_b32_e32 v73, v18
	s_set_gpr_idx_off
	v_fmac_f32_e32 v67, v80, v74
	s_add_u32 s8, s8, 8
	s_waitcnt lgkmcnt(1)
	v_fmac_f32_e32 v67, v81, v75
	v_add_u32_e32 v68, s8, v70
	v_fmac_f32_e32 v67, v77, v76
	s_addc_u32 s9, s9, 0
	s_add_i32 s12, s12, 32
	s_add_i32 s13, s8, -7
	v_cmp_eq_u32_e32 vcc, 18, v68
	s_waitcnt lgkmcnt(0)
	v_fmac_f32_e32 v67, v78, v71
	v_mov_b32_e32 v68, s13
	s_or_b64 s[10:11], vcc, s[10:11]
	v_fmac_f32_e32 v67, v73, v72
	s_andn2_b64 exec, exec, s[10:11]
	s_cbranch_execnz .LBB15_57
; %bb.58:
	s_or_b64 exec, exec, s[10:11]
.LBB15_59:
	s_or_b64 exec, exec, s[2:3]
	v_and_b32_e32 v69, 7, v69
	v_cmp_ne_u32_e32 vcc, 0, v69
	s_and_saveexec_b64 s[8:9], vcc
	s_cbranch_execz .LBB15_63
; %bb.60:
	v_lshl_add_u32 v70, v68, 2, 64
	v_mov_b32_e32 v71, 0
	s_mov_b64 s[10:11], 0
.LBB15_61:                              ; =>This Inner Loop Header: Depth=1
	v_cmp_eq_u32_e32 vcc, 1, v68
	v_cndmask_b32_e32 v72, v18, v19, vcc
	v_add_u32_e32 v69, -1, v69
	v_cmp_eq_u32_e32 vcc, 2, v68
	v_cndmask_b32_e32 v72, v72, v20, vcc
	v_cmp_eq_u32_e32 vcc, 0, v69
	v_cmp_eq_u32_e64 s[2:3], 3, v68
	v_cndmask_b32_e64 v72, v72, v21, s[2:3]
	s_or_b64 s[10:11], vcc, s[10:11]
	v_cmp_eq_u32_e32 vcc, 4, v68
	v_cndmask_b32_e32 v72, v72, v22, vcc
	v_cmp_eq_u32_e32 vcc, 5, v68
	v_cndmask_b32_e32 v72, v72, v23, vcc
	;; [unrolled: 2-line block ×7, first 2 shown]
	v_cmp_eq_u32_e32 vcc, 11, v68
	ds_read_b32 v73, v70
	v_cndmask_b32_e32 v72, v72, v29, vcc
	v_cmp_eq_u32_e32 vcc, 12, v68
	v_cndmask_b32_e32 v72, v72, v30, vcc
	v_cmp_eq_u32_e32 vcc, 13, v68
	;; [unrolled: 2-line block ×4, first 2 shown]
	v_add_co_u32_e64 v68, s[2:3], 1, v68
	v_cndmask_b32_e32 v72, v72, v33, vcc
	v_add_u32_e32 v70, 4, v70
	v_addc_co_u32_e64 v71, s[2:3], 0, v71, s[2:3]
	s_waitcnt lgkmcnt(0)
	v_fmac_f32_e32 v67, v72, v73
	s_andn2_b64 exec, exec, s[10:11]
	s_cbranch_execnz .LBB15_61
; %bb.62:
	s_or_b64 exec, exec, s[10:11]
.LBB15_63:
	s_or_b64 exec, exec, s[8:9]
.LBB15_64:
	s_or_b64 exec, exec, s[6:7]
	v_mov_b32_e32 v28, 0
	ds_read_b32 v28, v28 offset:40
	s_waitcnt lgkmcnt(0)
	v_mul_f32_e32 v28, v67, v28
.LBB15_65:
	s_or_b64 exec, exec, s[4:5]
	v_cmp_lt_u32_e64 s[2:3], 9, v0
	ds_write_b32 v66, v27
	s_waitcnt lgkmcnt(0)
	; wave barrier
	s_and_saveexec_b64 s[4:5], s[2:3]
	s_cbranch_execz .LBB15_81
; %bb.66:
	s_andn2_b64 vcc, exec, s[34:35]
	s_cbranch_vccnz .LBB15_68
; %bb.67:
	v_cmp_eq_u32_e32 vcc, 1, v0
	v_cndmask_b32_e32 v67, v18, v19, vcc
	v_cmp_eq_u32_e32 vcc, 2, v0
	v_cndmask_b32_e32 v67, v67, v20, vcc
	;; [unrolled: 2-line block ×11, first 2 shown]
	v_cmp_eq_u32_e32 vcc, 12, v0
	ds_read_b32 v68, v66
	v_cndmask_b32_e32 v67, v67, v30, vcc
	v_cmp_eq_u32_e32 vcc, 13, v0
	v_cndmask_b32_e32 v67, v67, v31, vcc
	v_cmp_eq_u32_e32 vcc, 14, v0
	;; [unrolled: 2-line block ×3, first 2 shown]
	v_cndmask_b32_e32 v67, v67, v33, vcc
	s_waitcnt lgkmcnt(0)
	v_mul_f32_e32 v67, v67, v68
	s_cbranch_execz .LBB15_69
	s_branch .LBB15_70
.LBB15_68:
                                        ; implicit-def: $vgpr67
.LBB15_69:
	ds_read_b32 v67, v66
.LBB15_70:
	s_and_saveexec_b64 s[6:7], s[0:1]
	s_cbranch_execz .LBB15_80
; %bb.71:
	v_add_u32_e32 v68, -11, v0
	v_add_u32_e32 v69, -10, v0
	v_cmp_lt_u32_e32 vcc, 6, v68
	v_mov_b32_e32 v68, 10
	s_and_saveexec_b64 s[0:1], vcc
	s_cbranch_execz .LBB15_75
; %bb.72:
	v_and_b32_e32 v68, -8, v69
	v_sub_u32_e32 v70, 0, v68
	s_mov_b64 s[8:9], 17
	s_movk_i32 s12, 0x68
	s_mov_b64 s[10:11], 0
.LBB15_73:                              ; =>This Inner Loop Header: Depth=1
	s_add_i32 s13, s8, -7
	v_mov_b32_e32 v68, s12
	s_add_i32 s14, s8, -6
	s_set_gpr_idx_on s13, gpr_idx(SRC0)
	v_mov_b32_e32 v79, v18
	s_set_gpr_idx_off
	ds_read2_b64 v[71:74], v68 offset1:1
	s_add_i32 s15, s8, -5
	s_set_gpr_idx_on s14, gpr_idx(SRC0)
	v_mov_b32_e32 v80, v18
	s_set_gpr_idx_off
	s_add_i32 s16, s8, -4
	s_set_gpr_idx_on s15, gpr_idx(SRC0)
	v_mov_b32_e32 v81, v18
	s_set_gpr_idx_off
	;; [unrolled: 4-line block ×4, first 2 shown]
	ds_read2_b64 v[75:78], v68 offset0:2 offset1:3
	s_add_i32 s19, s8, -1
	s_waitcnt lgkmcnt(1)
	v_fmac_f32_e32 v67, v79, v71
	s_set_gpr_idx_on s18, gpr_idx(SRC0)
	v_mov_b32_e32 v71, v18
	s_set_gpr_idx_off
	v_fmac_f32_e32 v67, v80, v72
	s_set_gpr_idx_on s19, gpr_idx(SRC0)
	v_mov_b32_e32 v72, v18
	s_set_gpr_idx_off
	;; [unrolled: 4-line block ×3, first 2 shown]
	v_fmac_f32_e32 v67, v82, v74
	s_add_u32 s8, s8, 8
	s_waitcnt lgkmcnt(0)
	v_fmac_f32_e32 v67, v83, v75
	v_add_u32_e32 v68, s8, v70
	v_fmac_f32_e32 v67, v71, v76
	s_addc_u32 s9, s9, 0
	s_add_i32 s12, s12, 32
	s_add_i32 s13, s8, -7
	v_cmp_eq_u32_e32 vcc, 17, v68
	v_fmac_f32_e32 v67, v72, v77
	v_mov_b32_e32 v68, s13
	s_or_b64 s[10:11], vcc, s[10:11]
	v_fmac_f32_e32 v67, v73, v78
	s_andn2_b64 exec, exec, s[10:11]
	s_cbranch_execnz .LBB15_73
; %bb.74:
	s_or_b64 exec, exec, s[10:11]
.LBB15_75:
	s_or_b64 exec, exec, s[0:1]
	v_and_b32_e32 v69, 7, v69
	v_cmp_ne_u32_e32 vcc, 0, v69
	s_and_saveexec_b64 s[8:9], vcc
	s_cbranch_execz .LBB15_79
; %bb.76:
	v_lshl_add_u32 v70, v68, 2, 64
	v_mov_b32_e32 v71, 0
	s_mov_b64 s[10:11], 0
.LBB15_77:                              ; =>This Inner Loop Header: Depth=1
	v_cmp_eq_u32_e32 vcc, 1, v68
	v_cndmask_b32_e32 v72, v18, v19, vcc
	v_add_u32_e32 v69, -1, v69
	v_cmp_eq_u32_e32 vcc, 2, v68
	v_cndmask_b32_e32 v72, v72, v20, vcc
	v_cmp_eq_u32_e32 vcc, 0, v69
	v_cmp_eq_u32_e64 s[0:1], 3, v68
	v_cndmask_b32_e64 v72, v72, v21, s[0:1]
	s_or_b64 s[10:11], vcc, s[10:11]
	v_cmp_eq_u32_e32 vcc, 4, v68
	v_cndmask_b32_e32 v72, v72, v22, vcc
	v_cmp_eq_u32_e32 vcc, 5, v68
	v_cndmask_b32_e32 v72, v72, v23, vcc
	;; [unrolled: 2-line block ×7, first 2 shown]
	v_cmp_eq_u32_e32 vcc, 11, v68
	ds_read_b32 v73, v70
	v_cndmask_b32_e32 v72, v72, v29, vcc
	v_cmp_eq_u32_e32 vcc, 12, v68
	v_cndmask_b32_e32 v72, v72, v30, vcc
	v_cmp_eq_u32_e32 vcc, 13, v68
	;; [unrolled: 2-line block ×4, first 2 shown]
	v_add_co_u32_e64 v68, s[0:1], 1, v68
	v_cndmask_b32_e32 v72, v72, v33, vcc
	v_add_u32_e32 v70, 4, v70
	v_addc_co_u32_e64 v71, s[0:1], 0, v71, s[0:1]
	s_waitcnt lgkmcnt(0)
	v_fmac_f32_e32 v67, v72, v73
	s_andn2_b64 exec, exec, s[10:11]
	s_cbranch_execnz .LBB15_77
; %bb.78:
	s_or_b64 exec, exec, s[10:11]
.LBB15_79:
	s_or_b64 exec, exec, s[8:9]
.LBB15_80:
	s_or_b64 exec, exec, s[6:7]
	v_mov_b32_e32 v27, 0
	ds_read_b32 v27, v27 offset:36
	s_waitcnt lgkmcnt(0)
	v_mul_f32_e32 v27, v67, v27
.LBB15_81:
	s_or_b64 exec, exec, s[4:5]
	v_cmp_lt_u32_e64 s[0:1], 8, v0
	ds_write_b32 v66, v26
	s_waitcnt lgkmcnt(0)
	; wave barrier
	s_and_saveexec_b64 s[4:5], s[0:1]
	s_cbranch_execz .LBB15_97
; %bb.82:
	s_andn2_b64 vcc, exec, s[34:35]
	s_cbranch_vccnz .LBB15_84
; %bb.83:
	v_cmp_eq_u32_e32 vcc, 1, v0
	v_cndmask_b32_e32 v67, v18, v19, vcc
	v_cmp_eq_u32_e32 vcc, 2, v0
	v_cndmask_b32_e32 v67, v67, v20, vcc
	;; [unrolled: 2-line block ×11, first 2 shown]
	v_cmp_eq_u32_e32 vcc, 12, v0
	ds_read_b32 v68, v66
	v_cndmask_b32_e32 v67, v67, v30, vcc
	v_cmp_eq_u32_e32 vcc, 13, v0
	v_cndmask_b32_e32 v67, v67, v31, vcc
	v_cmp_eq_u32_e32 vcc, 14, v0
	;; [unrolled: 2-line block ×3, first 2 shown]
	v_cndmask_b32_e32 v67, v67, v33, vcc
	s_waitcnt lgkmcnt(0)
	v_mul_f32_e32 v67, v67, v68
	s_cbranch_execz .LBB15_85
	s_branch .LBB15_86
.LBB15_84:
                                        ; implicit-def: $vgpr67
.LBB15_85:
	ds_read_b32 v67, v66
.LBB15_86:
	s_and_saveexec_b64 s[6:7], s[2:3]
	s_cbranch_execz .LBB15_96
; %bb.87:
	v_add_u32_e32 v68, -10, v0
	v_add_u32_e32 v69, -9, v0
	v_cmp_lt_u32_e32 vcc, 6, v68
	v_mov_b32_e32 v68, 9
	s_and_saveexec_b64 s[2:3], vcc
	s_cbranch_execz .LBB15_91
; %bb.88:
	v_and_b32_e32 v68, -8, v69
	v_sub_u32_e32 v70, 0, v68
	s_mov_b64 s[8:9], 16
	s_movk_i32 s12, 0x64
	s_mov_b64 s[10:11], 0
.LBB15_89:                              ; =>This Inner Loop Header: Depth=1
	s_add_i32 s13, s8, -7
	v_mov_b32_e32 v68, s12
	s_add_i32 s14, s8, -6
	s_set_gpr_idx_on s13, gpr_idx(SRC0)
	v_mov_b32_e32 v77, v18
	s_set_gpr_idx_off
	ds_read2_b32 v[71:72], v68 offset1:1
	s_add_i32 s15, s8, -5
	s_set_gpr_idx_on s14, gpr_idx(SRC0)
	v_mov_b32_e32 v78, v18
	s_set_gpr_idx_off
	s_add_i32 s16, s8, -4
	s_set_gpr_idx_on s15, gpr_idx(SRC0)
	v_mov_b32_e32 v79, v18
	s_set_gpr_idx_off
	ds_read2_b32 v[73:74], v68 offset0:2 offset1:3
	s_add_i32 s17, s8, -3
	s_set_gpr_idx_on s16, gpr_idx(SRC0)
	v_mov_b32_e32 v80, v18
	s_set_gpr_idx_off
	s_add_i32 s18, s8, -2
	s_set_gpr_idx_on s17, gpr_idx(SRC0)
	v_mov_b32_e32 v81, v18
	s_set_gpr_idx_off
	ds_read2_b32 v[75:76], v68 offset0:4 offset1:5
	s_add_i32 s19, s8, -1
	s_waitcnt lgkmcnt(2)
	v_fmac_f32_e32 v67, v77, v71
	s_set_gpr_idx_on s18, gpr_idx(SRC0)
	v_mov_b32_e32 v77, v18
	s_set_gpr_idx_off
	v_fmac_f32_e32 v67, v78, v72
	s_set_gpr_idx_on s19, gpr_idx(SRC0)
	v_mov_b32_e32 v78, v18
	s_set_gpr_idx_off
	ds_read2_b32 v[71:72], v68 offset0:6 offset1:7
	s_waitcnt lgkmcnt(2)
	v_fmac_f32_e32 v67, v79, v73
	s_set_gpr_idx_on s8, gpr_idx(SRC0)
	v_mov_b32_e32 v73, v18
	s_set_gpr_idx_off
	v_fmac_f32_e32 v67, v80, v74
	s_add_u32 s8, s8, 8
	s_waitcnt lgkmcnt(1)
	v_fmac_f32_e32 v67, v81, v75
	v_add_u32_e32 v68, s8, v70
	v_fmac_f32_e32 v67, v77, v76
	s_addc_u32 s9, s9, 0
	s_add_i32 s12, s12, 32
	s_add_i32 s13, s8, -7
	v_cmp_eq_u32_e32 vcc, 16, v68
	s_waitcnt lgkmcnt(0)
	v_fmac_f32_e32 v67, v78, v71
	v_mov_b32_e32 v68, s13
	s_or_b64 s[10:11], vcc, s[10:11]
	v_fmac_f32_e32 v67, v73, v72
	s_andn2_b64 exec, exec, s[10:11]
	s_cbranch_execnz .LBB15_89
; %bb.90:
	s_or_b64 exec, exec, s[10:11]
.LBB15_91:
	s_or_b64 exec, exec, s[2:3]
	v_and_b32_e32 v69, 7, v69
	v_cmp_ne_u32_e32 vcc, 0, v69
	s_and_saveexec_b64 s[8:9], vcc
	s_cbranch_execz .LBB15_95
; %bb.92:
	v_lshl_add_u32 v70, v68, 2, 64
	v_mov_b32_e32 v71, 0
	s_mov_b64 s[10:11], 0
.LBB15_93:                              ; =>This Inner Loop Header: Depth=1
	v_cmp_eq_u32_e32 vcc, 1, v68
	v_cndmask_b32_e32 v72, v18, v19, vcc
	v_add_u32_e32 v69, -1, v69
	v_cmp_eq_u32_e32 vcc, 2, v68
	v_cndmask_b32_e32 v72, v72, v20, vcc
	v_cmp_eq_u32_e32 vcc, 0, v69
	v_cmp_eq_u32_e64 s[2:3], 3, v68
	v_cndmask_b32_e64 v72, v72, v21, s[2:3]
	s_or_b64 s[10:11], vcc, s[10:11]
	v_cmp_eq_u32_e32 vcc, 4, v68
	v_cndmask_b32_e32 v72, v72, v22, vcc
	v_cmp_eq_u32_e32 vcc, 5, v68
	v_cndmask_b32_e32 v72, v72, v23, vcc
	v_cmp_eq_u32_e32 vcc, 6, v68
	v_cndmask_b32_e32 v72, v72, v24, vcc
	v_cmp_eq_u32_e32 vcc, 7, v68
	v_cndmask_b32_e32 v72, v72, v25, vcc
	v_cmp_eq_u32_e32 vcc, 8, v68
	v_cndmask_b32_e32 v72, v72, v26, vcc
	v_cmp_eq_u32_e32 vcc, 9, v68
	v_cndmask_b32_e32 v72, v72, v27, vcc
	v_cmp_eq_u32_e32 vcc, 10, v68
	v_cndmask_b32_e32 v72, v72, v28, vcc
	v_cmp_eq_u32_e32 vcc, 11, v68
	ds_read_b32 v73, v70
	v_cndmask_b32_e32 v72, v72, v29, vcc
	v_cmp_eq_u32_e32 vcc, 12, v68
	v_cndmask_b32_e32 v72, v72, v30, vcc
	v_cmp_eq_u32_e32 vcc, 13, v68
	;; [unrolled: 2-line block ×4, first 2 shown]
	v_add_co_u32_e64 v68, s[2:3], 1, v68
	v_cndmask_b32_e32 v72, v72, v33, vcc
	v_add_u32_e32 v70, 4, v70
	v_addc_co_u32_e64 v71, s[2:3], 0, v71, s[2:3]
	s_waitcnt lgkmcnt(0)
	v_fmac_f32_e32 v67, v72, v73
	s_andn2_b64 exec, exec, s[10:11]
	s_cbranch_execnz .LBB15_93
; %bb.94:
	s_or_b64 exec, exec, s[10:11]
.LBB15_95:
	s_or_b64 exec, exec, s[8:9]
.LBB15_96:
	s_or_b64 exec, exec, s[6:7]
	v_mov_b32_e32 v26, 0
	ds_read_b32 v26, v26 offset:32
	s_waitcnt lgkmcnt(0)
	v_mul_f32_e32 v26, v67, v26
.LBB15_97:
	s_or_b64 exec, exec, s[4:5]
	v_cmp_lt_u32_e64 s[2:3], 7, v0
	ds_write_b32 v66, v25
	s_waitcnt lgkmcnt(0)
	; wave barrier
	s_and_saveexec_b64 s[4:5], s[2:3]
	s_cbranch_execz .LBB15_113
; %bb.98:
	s_andn2_b64 vcc, exec, s[34:35]
	s_cbranch_vccnz .LBB15_100
; %bb.99:
	v_cmp_eq_u32_e32 vcc, 1, v0
	v_cndmask_b32_e32 v67, v18, v19, vcc
	v_cmp_eq_u32_e32 vcc, 2, v0
	v_cndmask_b32_e32 v67, v67, v20, vcc
	;; [unrolled: 2-line block ×11, first 2 shown]
	v_cmp_eq_u32_e32 vcc, 12, v0
	ds_read_b32 v68, v66
	v_cndmask_b32_e32 v67, v67, v30, vcc
	v_cmp_eq_u32_e32 vcc, 13, v0
	v_cndmask_b32_e32 v67, v67, v31, vcc
	v_cmp_eq_u32_e32 vcc, 14, v0
	;; [unrolled: 2-line block ×3, first 2 shown]
	v_cndmask_b32_e32 v67, v67, v33, vcc
	s_waitcnt lgkmcnt(0)
	v_mul_f32_e32 v67, v67, v68
	s_cbranch_execz .LBB15_101
	s_branch .LBB15_102
.LBB15_100:
                                        ; implicit-def: $vgpr67
.LBB15_101:
	ds_read_b32 v67, v66
.LBB15_102:
	s_and_saveexec_b64 s[6:7], s[0:1]
	s_cbranch_execz .LBB15_112
; %bb.103:
	v_add_u32_e32 v68, -9, v0
	v_cmp_lt_u32_e32 vcc, 6, v68
	v_mov_b32_e32 v68, 8
	s_and_saveexec_b64 s[0:1], vcc
	s_cbranch_execz .LBB15_107
; %bb.104:
	v_and_b32_e32 v68, 8, v0
	v_sub_u32_e32 v69, 0, v68
	s_mov_b64 s[8:9], 15
	s_movk_i32 s12, 0x60
	s_mov_b64 s[10:11], 0
.LBB15_105:                             ; =>This Inner Loop Header: Depth=1
	s_add_i32 s13, s8, -7
	v_mov_b32_e32 v68, s12
	s_add_i32 s14, s8, -6
	s_set_gpr_idx_on s13, gpr_idx(SRC0)
	v_mov_b32_e32 v78, v18
	s_set_gpr_idx_off
	s_add_i32 s15, s8, -5
	ds_read_b128 v[70:73], v68
	ds_read_b128 v[74:77], v68 offset:16
	s_set_gpr_idx_on s14, gpr_idx(SRC0)
	v_mov_b32_e32 v68, v18
	s_set_gpr_idx_off
	s_add_i32 s16, s8, -4
	s_set_gpr_idx_on s15, gpr_idx(SRC0)
	v_mov_b32_e32 v79, v18
	s_set_gpr_idx_off
	s_add_i32 s17, s8, -3
	;; [unrolled: 4-line block ×4, first 2 shown]
	s_waitcnt lgkmcnt(1)
	v_fmac_f32_e32 v67, v78, v70
	s_set_gpr_idx_on s18, gpr_idx(SRC0)
	v_mov_b32_e32 v70, v18
	s_set_gpr_idx_off
	v_fmac_f32_e32 v67, v68, v71
	s_set_gpr_idx_on s19, gpr_idx(SRC0)
	v_mov_b32_e32 v71, v18
	s_set_gpr_idx_off
	;; [unrolled: 4-line block ×3, first 2 shown]
	v_fmac_f32_e32 v67, v80, v73
	s_add_u32 s8, s8, 8
	s_waitcnt lgkmcnt(0)
	v_fmac_f32_e32 v67, v81, v74
	v_add_u32_e32 v68, s8, v69
	v_fmac_f32_e32 v67, v70, v75
	s_addc_u32 s9, s9, 0
	s_add_i32 s12, s12, 32
	s_add_i32 s13, s8, -7
	v_cmp_eq_u32_e32 vcc, 7, v68
	v_fmac_f32_e32 v67, v71, v76
	v_mov_b32_e32 v68, s13
	s_or_b64 s[10:11], vcc, s[10:11]
	v_fmac_f32_e32 v67, v72, v77
	s_andn2_b64 exec, exec, s[10:11]
	s_cbranch_execnz .LBB15_105
; %bb.106:
	s_or_b64 exec, exec, s[10:11]
.LBB15_107:
	s_or_b64 exec, exec, s[0:1]
	v_and_b32_e32 v69, 7, v0
	v_cmp_ne_u32_e32 vcc, 0, v69
	s_and_saveexec_b64 s[8:9], vcc
	s_cbranch_execz .LBB15_111
; %bb.108:
	v_lshl_add_u32 v70, v68, 2, 64
	v_mov_b32_e32 v71, 0
	s_mov_b64 s[10:11], 0
.LBB15_109:                             ; =>This Inner Loop Header: Depth=1
	v_cmp_eq_u32_e32 vcc, 1, v68
	v_cndmask_b32_e32 v72, v18, v19, vcc
	v_add_u32_e32 v69, -1, v69
	v_cmp_eq_u32_e32 vcc, 2, v68
	v_cndmask_b32_e32 v72, v72, v20, vcc
	v_cmp_eq_u32_e32 vcc, 0, v69
	v_cmp_eq_u32_e64 s[0:1], 3, v68
	v_cndmask_b32_e64 v72, v72, v21, s[0:1]
	s_or_b64 s[10:11], vcc, s[10:11]
	v_cmp_eq_u32_e32 vcc, 4, v68
	v_cndmask_b32_e32 v72, v72, v22, vcc
	v_cmp_eq_u32_e32 vcc, 5, v68
	v_cndmask_b32_e32 v72, v72, v23, vcc
	;; [unrolled: 2-line block ×7, first 2 shown]
	v_cmp_eq_u32_e32 vcc, 11, v68
	ds_read_b32 v73, v70
	v_cndmask_b32_e32 v72, v72, v29, vcc
	v_cmp_eq_u32_e32 vcc, 12, v68
	v_cndmask_b32_e32 v72, v72, v30, vcc
	v_cmp_eq_u32_e32 vcc, 13, v68
	;; [unrolled: 2-line block ×4, first 2 shown]
	v_add_co_u32_e64 v68, s[0:1], 1, v68
	v_cndmask_b32_e32 v72, v72, v33, vcc
	v_add_u32_e32 v70, 4, v70
	v_addc_co_u32_e64 v71, s[0:1], 0, v71, s[0:1]
	s_waitcnt lgkmcnt(0)
	v_fmac_f32_e32 v67, v72, v73
	s_andn2_b64 exec, exec, s[10:11]
	s_cbranch_execnz .LBB15_109
; %bb.110:
	s_or_b64 exec, exec, s[10:11]
.LBB15_111:
	s_or_b64 exec, exec, s[8:9]
.LBB15_112:
	s_or_b64 exec, exec, s[6:7]
	v_mov_b32_e32 v25, 0
	ds_read_b32 v25, v25 offset:28
	s_waitcnt lgkmcnt(0)
	v_mul_f32_e32 v25, v67, v25
.LBB15_113:
	s_or_b64 exec, exec, s[4:5]
	v_cmp_lt_u32_e64 s[0:1], 6, v0
	ds_write_b32 v66, v24
	s_waitcnt lgkmcnt(0)
	; wave barrier
	s_and_saveexec_b64 s[4:5], s[0:1]
	s_cbranch_execz .LBB15_129
; %bb.114:
	s_andn2_b64 vcc, exec, s[34:35]
	s_cbranch_vccnz .LBB15_116
; %bb.115:
	v_cmp_eq_u32_e32 vcc, 1, v0
	v_cndmask_b32_e32 v67, v18, v19, vcc
	v_cmp_eq_u32_e32 vcc, 2, v0
	v_cndmask_b32_e32 v67, v67, v20, vcc
	;; [unrolled: 2-line block ×11, first 2 shown]
	v_cmp_eq_u32_e32 vcc, 12, v0
	ds_read_b32 v68, v66
	v_cndmask_b32_e32 v67, v67, v30, vcc
	v_cmp_eq_u32_e32 vcc, 13, v0
	v_cndmask_b32_e32 v67, v67, v31, vcc
	v_cmp_eq_u32_e32 vcc, 14, v0
	;; [unrolled: 2-line block ×3, first 2 shown]
	v_cndmask_b32_e32 v67, v67, v33, vcc
	s_waitcnt lgkmcnt(0)
	v_mul_f32_e32 v67, v67, v68
	s_cbranch_execz .LBB15_117
	s_branch .LBB15_118
.LBB15_116:
                                        ; implicit-def: $vgpr67
.LBB15_117:
	ds_read_b32 v67, v66
.LBB15_118:
	s_and_saveexec_b64 s[6:7], s[2:3]
	s_cbranch_execz .LBB15_128
; %bb.119:
	v_add_u32_e32 v68, -8, v0
	v_add_u32_e32 v69, -7, v0
	v_cmp_lt_u32_e32 vcc, 6, v68
	v_mov_b32_e32 v68, 7
	s_and_saveexec_b64 s[2:3], vcc
	s_cbranch_execz .LBB15_123
; %bb.120:
	v_and_b32_e32 v68, -8, v69
	v_sub_u32_e32 v70, 0, v68
	s_mov_b64 s[8:9], 14
	s_movk_i32 s12, 0x5c
	s_mov_b64 s[10:11], 0
.LBB15_121:                             ; =>This Inner Loop Header: Depth=1
	s_add_i32 s13, s8, -7
	v_mov_b32_e32 v68, s12
	s_add_i32 s14, s8, -6
	s_set_gpr_idx_on s13, gpr_idx(SRC0)
	v_mov_b32_e32 v77, v18
	s_set_gpr_idx_off
	ds_read2_b32 v[71:72], v68 offset1:1
	s_add_i32 s15, s8, -5
	s_set_gpr_idx_on s14, gpr_idx(SRC0)
	v_mov_b32_e32 v78, v18
	s_set_gpr_idx_off
	s_add_i32 s16, s8, -4
	s_set_gpr_idx_on s15, gpr_idx(SRC0)
	v_mov_b32_e32 v79, v18
	s_set_gpr_idx_off
	ds_read2_b32 v[73:74], v68 offset0:2 offset1:3
	s_add_i32 s17, s8, -3
	s_set_gpr_idx_on s16, gpr_idx(SRC0)
	v_mov_b32_e32 v80, v18
	s_set_gpr_idx_off
	s_add_i32 s18, s8, -2
	s_set_gpr_idx_on s17, gpr_idx(SRC0)
	v_mov_b32_e32 v81, v18
	s_set_gpr_idx_off
	ds_read2_b32 v[75:76], v68 offset0:4 offset1:5
	s_add_i32 s19, s8, -1
	s_waitcnt lgkmcnt(2)
	v_fmac_f32_e32 v67, v77, v71
	s_set_gpr_idx_on s18, gpr_idx(SRC0)
	v_mov_b32_e32 v77, v18
	s_set_gpr_idx_off
	v_fmac_f32_e32 v67, v78, v72
	s_set_gpr_idx_on s19, gpr_idx(SRC0)
	v_mov_b32_e32 v78, v18
	s_set_gpr_idx_off
	ds_read2_b32 v[71:72], v68 offset0:6 offset1:7
	s_waitcnt lgkmcnt(2)
	v_fmac_f32_e32 v67, v79, v73
	s_set_gpr_idx_on s8, gpr_idx(SRC0)
	v_mov_b32_e32 v73, v18
	s_set_gpr_idx_off
	v_fmac_f32_e32 v67, v80, v74
	s_add_u32 s8, s8, 8
	s_waitcnt lgkmcnt(1)
	v_fmac_f32_e32 v67, v81, v75
	v_add_u32_e32 v68, s8, v70
	v_fmac_f32_e32 v67, v77, v76
	s_addc_u32 s9, s9, 0
	s_add_i32 s12, s12, 32
	s_add_i32 s13, s8, -7
	v_cmp_eq_u32_e32 vcc, 14, v68
	s_waitcnt lgkmcnt(0)
	v_fmac_f32_e32 v67, v78, v71
	v_mov_b32_e32 v68, s13
	s_or_b64 s[10:11], vcc, s[10:11]
	v_fmac_f32_e32 v67, v73, v72
	s_andn2_b64 exec, exec, s[10:11]
	s_cbranch_execnz .LBB15_121
; %bb.122:
	s_or_b64 exec, exec, s[10:11]
.LBB15_123:
	s_or_b64 exec, exec, s[2:3]
	v_and_b32_e32 v69, 7, v69
	v_cmp_ne_u32_e32 vcc, 0, v69
	s_and_saveexec_b64 s[8:9], vcc
	s_cbranch_execz .LBB15_127
; %bb.124:
	v_lshl_add_u32 v70, v68, 2, 64
	v_mov_b32_e32 v71, 0
	s_mov_b64 s[10:11], 0
.LBB15_125:                             ; =>This Inner Loop Header: Depth=1
	v_cmp_eq_u32_e32 vcc, 1, v68
	v_cndmask_b32_e32 v72, v18, v19, vcc
	v_add_u32_e32 v69, -1, v69
	v_cmp_eq_u32_e32 vcc, 2, v68
	v_cndmask_b32_e32 v72, v72, v20, vcc
	v_cmp_eq_u32_e32 vcc, 0, v69
	v_cmp_eq_u32_e64 s[2:3], 3, v68
	v_cndmask_b32_e64 v72, v72, v21, s[2:3]
	s_or_b64 s[10:11], vcc, s[10:11]
	v_cmp_eq_u32_e32 vcc, 4, v68
	v_cndmask_b32_e32 v72, v72, v22, vcc
	v_cmp_eq_u32_e32 vcc, 5, v68
	v_cndmask_b32_e32 v72, v72, v23, vcc
	;; [unrolled: 2-line block ×7, first 2 shown]
	v_cmp_eq_u32_e32 vcc, 11, v68
	ds_read_b32 v73, v70
	v_cndmask_b32_e32 v72, v72, v29, vcc
	v_cmp_eq_u32_e32 vcc, 12, v68
	v_cndmask_b32_e32 v72, v72, v30, vcc
	v_cmp_eq_u32_e32 vcc, 13, v68
	;; [unrolled: 2-line block ×4, first 2 shown]
	v_add_co_u32_e64 v68, s[2:3], 1, v68
	v_cndmask_b32_e32 v72, v72, v33, vcc
	v_add_u32_e32 v70, 4, v70
	v_addc_co_u32_e64 v71, s[2:3], 0, v71, s[2:3]
	s_waitcnt lgkmcnt(0)
	v_fmac_f32_e32 v67, v72, v73
	s_andn2_b64 exec, exec, s[10:11]
	s_cbranch_execnz .LBB15_125
; %bb.126:
	s_or_b64 exec, exec, s[10:11]
.LBB15_127:
	s_or_b64 exec, exec, s[8:9]
.LBB15_128:
	s_or_b64 exec, exec, s[6:7]
	v_mov_b32_e32 v24, 0
	ds_read_b32 v24, v24 offset:24
	s_waitcnt lgkmcnt(0)
	v_mul_f32_e32 v24, v67, v24
.LBB15_129:
	s_or_b64 exec, exec, s[4:5]
	v_cmp_lt_u32_e64 s[2:3], 5, v0
	ds_write_b32 v66, v23
	s_waitcnt lgkmcnt(0)
	; wave barrier
	s_and_saveexec_b64 s[4:5], s[2:3]
	s_cbranch_execz .LBB15_145
; %bb.130:
	s_andn2_b64 vcc, exec, s[34:35]
	s_cbranch_vccnz .LBB15_132
; %bb.131:
	v_cmp_eq_u32_e32 vcc, 1, v0
	v_cndmask_b32_e32 v67, v18, v19, vcc
	v_cmp_eq_u32_e32 vcc, 2, v0
	v_cndmask_b32_e32 v67, v67, v20, vcc
	v_cmp_eq_u32_e32 vcc, 3, v0
	v_cndmask_b32_e32 v67, v67, v21, vcc
	v_cmp_eq_u32_e32 vcc, 4, v0
	v_cndmask_b32_e32 v67, v67, v22, vcc
	v_cmp_eq_u32_e32 vcc, 5, v0
	v_cndmask_b32_e32 v67, v67, v23, vcc
	v_cmp_eq_u32_e32 vcc, 6, v0
	v_cndmask_b32_e32 v67, v67, v24, vcc
	v_cmp_eq_u32_e32 vcc, 7, v0
	v_cndmask_b32_e32 v67, v67, v25, vcc
	v_cmp_eq_u32_e32 vcc, 8, v0
	v_cndmask_b32_e32 v67, v67, v26, vcc
	v_cmp_eq_u32_e32 vcc, 9, v0
	v_cndmask_b32_e32 v67, v67, v27, vcc
	v_cmp_eq_u32_e32 vcc, 10, v0
	v_cndmask_b32_e32 v67, v67, v28, vcc
	v_cmp_eq_u32_e32 vcc, 11, v0
	v_cndmask_b32_e32 v67, v67, v29, vcc
	v_cmp_eq_u32_e32 vcc, 12, v0
	ds_read_b32 v68, v66
	v_cndmask_b32_e32 v67, v67, v30, vcc
	v_cmp_eq_u32_e32 vcc, 13, v0
	v_cndmask_b32_e32 v67, v67, v31, vcc
	v_cmp_eq_u32_e32 vcc, 14, v0
	;; [unrolled: 2-line block ×3, first 2 shown]
	v_cndmask_b32_e32 v67, v67, v33, vcc
	s_waitcnt lgkmcnt(0)
	v_mul_f32_e32 v67, v67, v68
	s_cbranch_execz .LBB15_133
	s_branch .LBB15_134
.LBB15_132:
                                        ; implicit-def: $vgpr67
.LBB15_133:
	ds_read_b32 v67, v66
.LBB15_134:
	s_and_saveexec_b64 s[6:7], s[0:1]
	s_cbranch_execz .LBB15_144
; %bb.135:
	v_add_u32_e32 v70, -7, v0
	v_add_u32_e32 v69, -6, v0
	v_mov_b32_e32 v68, 6
	v_cmp_lt_u32_e32 vcc, 6, v70
	s_and_saveexec_b64 s[0:1], vcc
	s_cbranch_execz .LBB15_139
; %bb.136:
	v_and_b32_e32 v68, -8, v69
	v_sub_u32_e32 v70, 0, v68
	s_mov_b64 s[8:9], 13
	s_movk_i32 s12, 0x58
	s_mov_b64 s[10:11], 0
.LBB15_137:                             ; =>This Inner Loop Header: Depth=1
	s_add_i32 s13, s8, -7
	v_mov_b32_e32 v68, s12
	s_add_i32 s14, s8, -6
	s_set_gpr_idx_on s13, gpr_idx(SRC0)
	v_mov_b32_e32 v79, v18
	s_set_gpr_idx_off
	ds_read2_b64 v[71:74], v68 offset1:1
	s_add_i32 s15, s8, -5
	s_set_gpr_idx_on s14, gpr_idx(SRC0)
	v_mov_b32_e32 v80, v18
	s_set_gpr_idx_off
	s_add_i32 s16, s8, -4
	s_set_gpr_idx_on s15, gpr_idx(SRC0)
	v_mov_b32_e32 v81, v18
	s_set_gpr_idx_off
	;; [unrolled: 4-line block ×4, first 2 shown]
	ds_read2_b64 v[75:78], v68 offset0:2 offset1:3
	s_add_i32 s19, s8, -1
	s_waitcnt lgkmcnt(1)
	v_fmac_f32_e32 v67, v79, v71
	s_set_gpr_idx_on s18, gpr_idx(SRC0)
	v_mov_b32_e32 v71, v18
	s_set_gpr_idx_off
	v_fmac_f32_e32 v67, v80, v72
	s_set_gpr_idx_on s19, gpr_idx(SRC0)
	v_mov_b32_e32 v72, v18
	s_set_gpr_idx_off
	;; [unrolled: 4-line block ×3, first 2 shown]
	v_fmac_f32_e32 v67, v82, v74
	s_add_u32 s8, s8, 8
	s_waitcnt lgkmcnt(0)
	v_fmac_f32_e32 v67, v83, v75
	v_add_u32_e32 v68, s8, v70
	v_fmac_f32_e32 v67, v71, v76
	s_addc_u32 s9, s9, 0
	s_add_i32 s12, s12, 32
	s_add_i32 s13, s8, -7
	v_cmp_eq_u32_e32 vcc, 13, v68
	v_fmac_f32_e32 v67, v72, v77
	v_mov_b32_e32 v68, s13
	s_or_b64 s[10:11], vcc, s[10:11]
	v_fmac_f32_e32 v67, v73, v78
	s_andn2_b64 exec, exec, s[10:11]
	s_cbranch_execnz .LBB15_137
; %bb.138:
	s_or_b64 exec, exec, s[10:11]
.LBB15_139:
	s_or_b64 exec, exec, s[0:1]
	v_and_b32_e32 v69, 7, v69
	v_cmp_ne_u32_e32 vcc, 0, v69
	s_and_saveexec_b64 s[8:9], vcc
	s_cbranch_execz .LBB15_143
; %bb.140:
	v_lshl_add_u32 v70, v68, 2, 64
	v_mov_b32_e32 v71, 0
	s_mov_b64 s[10:11], 0
.LBB15_141:                             ; =>This Inner Loop Header: Depth=1
	v_cmp_eq_u32_e32 vcc, 1, v68
	v_cndmask_b32_e32 v72, v18, v19, vcc
	v_add_u32_e32 v69, -1, v69
	v_cmp_eq_u32_e32 vcc, 2, v68
	v_cndmask_b32_e32 v72, v72, v20, vcc
	v_cmp_eq_u32_e32 vcc, 0, v69
	v_cmp_eq_u32_e64 s[0:1], 3, v68
	v_cndmask_b32_e64 v72, v72, v21, s[0:1]
	s_or_b64 s[10:11], vcc, s[10:11]
	v_cmp_eq_u32_e32 vcc, 4, v68
	v_cndmask_b32_e32 v72, v72, v22, vcc
	v_cmp_eq_u32_e32 vcc, 5, v68
	v_cndmask_b32_e32 v72, v72, v23, vcc
	;; [unrolled: 2-line block ×7, first 2 shown]
	v_cmp_eq_u32_e32 vcc, 11, v68
	ds_read_b32 v73, v70
	v_cndmask_b32_e32 v72, v72, v29, vcc
	v_cmp_eq_u32_e32 vcc, 12, v68
	v_cndmask_b32_e32 v72, v72, v30, vcc
	v_cmp_eq_u32_e32 vcc, 13, v68
	;; [unrolled: 2-line block ×4, first 2 shown]
	v_add_co_u32_e64 v68, s[0:1], 1, v68
	v_cndmask_b32_e32 v72, v72, v33, vcc
	v_add_u32_e32 v70, 4, v70
	v_addc_co_u32_e64 v71, s[0:1], 0, v71, s[0:1]
	s_waitcnt lgkmcnt(0)
	v_fmac_f32_e32 v67, v72, v73
	s_andn2_b64 exec, exec, s[10:11]
	s_cbranch_execnz .LBB15_141
; %bb.142:
	s_or_b64 exec, exec, s[10:11]
.LBB15_143:
	s_or_b64 exec, exec, s[8:9]
.LBB15_144:
	s_or_b64 exec, exec, s[6:7]
	v_mov_b32_e32 v23, 0
	ds_read_b32 v23, v23 offset:20
	s_waitcnt lgkmcnt(0)
	v_mul_f32_e32 v23, v67, v23
.LBB15_145:
	s_or_b64 exec, exec, s[4:5]
	v_cmp_lt_u32_e64 s[0:1], 4, v0
	ds_write_b32 v66, v22
	s_waitcnt lgkmcnt(0)
	; wave barrier
	s_and_saveexec_b64 s[4:5], s[0:1]
	s_cbranch_execz .LBB15_161
; %bb.146:
	s_andn2_b64 vcc, exec, s[34:35]
	s_cbranch_vccnz .LBB15_148
; %bb.147:
	v_cmp_eq_u32_e32 vcc, 1, v0
	v_cndmask_b32_e32 v67, v18, v19, vcc
	v_cmp_eq_u32_e32 vcc, 2, v0
	v_cndmask_b32_e32 v67, v67, v20, vcc
	;; [unrolled: 2-line block ×11, first 2 shown]
	v_cmp_eq_u32_e32 vcc, 12, v0
	ds_read_b32 v68, v66
	v_cndmask_b32_e32 v67, v67, v30, vcc
	v_cmp_eq_u32_e32 vcc, 13, v0
	v_cndmask_b32_e32 v67, v67, v31, vcc
	v_cmp_eq_u32_e32 vcc, 14, v0
	;; [unrolled: 2-line block ×3, first 2 shown]
	v_cndmask_b32_e32 v67, v67, v33, vcc
	s_waitcnt lgkmcnt(0)
	v_mul_f32_e32 v67, v67, v68
	s_cbranch_execz .LBB15_149
	s_branch .LBB15_150
.LBB15_148:
                                        ; implicit-def: $vgpr67
.LBB15_149:
	ds_read_b32 v67, v66
.LBB15_150:
	s_and_saveexec_b64 s[6:7], s[2:3]
	s_cbranch_execz .LBB15_160
; %bb.151:
	v_add_u32_e32 v68, -6, v0
	v_add_u32_e32 v69, -5, v0
	v_cmp_lt_u32_e32 vcc, 6, v68
	v_mov_b32_e32 v68, 5
	s_and_saveexec_b64 s[2:3], vcc
	s_cbranch_execz .LBB15_155
; %bb.152:
	v_and_b32_e32 v68, -8, v69
	v_sub_u32_e32 v70, 0, v68
	s_mov_b64 s[8:9], 12
	s_movk_i32 s12, 0x54
	s_mov_b64 s[10:11], 0
.LBB15_153:                             ; =>This Inner Loop Header: Depth=1
	s_add_i32 s13, s8, -7
	v_mov_b32_e32 v68, s12
	s_add_i32 s14, s8, -6
	s_set_gpr_idx_on s13, gpr_idx(SRC0)
	v_mov_b32_e32 v77, v18
	s_set_gpr_idx_off
	ds_read2_b32 v[71:72], v68 offset1:1
	s_add_i32 s15, s8, -5
	s_set_gpr_idx_on s14, gpr_idx(SRC0)
	v_mov_b32_e32 v78, v18
	s_set_gpr_idx_off
	s_add_i32 s16, s8, -4
	s_set_gpr_idx_on s15, gpr_idx(SRC0)
	v_mov_b32_e32 v79, v18
	s_set_gpr_idx_off
	ds_read2_b32 v[73:74], v68 offset0:2 offset1:3
	s_add_i32 s17, s8, -3
	s_set_gpr_idx_on s16, gpr_idx(SRC0)
	v_mov_b32_e32 v80, v18
	s_set_gpr_idx_off
	s_add_i32 s18, s8, -2
	s_set_gpr_idx_on s17, gpr_idx(SRC0)
	v_mov_b32_e32 v81, v18
	s_set_gpr_idx_off
	ds_read2_b32 v[75:76], v68 offset0:4 offset1:5
	s_add_i32 s19, s8, -1
	s_waitcnt lgkmcnt(2)
	v_fmac_f32_e32 v67, v77, v71
	s_set_gpr_idx_on s18, gpr_idx(SRC0)
	v_mov_b32_e32 v77, v18
	s_set_gpr_idx_off
	v_fmac_f32_e32 v67, v78, v72
	s_set_gpr_idx_on s19, gpr_idx(SRC0)
	v_mov_b32_e32 v78, v18
	s_set_gpr_idx_off
	ds_read2_b32 v[71:72], v68 offset0:6 offset1:7
	s_waitcnt lgkmcnt(2)
	v_fmac_f32_e32 v67, v79, v73
	s_set_gpr_idx_on s8, gpr_idx(SRC0)
	v_mov_b32_e32 v73, v18
	s_set_gpr_idx_off
	v_fmac_f32_e32 v67, v80, v74
	s_add_u32 s8, s8, 8
	s_waitcnt lgkmcnt(1)
	v_fmac_f32_e32 v67, v81, v75
	v_add_u32_e32 v68, s8, v70
	v_fmac_f32_e32 v67, v77, v76
	s_addc_u32 s9, s9, 0
	s_add_i32 s12, s12, 32
	s_add_i32 s13, s8, -7
	v_cmp_eq_u32_e32 vcc, 12, v68
	s_waitcnt lgkmcnt(0)
	v_fmac_f32_e32 v67, v78, v71
	v_mov_b32_e32 v68, s13
	s_or_b64 s[10:11], vcc, s[10:11]
	v_fmac_f32_e32 v67, v73, v72
	s_andn2_b64 exec, exec, s[10:11]
	s_cbranch_execnz .LBB15_153
; %bb.154:
	s_or_b64 exec, exec, s[10:11]
.LBB15_155:
	s_or_b64 exec, exec, s[2:3]
	v_and_b32_e32 v69, 7, v69
	v_cmp_ne_u32_e32 vcc, 0, v69
	s_and_saveexec_b64 s[8:9], vcc
	s_cbranch_execz .LBB15_159
; %bb.156:
	v_lshl_add_u32 v70, v68, 2, 64
	v_mov_b32_e32 v71, 0
	s_mov_b64 s[10:11], 0
.LBB15_157:                             ; =>This Inner Loop Header: Depth=1
	v_cmp_eq_u32_e32 vcc, 1, v68
	v_cndmask_b32_e32 v72, v18, v19, vcc
	v_add_u32_e32 v69, -1, v69
	v_cmp_eq_u32_e32 vcc, 2, v68
	v_cndmask_b32_e32 v72, v72, v20, vcc
	v_cmp_eq_u32_e32 vcc, 0, v69
	v_cmp_eq_u32_e64 s[2:3], 3, v68
	v_cndmask_b32_e64 v72, v72, v21, s[2:3]
	s_or_b64 s[10:11], vcc, s[10:11]
	v_cmp_eq_u32_e32 vcc, 4, v68
	v_cndmask_b32_e32 v72, v72, v22, vcc
	v_cmp_eq_u32_e32 vcc, 5, v68
	v_cndmask_b32_e32 v72, v72, v23, vcc
	;; [unrolled: 2-line block ×7, first 2 shown]
	v_cmp_eq_u32_e32 vcc, 11, v68
	ds_read_b32 v73, v70
	v_cndmask_b32_e32 v72, v72, v29, vcc
	v_cmp_eq_u32_e32 vcc, 12, v68
	v_cndmask_b32_e32 v72, v72, v30, vcc
	v_cmp_eq_u32_e32 vcc, 13, v68
	;; [unrolled: 2-line block ×4, first 2 shown]
	v_add_co_u32_e64 v68, s[2:3], 1, v68
	v_cndmask_b32_e32 v72, v72, v33, vcc
	v_add_u32_e32 v70, 4, v70
	v_addc_co_u32_e64 v71, s[2:3], 0, v71, s[2:3]
	s_waitcnt lgkmcnt(0)
	v_fmac_f32_e32 v67, v72, v73
	s_andn2_b64 exec, exec, s[10:11]
	s_cbranch_execnz .LBB15_157
; %bb.158:
	s_or_b64 exec, exec, s[10:11]
.LBB15_159:
	s_or_b64 exec, exec, s[8:9]
.LBB15_160:
	s_or_b64 exec, exec, s[6:7]
	v_mov_b32_e32 v22, 0
	ds_read_b32 v22, v22 offset:16
	s_waitcnt lgkmcnt(0)
	v_mul_f32_e32 v22, v67, v22
.LBB15_161:
	s_or_b64 exec, exec, s[4:5]
	v_cmp_lt_u32_e64 s[2:3], 3, v0
	ds_write_b32 v66, v21
	s_waitcnt lgkmcnt(0)
	; wave barrier
	s_and_saveexec_b64 s[4:5], s[2:3]
	s_cbranch_execz .LBB15_177
; %bb.162:
	s_andn2_b64 vcc, exec, s[34:35]
	s_cbranch_vccnz .LBB15_164
; %bb.163:
	v_cmp_eq_u32_e32 vcc, 1, v0
	v_cndmask_b32_e32 v67, v18, v19, vcc
	v_cmp_eq_u32_e32 vcc, 2, v0
	v_cndmask_b32_e32 v67, v67, v20, vcc
	v_cmp_eq_u32_e32 vcc, 3, v0
	v_cndmask_b32_e32 v67, v67, v21, vcc
	v_cmp_eq_u32_e32 vcc, 4, v0
	v_cndmask_b32_e32 v67, v67, v22, vcc
	v_cmp_eq_u32_e32 vcc, 5, v0
	v_cndmask_b32_e32 v67, v67, v23, vcc
	v_cmp_eq_u32_e32 vcc, 6, v0
	v_cndmask_b32_e32 v67, v67, v24, vcc
	v_cmp_eq_u32_e32 vcc, 7, v0
	v_cndmask_b32_e32 v67, v67, v25, vcc
	v_cmp_eq_u32_e32 vcc, 8, v0
	v_cndmask_b32_e32 v67, v67, v26, vcc
	v_cmp_eq_u32_e32 vcc, 9, v0
	v_cndmask_b32_e32 v67, v67, v27, vcc
	v_cmp_eq_u32_e32 vcc, 10, v0
	v_cndmask_b32_e32 v67, v67, v28, vcc
	v_cmp_eq_u32_e32 vcc, 11, v0
	v_cndmask_b32_e32 v67, v67, v29, vcc
	v_cmp_eq_u32_e32 vcc, 12, v0
	ds_read_b32 v68, v66
	v_cndmask_b32_e32 v67, v67, v30, vcc
	v_cmp_eq_u32_e32 vcc, 13, v0
	v_cndmask_b32_e32 v67, v67, v31, vcc
	v_cmp_eq_u32_e32 vcc, 14, v0
	;; [unrolled: 2-line block ×3, first 2 shown]
	v_cndmask_b32_e32 v67, v67, v33, vcc
	s_waitcnt lgkmcnt(0)
	v_mul_f32_e32 v67, v67, v68
	s_cbranch_execz .LBB15_165
	s_branch .LBB15_166
.LBB15_164:
                                        ; implicit-def: $vgpr67
.LBB15_165:
	ds_read_b32 v67, v66
.LBB15_166:
	s_and_saveexec_b64 s[6:7], s[0:1]
	s_cbranch_execz .LBB15_176
; %bb.167:
	v_add_u32_e32 v68, -5, v0
	v_add_u32_e32 v69, -4, v0
	v_cmp_lt_u32_e32 vcc, 6, v68
	v_mov_b32_e32 v68, 4
	s_and_saveexec_b64 s[0:1], vcc
	s_cbranch_execz .LBB15_171
; %bb.168:
	v_and_b32_e32 v68, -8, v69
	v_sub_u32_e32 v70, 0, v68
	s_mov_b64 s[8:9], 5
	s_movk_i32 s12, 0x50
	s_mov_b64 s[10:11], 0
.LBB15_169:                             ; =>This Inner Loop Header: Depth=1
	s_add_i32 s13, s8, -1
	v_mov_b32_e32 v68, s12
	s_set_gpr_idx_on s13, gpr_idx(SRC0)
	v_mov_b32_e32 v79, v18
	s_set_gpr_idx_off
	s_add_i32 s14, s8, 1
	ds_read_b128 v[71:74], v68
	ds_read_b128 v[75:78], v68 offset:16
	s_set_gpr_idx_on s8, gpr_idx(SRC0)
	v_mov_b32_e32 v80, v18
	s_set_gpr_idx_off
	s_add_i32 s15, s8, 2
	s_set_gpr_idx_on s14, gpr_idx(SRC0)
	v_mov_b32_e32 v81, v18
	s_set_gpr_idx_off
	s_add_i32 s16, s8, 3
	;; [unrolled: 4-line block ×4, first 2 shown]
	s_waitcnt lgkmcnt(1)
	v_fmac_f32_e32 v67, v79, v71
	s_set_gpr_idx_on s17, gpr_idx(SRC0)
	v_mov_b32_e32 v71, v18
	s_set_gpr_idx_off
	s_add_i32 s19, s8, 6
	v_fmac_f32_e32 v67, v80, v72
	s_set_gpr_idx_on s18, gpr_idx(SRC0)
	v_mov_b32_e32 v72, v18
	s_set_gpr_idx_off
	v_fmac_f32_e32 v67, v81, v73
	s_set_gpr_idx_on s19, gpr_idx(SRC0)
	v_mov_b32_e32 v73, v18
	s_set_gpr_idx_off
	v_fmac_f32_e32 v67, v82, v74
	s_add_u32 s8, s8, 8
	s_waitcnt lgkmcnt(0)
	v_fmac_f32_e32 v67, v83, v75
	v_add_u32_e32 v68, s8, v70
	v_fmac_f32_e32 v67, v71, v76
	s_addc_u32 s9, s9, 0
	s_add_i32 s12, s12, 32
	s_add_i32 s13, s8, -1
	v_cmp_eq_u32_e32 vcc, 5, v68
	v_fmac_f32_e32 v67, v72, v77
	v_mov_b32_e32 v68, s13
	s_or_b64 s[10:11], vcc, s[10:11]
	v_fmac_f32_e32 v67, v73, v78
	s_andn2_b64 exec, exec, s[10:11]
	s_cbranch_execnz .LBB15_169
; %bb.170:
	s_or_b64 exec, exec, s[10:11]
.LBB15_171:
	s_or_b64 exec, exec, s[0:1]
	v_and_b32_e32 v69, 7, v69
	v_cmp_ne_u32_e32 vcc, 0, v69
	s_and_saveexec_b64 s[8:9], vcc
	s_cbranch_execz .LBB15_175
; %bb.172:
	v_lshl_add_u32 v70, v68, 2, 64
	v_mov_b32_e32 v71, 0
	s_mov_b64 s[10:11], 0
.LBB15_173:                             ; =>This Inner Loop Header: Depth=1
	v_cmp_eq_u32_e32 vcc, 1, v68
	v_cndmask_b32_e32 v72, v18, v19, vcc
	v_add_u32_e32 v69, -1, v69
	v_cmp_eq_u32_e32 vcc, 2, v68
	v_cndmask_b32_e32 v72, v72, v20, vcc
	v_cmp_eq_u32_e32 vcc, 0, v69
	v_cmp_eq_u32_e64 s[0:1], 3, v68
	v_cndmask_b32_e64 v72, v72, v21, s[0:1]
	s_or_b64 s[10:11], vcc, s[10:11]
	v_cmp_eq_u32_e32 vcc, 4, v68
	v_cndmask_b32_e32 v72, v72, v22, vcc
	v_cmp_eq_u32_e32 vcc, 5, v68
	v_cndmask_b32_e32 v72, v72, v23, vcc
	;; [unrolled: 2-line block ×7, first 2 shown]
	v_cmp_eq_u32_e32 vcc, 11, v68
	ds_read_b32 v73, v70
	v_cndmask_b32_e32 v72, v72, v29, vcc
	v_cmp_eq_u32_e32 vcc, 12, v68
	v_cndmask_b32_e32 v72, v72, v30, vcc
	v_cmp_eq_u32_e32 vcc, 13, v68
	v_cndmask_b32_e32 v72, v72, v31, vcc
	v_cmp_eq_u32_e32 vcc, 14, v68
	v_cndmask_b32_e32 v72, v72, v32, vcc
	v_cmp_eq_u32_e32 vcc, 15, v68
	v_add_co_u32_e64 v68, s[0:1], 1, v68
	v_cndmask_b32_e32 v72, v72, v33, vcc
	v_add_u32_e32 v70, 4, v70
	v_addc_co_u32_e64 v71, s[0:1], 0, v71, s[0:1]
	s_waitcnt lgkmcnt(0)
	v_fmac_f32_e32 v67, v72, v73
	s_andn2_b64 exec, exec, s[10:11]
	s_cbranch_execnz .LBB15_173
; %bb.174:
	s_or_b64 exec, exec, s[10:11]
.LBB15_175:
	s_or_b64 exec, exec, s[8:9]
.LBB15_176:
	s_or_b64 exec, exec, s[6:7]
	v_mov_b32_e32 v21, 0
	ds_read_b32 v21, v21 offset:12
	s_waitcnt lgkmcnt(0)
	v_mul_f32_e32 v21, v67, v21
.LBB15_177:
	s_or_b64 exec, exec, s[4:5]
	v_cmp_lt_u32_e64 s[0:1], 2, v0
	ds_write_b32 v66, v20
	s_waitcnt lgkmcnt(0)
	; wave barrier
	s_and_saveexec_b64 s[4:5], s[0:1]
	s_cbranch_execz .LBB15_193
; %bb.178:
	s_andn2_b64 vcc, exec, s[34:35]
	s_cbranch_vccnz .LBB15_180
; %bb.179:
	v_cmp_eq_u32_e32 vcc, 1, v0
	v_cndmask_b32_e32 v67, v18, v19, vcc
	v_cmp_eq_u32_e32 vcc, 2, v0
	v_cndmask_b32_e32 v67, v67, v20, vcc
	;; [unrolled: 2-line block ×11, first 2 shown]
	v_cmp_eq_u32_e32 vcc, 12, v0
	ds_read_b32 v68, v66
	v_cndmask_b32_e32 v67, v67, v30, vcc
	v_cmp_eq_u32_e32 vcc, 13, v0
	v_cndmask_b32_e32 v67, v67, v31, vcc
	v_cmp_eq_u32_e32 vcc, 14, v0
	;; [unrolled: 2-line block ×3, first 2 shown]
	v_cndmask_b32_e32 v67, v67, v33, vcc
	s_waitcnt lgkmcnt(0)
	v_mul_f32_e32 v67, v67, v68
	s_cbranch_execz .LBB15_181
	s_branch .LBB15_182
.LBB15_180:
                                        ; implicit-def: $vgpr67
.LBB15_181:
	ds_read_b32 v67, v66
.LBB15_182:
	s_and_saveexec_b64 s[6:7], s[2:3]
	s_cbranch_execz .LBB15_192
; %bb.183:
	v_add_u32_e32 v68, -4, v0
	v_add_u32_e32 v69, -3, v0
	v_cmp_lt_u32_e32 vcc, 6, v68
	v_mov_b32_e32 v68, 3
	s_and_saveexec_b64 s[2:3], vcc
	s_cbranch_execz .LBB15_187
; %bb.184:
	v_and_b32_e32 v68, -8, v69
	v_sub_u32_e32 v70, 0, v68
	s_mov_b64 s[8:9], 10
	s_movk_i32 s12, 0x4c
	s_mov_b64 s[10:11], 0
.LBB15_185:                             ; =>This Inner Loop Header: Depth=1
	s_add_i32 s13, s8, -7
	v_mov_b32_e32 v68, s12
	s_add_i32 s14, s8, -6
	s_set_gpr_idx_on s13, gpr_idx(SRC0)
	v_mov_b32_e32 v77, v18
	s_set_gpr_idx_off
	ds_read2_b32 v[71:72], v68 offset1:1
	s_add_i32 s15, s8, -5
	s_set_gpr_idx_on s14, gpr_idx(SRC0)
	v_mov_b32_e32 v78, v18
	s_set_gpr_idx_off
	s_add_i32 s16, s8, -4
	s_set_gpr_idx_on s15, gpr_idx(SRC0)
	v_mov_b32_e32 v79, v18
	s_set_gpr_idx_off
	ds_read2_b32 v[73:74], v68 offset0:2 offset1:3
	s_add_i32 s17, s8, -3
	s_set_gpr_idx_on s16, gpr_idx(SRC0)
	v_mov_b32_e32 v80, v18
	s_set_gpr_idx_off
	s_add_i32 s18, s8, -2
	s_set_gpr_idx_on s17, gpr_idx(SRC0)
	v_mov_b32_e32 v81, v18
	s_set_gpr_idx_off
	ds_read2_b32 v[75:76], v68 offset0:4 offset1:5
	s_add_i32 s19, s8, -1
	s_waitcnt lgkmcnt(2)
	v_fmac_f32_e32 v67, v77, v71
	s_set_gpr_idx_on s18, gpr_idx(SRC0)
	v_mov_b32_e32 v77, v18
	s_set_gpr_idx_off
	v_fmac_f32_e32 v67, v78, v72
	s_set_gpr_idx_on s19, gpr_idx(SRC0)
	v_mov_b32_e32 v78, v18
	s_set_gpr_idx_off
	ds_read2_b32 v[71:72], v68 offset0:6 offset1:7
	s_waitcnt lgkmcnt(2)
	v_fmac_f32_e32 v67, v79, v73
	s_set_gpr_idx_on s8, gpr_idx(SRC0)
	v_mov_b32_e32 v73, v18
	s_set_gpr_idx_off
	v_fmac_f32_e32 v67, v80, v74
	s_add_u32 s8, s8, 8
	s_waitcnt lgkmcnt(1)
	v_fmac_f32_e32 v67, v81, v75
	v_add_u32_e32 v68, s8, v70
	v_fmac_f32_e32 v67, v77, v76
	s_addc_u32 s9, s9, 0
	s_add_i32 s12, s12, 32
	s_add_i32 s13, s8, -7
	v_cmp_eq_u32_e32 vcc, 10, v68
	s_waitcnt lgkmcnt(0)
	v_fmac_f32_e32 v67, v78, v71
	v_mov_b32_e32 v68, s13
	s_or_b64 s[10:11], vcc, s[10:11]
	v_fmac_f32_e32 v67, v73, v72
	s_andn2_b64 exec, exec, s[10:11]
	s_cbranch_execnz .LBB15_185
; %bb.186:
	s_or_b64 exec, exec, s[10:11]
.LBB15_187:
	s_or_b64 exec, exec, s[2:3]
	v_and_b32_e32 v69, 7, v69
	v_cmp_ne_u32_e32 vcc, 0, v69
	s_and_saveexec_b64 s[8:9], vcc
	s_cbranch_execz .LBB15_191
; %bb.188:
	v_lshl_add_u32 v70, v68, 2, 64
	v_mov_b32_e32 v71, 0
	s_mov_b64 s[10:11], 0
.LBB15_189:                             ; =>This Inner Loop Header: Depth=1
	v_cmp_eq_u32_e32 vcc, 1, v68
	v_cndmask_b32_e32 v72, v18, v19, vcc
	v_add_u32_e32 v69, -1, v69
	v_cmp_eq_u32_e32 vcc, 2, v68
	v_cndmask_b32_e32 v72, v72, v20, vcc
	v_cmp_eq_u32_e32 vcc, 0, v69
	v_cmp_eq_u32_e64 s[2:3], 3, v68
	v_cndmask_b32_e64 v72, v72, v21, s[2:3]
	s_or_b64 s[10:11], vcc, s[10:11]
	v_cmp_eq_u32_e32 vcc, 4, v68
	v_cndmask_b32_e32 v72, v72, v22, vcc
	v_cmp_eq_u32_e32 vcc, 5, v68
	v_cndmask_b32_e32 v72, v72, v23, vcc
	;; [unrolled: 2-line block ×7, first 2 shown]
	v_cmp_eq_u32_e32 vcc, 11, v68
	ds_read_b32 v73, v70
	v_cndmask_b32_e32 v72, v72, v29, vcc
	v_cmp_eq_u32_e32 vcc, 12, v68
	v_cndmask_b32_e32 v72, v72, v30, vcc
	v_cmp_eq_u32_e32 vcc, 13, v68
	;; [unrolled: 2-line block ×4, first 2 shown]
	v_add_co_u32_e64 v68, s[2:3], 1, v68
	v_cndmask_b32_e32 v72, v72, v33, vcc
	v_add_u32_e32 v70, 4, v70
	v_addc_co_u32_e64 v71, s[2:3], 0, v71, s[2:3]
	s_waitcnt lgkmcnt(0)
	v_fmac_f32_e32 v67, v72, v73
	s_andn2_b64 exec, exec, s[10:11]
	s_cbranch_execnz .LBB15_189
; %bb.190:
	s_or_b64 exec, exec, s[10:11]
.LBB15_191:
	s_or_b64 exec, exec, s[8:9]
.LBB15_192:
	s_or_b64 exec, exec, s[6:7]
	v_mov_b32_e32 v20, 0
	ds_read_b32 v20, v20 offset:8
	s_waitcnt lgkmcnt(0)
	v_mul_f32_e32 v20, v67, v20
.LBB15_193:
	s_or_b64 exec, exec, s[4:5]
	v_cmp_lt_u32_e64 s[2:3], 1, v0
	ds_write_b32 v66, v19
	s_waitcnt lgkmcnt(0)
	; wave barrier
	s_and_saveexec_b64 s[4:5], s[2:3]
	s_cbranch_execz .LBB15_209
; %bb.194:
	s_andn2_b64 vcc, exec, s[34:35]
	s_cbranch_vccnz .LBB15_196
; %bb.195:
	v_cmp_eq_u32_e32 vcc, 1, v0
	v_cndmask_b32_e32 v67, v18, v19, vcc
	v_cmp_eq_u32_e32 vcc, 2, v0
	v_cndmask_b32_e32 v67, v67, v20, vcc
	;; [unrolled: 2-line block ×11, first 2 shown]
	v_cmp_eq_u32_e32 vcc, 12, v0
	ds_read_b32 v68, v66
	v_cndmask_b32_e32 v67, v67, v30, vcc
	v_cmp_eq_u32_e32 vcc, 13, v0
	v_cndmask_b32_e32 v67, v67, v31, vcc
	v_cmp_eq_u32_e32 vcc, 14, v0
	;; [unrolled: 2-line block ×3, first 2 shown]
	v_cndmask_b32_e32 v67, v67, v33, vcc
	s_waitcnt lgkmcnt(0)
	v_mul_f32_e32 v67, v67, v68
	s_cbranch_execz .LBB15_197
	s_branch .LBB15_198
.LBB15_196:
                                        ; implicit-def: $vgpr67
.LBB15_197:
	ds_read_b32 v67, v66
.LBB15_198:
	s_and_saveexec_b64 s[6:7], s[0:1]
	s_cbranch_execz .LBB15_208
; %bb.199:
	v_add_u32_e32 v68, -3, v0
	v_add_u32_e32 v69, -2, v0
	v_cmp_lt_u32_e32 vcc, 6, v68
	v_mov_b32_e32 v68, 2
	s_and_saveexec_b64 s[0:1], vcc
	s_cbranch_execz .LBB15_203
; %bb.200:
	v_and_b32_e32 v68, -8, v69
	v_sub_u32_e32 v70, 0, v68
	s_mov_b64 s[8:9], 9
	s_movk_i32 s12, 0x48
	s_mov_b64 s[10:11], 0
.LBB15_201:                             ; =>This Inner Loop Header: Depth=1
	s_add_i32 s13, s8, -7
	v_mov_b32_e32 v68, s12
	s_add_i32 s14, s8, -6
	s_set_gpr_idx_on s13, gpr_idx(SRC0)
	v_mov_b32_e32 v79, v18
	s_set_gpr_idx_off
	ds_read2_b64 v[71:74], v68 offset1:1
	s_add_i32 s15, s8, -5
	s_set_gpr_idx_on s14, gpr_idx(SRC0)
	v_mov_b32_e32 v80, v18
	s_set_gpr_idx_off
	s_add_i32 s16, s8, -4
	s_set_gpr_idx_on s15, gpr_idx(SRC0)
	v_mov_b32_e32 v81, v18
	s_set_gpr_idx_off
	;; [unrolled: 4-line block ×4, first 2 shown]
	ds_read2_b64 v[75:78], v68 offset0:2 offset1:3
	s_add_i32 s19, s8, -1
	s_waitcnt lgkmcnt(1)
	v_fmac_f32_e32 v67, v79, v71
	s_set_gpr_idx_on s18, gpr_idx(SRC0)
	v_mov_b32_e32 v71, v18
	s_set_gpr_idx_off
	v_fmac_f32_e32 v67, v80, v72
	s_set_gpr_idx_on s19, gpr_idx(SRC0)
	v_mov_b32_e32 v72, v18
	s_set_gpr_idx_off
	;; [unrolled: 4-line block ×3, first 2 shown]
	v_fmac_f32_e32 v67, v82, v74
	s_add_u32 s8, s8, 8
	s_waitcnt lgkmcnt(0)
	v_fmac_f32_e32 v67, v83, v75
	v_add_u32_e32 v68, s8, v70
	v_fmac_f32_e32 v67, v71, v76
	s_addc_u32 s9, s9, 0
	s_add_i32 s12, s12, 32
	s_add_i32 s13, s8, -7
	v_cmp_eq_u32_e32 vcc, 9, v68
	v_fmac_f32_e32 v67, v72, v77
	v_mov_b32_e32 v68, s13
	s_or_b64 s[10:11], vcc, s[10:11]
	v_fmac_f32_e32 v67, v73, v78
	s_andn2_b64 exec, exec, s[10:11]
	s_cbranch_execnz .LBB15_201
; %bb.202:
	s_or_b64 exec, exec, s[10:11]
.LBB15_203:
	s_or_b64 exec, exec, s[0:1]
	v_and_b32_e32 v69, 7, v69
	v_cmp_ne_u32_e32 vcc, 0, v69
	s_and_saveexec_b64 s[8:9], vcc
	s_cbranch_execz .LBB15_207
; %bb.204:
	v_lshl_add_u32 v70, v68, 2, 64
	v_mov_b32_e32 v71, 0
	s_mov_b64 s[10:11], 0
.LBB15_205:                             ; =>This Inner Loop Header: Depth=1
	v_cmp_eq_u32_e32 vcc, 1, v68
	v_cndmask_b32_e32 v72, v18, v19, vcc
	v_add_u32_e32 v69, -1, v69
	v_cmp_eq_u32_e32 vcc, 2, v68
	v_cndmask_b32_e32 v72, v72, v20, vcc
	v_cmp_eq_u32_e32 vcc, 0, v69
	v_cmp_eq_u32_e64 s[0:1], 3, v68
	v_cndmask_b32_e64 v72, v72, v21, s[0:1]
	s_or_b64 s[10:11], vcc, s[10:11]
	v_cmp_eq_u32_e32 vcc, 4, v68
	v_cndmask_b32_e32 v72, v72, v22, vcc
	v_cmp_eq_u32_e32 vcc, 5, v68
	v_cndmask_b32_e32 v72, v72, v23, vcc
	;; [unrolled: 2-line block ×7, first 2 shown]
	v_cmp_eq_u32_e32 vcc, 11, v68
	ds_read_b32 v73, v70
	v_cndmask_b32_e32 v72, v72, v29, vcc
	v_cmp_eq_u32_e32 vcc, 12, v68
	v_cndmask_b32_e32 v72, v72, v30, vcc
	v_cmp_eq_u32_e32 vcc, 13, v68
	;; [unrolled: 2-line block ×4, first 2 shown]
	v_add_co_u32_e64 v68, s[0:1], 1, v68
	v_cndmask_b32_e32 v72, v72, v33, vcc
	v_add_u32_e32 v70, 4, v70
	v_addc_co_u32_e64 v71, s[0:1], 0, v71, s[0:1]
	s_waitcnt lgkmcnt(0)
	v_fmac_f32_e32 v67, v72, v73
	s_andn2_b64 exec, exec, s[10:11]
	s_cbranch_execnz .LBB15_205
; %bb.206:
	s_or_b64 exec, exec, s[10:11]
.LBB15_207:
	s_or_b64 exec, exec, s[8:9]
.LBB15_208:
	s_or_b64 exec, exec, s[6:7]
	v_mov_b32_e32 v19, 0
	ds_read_b32 v19, v19 offset:4
	s_waitcnt lgkmcnt(0)
	v_mul_f32_e32 v19, v67, v19
.LBB15_209:
	s_or_b64 exec, exec, s[4:5]
	v_cmp_ne_u32_e32 vcc, 0, v0
	ds_write_b32 v66, v18
	s_waitcnt lgkmcnt(0)
	; wave barrier
	s_and_saveexec_b64 s[4:5], vcc
	s_cbranch_execz .LBB15_225
; %bb.210:
	s_andn2_b64 vcc, exec, s[34:35]
	s_cbranch_vccnz .LBB15_212
; %bb.211:
	v_cmp_eq_u32_e32 vcc, 1, v0
	v_cndmask_b32_e32 v67, v18, v19, vcc
	v_cmp_eq_u32_e32 vcc, 2, v0
	v_cndmask_b32_e32 v67, v67, v20, vcc
	;; [unrolled: 2-line block ×11, first 2 shown]
	v_cmp_eq_u32_e32 vcc, 12, v0
	ds_read_b32 v68, v66
	v_cndmask_b32_e32 v67, v67, v30, vcc
	v_cmp_eq_u32_e32 vcc, 13, v0
	v_cndmask_b32_e32 v67, v67, v31, vcc
	v_cmp_eq_u32_e32 vcc, 14, v0
	;; [unrolled: 2-line block ×3, first 2 shown]
	v_cndmask_b32_e32 v67, v67, v33, vcc
	s_waitcnt lgkmcnt(0)
	v_mul_f32_e32 v67, v67, v68
	s_cbranch_execz .LBB15_213
	s_branch .LBB15_214
.LBB15_212:
                                        ; implicit-def: $vgpr67
.LBB15_213:
	ds_read_b32 v67, v66
.LBB15_214:
	s_and_saveexec_b64 s[6:7], s[2:3]
	s_cbranch_execz .LBB15_224
; %bb.215:
	v_add_u32_e32 v68, -2, v0
	v_add_u32_e32 v69, -1, v0
	v_cmp_lt_u32_e32 vcc, 6, v68
	v_mov_b32_e32 v68, 1
	s_and_saveexec_b64 s[0:1], vcc
	s_cbranch_execz .LBB15_219
; %bb.216:
	v_and_b32_e32 v68, -8, v69
	v_sub_u32_e32 v70, 0, v68
	s_mov_b64 s[2:3], 8
	s_movk_i32 s10, 0x44
	s_mov_b64 s[8:9], 0
.LBB15_217:                             ; =>This Inner Loop Header: Depth=1
	s_add_i32 s11, s2, -7
	v_mov_b32_e32 v68, s10
	s_add_i32 s12, s2, -6
	s_set_gpr_idx_on s11, gpr_idx(SRC0)
	v_mov_b32_e32 v77, v18
	s_set_gpr_idx_off
	ds_read2_b32 v[71:72], v68 offset1:1
	s_add_i32 s13, s2, -5
	s_set_gpr_idx_on s12, gpr_idx(SRC0)
	v_mov_b32_e32 v78, v18
	s_set_gpr_idx_off
	s_add_i32 s14, s2, -4
	s_set_gpr_idx_on s13, gpr_idx(SRC0)
	v_mov_b32_e32 v79, v18
	s_set_gpr_idx_off
	ds_read2_b32 v[73:74], v68 offset0:2 offset1:3
	s_add_i32 s15, s2, -3
	s_set_gpr_idx_on s14, gpr_idx(SRC0)
	v_mov_b32_e32 v80, v18
	s_set_gpr_idx_off
	s_add_i32 s16, s2, -2
	s_set_gpr_idx_on s15, gpr_idx(SRC0)
	v_mov_b32_e32 v81, v18
	s_set_gpr_idx_off
	ds_read2_b32 v[75:76], v68 offset0:4 offset1:5
	s_add_i32 s17, s2, -1
	s_waitcnt lgkmcnt(2)
	v_fmac_f32_e32 v67, v77, v71
	s_set_gpr_idx_on s16, gpr_idx(SRC0)
	v_mov_b32_e32 v77, v18
	s_set_gpr_idx_off
	v_fmac_f32_e32 v67, v78, v72
	s_set_gpr_idx_on s17, gpr_idx(SRC0)
	v_mov_b32_e32 v78, v18
	s_set_gpr_idx_off
	ds_read2_b32 v[71:72], v68 offset0:6 offset1:7
	s_waitcnt lgkmcnt(2)
	v_fmac_f32_e32 v67, v79, v73
	s_set_gpr_idx_on s2, gpr_idx(SRC0)
	v_mov_b32_e32 v73, v18
	s_set_gpr_idx_off
	v_fmac_f32_e32 v67, v80, v74
	s_add_u32 s2, s2, 8
	s_waitcnt lgkmcnt(1)
	v_fmac_f32_e32 v67, v81, v75
	v_add_u32_e32 v68, s2, v70
	v_fmac_f32_e32 v67, v77, v76
	s_addc_u32 s3, s3, 0
	s_add_i32 s10, s10, 32
	s_add_i32 s11, s2, -7
	v_cmp_eq_u32_e32 vcc, 8, v68
	s_waitcnt lgkmcnt(0)
	v_fmac_f32_e32 v67, v78, v71
	v_mov_b32_e32 v68, s11
	s_or_b64 s[8:9], vcc, s[8:9]
	v_fmac_f32_e32 v67, v73, v72
	s_andn2_b64 exec, exec, s[8:9]
	s_cbranch_execnz .LBB15_217
; %bb.218:
	s_or_b64 exec, exec, s[8:9]
.LBB15_219:
	s_or_b64 exec, exec, s[0:1]
	v_and_b32_e32 v69, 7, v69
	v_cmp_ne_u32_e32 vcc, 0, v69
	s_and_saveexec_b64 s[2:3], vcc
	s_cbranch_execz .LBB15_223
; %bb.220:
	v_lshl_add_u32 v70, v68, 2, 64
	v_mov_b32_e32 v71, 0
	s_mov_b64 s[8:9], 0
.LBB15_221:                             ; =>This Inner Loop Header: Depth=1
	v_cmp_eq_u32_e32 vcc, 1, v68
	v_cndmask_b32_e32 v72, v18, v19, vcc
	v_add_u32_e32 v69, -1, v69
	v_cmp_eq_u32_e32 vcc, 2, v68
	v_cndmask_b32_e32 v72, v72, v20, vcc
	v_cmp_eq_u32_e32 vcc, 0, v69
	v_cmp_eq_u32_e64 s[0:1], 3, v68
	v_cndmask_b32_e64 v72, v72, v21, s[0:1]
	s_or_b64 s[8:9], vcc, s[8:9]
	v_cmp_eq_u32_e32 vcc, 4, v68
	v_cndmask_b32_e32 v72, v72, v22, vcc
	v_cmp_eq_u32_e32 vcc, 5, v68
	v_cndmask_b32_e32 v72, v72, v23, vcc
	;; [unrolled: 2-line block ×7, first 2 shown]
	v_cmp_eq_u32_e32 vcc, 11, v68
	ds_read_b32 v73, v70
	v_cndmask_b32_e32 v72, v72, v29, vcc
	v_cmp_eq_u32_e32 vcc, 12, v68
	v_cndmask_b32_e32 v72, v72, v30, vcc
	v_cmp_eq_u32_e32 vcc, 13, v68
	;; [unrolled: 2-line block ×4, first 2 shown]
	v_add_co_u32_e64 v68, s[0:1], 1, v68
	v_cndmask_b32_e32 v72, v72, v33, vcc
	v_add_u32_e32 v70, 4, v70
	v_addc_co_u32_e64 v71, s[0:1], 0, v71, s[0:1]
	s_waitcnt lgkmcnt(0)
	v_fmac_f32_e32 v67, v72, v73
	s_andn2_b64 exec, exec, s[8:9]
	s_cbranch_execnz .LBB15_221
; %bb.222:
	s_or_b64 exec, exec, s[8:9]
.LBB15_223:
	s_or_b64 exec, exec, s[2:3]
.LBB15_224:
	s_or_b64 exec, exec, s[6:7]
	v_mov_b32_e32 v18, 0
	ds_read_b32 v18, v18
	s_waitcnt lgkmcnt(0)
	v_mul_f32_e32 v18, v67, v18
.LBB15_225:
	s_or_b64 exec, exec, s[4:5]
	s_branch .LBB15_379
.LBB15_226:
	v_cmp_eq_u32_e64 s[2:3], 0, v0
	s_waitcnt vmcnt(15)
	ds_write_b32 v66, v3
	s_waitcnt lgkmcnt(0)
	; wave barrier
	s_and_saveexec_b64 s[0:1], s[2:3]
	s_cbranch_execz .LBB15_232
; %bb.227:
	s_and_b64 vcc, exec, s[34:35]
	s_cbranch_vccz .LBB15_229
; %bb.228:
	v_cmp_eq_u32_e32 vcc, 1, v0
	s_waitcnt vmcnt(7)
	v_cndmask_b32_e32 v3, v2, v3, vcc
	v_cmp_eq_u32_e32 vcc, 2, v0
	v_cndmask_b32_e32 v3, v3, v4, vcc
	v_cmp_eq_u32_e32 vcc, 3, v0
	;; [unrolled: 2-line block ×8, first 2 shown]
	s_waitcnt vmcnt(6)
	v_cndmask_b32_e32 v3, v3, v11, vcc
	v_cmp_eq_u32_e32 vcc, 10, v0
	s_waitcnt vmcnt(5)
	v_cndmask_b32_e32 v3, v3, v12, vcc
	v_cmp_eq_u32_e32 vcc, 11, v0
	;; [unrolled: 3-line block ×3, first 2 shown]
	ds_read_b32 v18, v66
	s_waitcnt vmcnt(3)
	v_cndmask_b32_e32 v3, v3, v14, vcc
	v_cmp_eq_u32_e32 vcc, 13, v0
	s_waitcnt vmcnt(2)
	v_cndmask_b32_e32 v3, v3, v15, vcc
	v_cmp_eq_u32_e32 vcc, 14, v0
	;; [unrolled: 3-line block ×3, first 2 shown]
	s_waitcnt vmcnt(0)
	v_cndmask_b32_e32 v3, v3, v17, vcc
	s_waitcnt lgkmcnt(0)
	v_mul_f32_e32 v3, v3, v18
	s_cbranch_execz .LBB15_230
	s_branch .LBB15_231
.LBB15_229:
                                        ; implicit-def: $vgpr3
.LBB15_230:
	ds_read_b32 v3, v66
.LBB15_231:
	v_mov_b32_e32 v18, 0
	ds_read_b32 v18, v18 offset:4
	s_waitcnt lgkmcnt(0)
	v_mul_f32_e32 v3, v3, v18
.LBB15_232:
	s_or_b64 exec, exec, s[0:1]
	v_cndmask_b32_e64 v18, 0, 1, s[34:35]
	v_cmp_gt_u32_e32 vcc, 2, v0
	v_cmp_ne_u32_e64 s[0:1], 1, v18
	s_waitcnt vmcnt(14)
	ds_write_b32 v66, v4
	s_waitcnt lgkmcnt(0)
	; wave barrier
	s_and_saveexec_b64 s[4:5], vcc
	s_cbranch_execz .LBB15_238
; %bb.233:
	s_and_b64 vcc, exec, s[0:1]
	s_cbranch_vccnz .LBB15_235
; %bb.234:
	v_cmp_eq_u32_e32 vcc, 1, v0
	s_waitcnt vmcnt(7)
	v_cndmask_b32_e32 v18, v2, v3, vcc
	v_cmp_eq_u32_e32 vcc, 2, v0
	v_cndmask_b32_e32 v4, v18, v4, vcc
	v_cmp_eq_u32_e32 vcc, 3, v0
	;; [unrolled: 2-line block ×8, first 2 shown]
	s_waitcnt vmcnt(6)
	v_cndmask_b32_e32 v4, v4, v11, vcc
	v_cmp_eq_u32_e32 vcc, 10, v0
	s_waitcnt vmcnt(5)
	v_cndmask_b32_e32 v4, v4, v12, vcc
	v_cmp_eq_u32_e32 vcc, 11, v0
	;; [unrolled: 3-line block ×3, first 2 shown]
	ds_read_b32 v18, v66
	s_waitcnt vmcnt(3)
	v_cndmask_b32_e32 v4, v4, v14, vcc
	v_cmp_eq_u32_e32 vcc, 13, v0
	s_waitcnt vmcnt(2)
	v_cndmask_b32_e32 v4, v4, v15, vcc
	v_cmp_eq_u32_e32 vcc, 14, v0
	;; [unrolled: 3-line block ×3, first 2 shown]
	s_waitcnt vmcnt(0)
	v_cndmask_b32_e32 v4, v4, v17, vcc
	s_waitcnt lgkmcnt(0)
	v_mul_f32_e32 v4, v4, v18
	s_cbranch_execz .LBB15_236
	s_branch .LBB15_237
.LBB15_235:
                                        ; implicit-def: $vgpr4
.LBB15_236:
	ds_read_b32 v4, v66
.LBB15_237:
	v_mov_b32_e32 v18, 0
	ds_read2_b32 v[18:19], v18 offset0:2 offset1:17
	s_waitcnt lgkmcnt(0)
	v_fma_f32 v19, v3, v19, v4
	v_cndmask_b32_e64 v4, v4, v19, s[2:3]
	v_mul_f32_e32 v4, v4, v18
.LBB15_238:
	s_or_b64 exec, exec, s[4:5]
	v_add_u32_e32 v20, 1, v0
	v_cmp_gt_u32_e64 s[4:5], 3, v0
	s_waitcnt vmcnt(13)
	ds_write_b32 v66, v5
	s_waitcnt lgkmcnt(0)
	; wave barrier
	s_and_saveexec_b64 s[6:7], s[4:5]
	s_cbranch_execz .LBB15_246
; %bb.239:
	s_and_b64 vcc, exec, s[0:1]
	s_cbranch_vccnz .LBB15_241
; %bb.240:
	v_cmp_eq_u32_e32 vcc, 1, v0
	s_waitcnt vmcnt(7)
	v_cndmask_b32_e32 v18, v2, v3, vcc
	v_cmp_eq_u32_e32 vcc, 2, v0
	v_cndmask_b32_e32 v18, v18, v4, vcc
	v_cmp_eq_u32_e32 vcc, 3, v0
	;; [unrolled: 2-line block ×8, first 2 shown]
	s_waitcnt vmcnt(6)
	v_cndmask_b32_e32 v18, v18, v11, vcc
	v_cmp_eq_u32_e32 vcc, 10, v0
	s_waitcnt vmcnt(5)
	v_cndmask_b32_e32 v18, v18, v12, vcc
	v_cmp_eq_u32_e32 vcc, 11, v0
	;; [unrolled: 3-line block ×3, first 2 shown]
	ds_read_b32 v19, v66
	s_waitcnt vmcnt(3)
	v_cndmask_b32_e32 v18, v18, v14, vcc
	v_cmp_eq_u32_e32 vcc, 13, v0
	s_waitcnt vmcnt(2)
	v_cndmask_b32_e32 v18, v18, v15, vcc
	v_cmp_eq_u32_e32 vcc, 14, v0
	;; [unrolled: 3-line block ×3, first 2 shown]
	s_waitcnt vmcnt(0)
	v_cndmask_b32_e32 v18, v18, v17, vcc
	s_waitcnt lgkmcnt(0)
	v_mul_f32_e32 v18, v18, v19
	s_cbranch_execz .LBB15_242
	s_branch .LBB15_243
.LBB15_241:
                                        ; implicit-def: $vgpr18
.LBB15_242:
	ds_read_b32 v18, v66
.LBB15_243:
	v_cmp_ne_u32_e32 vcc, 2, v0
	s_and_saveexec_b64 s[8:9], vcc
	s_cbranch_execz .LBB15_245
; %bb.244:
	v_cmp_eq_u32_e32 vcc, 1, v20
	s_waitcnt vmcnt(7)
	v_cndmask_b32_e32 v19, v2, v3, vcc
	v_cmp_eq_u32_e32 vcc, 2, v20
	v_cndmask_b32_e32 v19, v19, v4, vcc
	v_cmp_eq_u32_e32 vcc, 3, v20
	;; [unrolled: 2-line block ×8, first 2 shown]
	s_waitcnt vmcnt(6)
	v_cndmask_b32_e32 v5, v5, v11, vcc
	v_cmp_eq_u32_e32 vcc, 10, v20
	s_waitcnt vmcnt(5)
	v_cndmask_b32_e32 v5, v5, v12, vcc
	v_cmp_eq_u32_e32 vcc, 11, v20
	;; [unrolled: 3-line block ×3, first 2 shown]
	v_mov_b32_e32 v19, 0
	s_waitcnt vmcnt(3)
	v_cndmask_b32_e32 v5, v5, v14, vcc
	v_cmp_eq_u32_e32 vcc, 13, v20
	ds_read_b32 v21, v66 offset:4
	ds_read_b32 v19, v19 offset:72
	s_waitcnt vmcnt(2)
	v_cndmask_b32_e32 v5, v5, v15, vcc
	v_cmp_eq_u32_e32 vcc, 14, v20
	s_waitcnt vmcnt(1)
	v_cndmask_b32_e32 v5, v5, v16, vcc
	v_cmp_eq_u32_e32 vcc, 15, v20
	s_waitcnt vmcnt(0)
	v_cndmask_b32_e32 v5, v5, v17, vcc
	s_waitcnt lgkmcnt(1)
	v_fmac_f32_e32 v18, v5, v21
	s_waitcnt lgkmcnt(0)
	v_fma_f32 v5, v4, v19, v18
	v_cndmask_b32_e64 v18, v18, v5, s[2:3]
.LBB15_245:
	s_or_b64 exec, exec, s[8:9]
	v_mov_b32_e32 v5, 0
	ds_read_b32 v5, v5 offset:12
	s_waitcnt lgkmcnt(0)
	v_mul_f32_e32 v5, v18, v5
.LBB15_246:
	s_or_b64 exec, exec, s[6:7]
	v_cmp_gt_u32_e32 vcc, 4, v0
	s_waitcnt vmcnt(12)
	ds_write_b32 v66, v6
	s_waitcnt lgkmcnt(0)
	; wave barrier
	s_and_saveexec_b64 s[8:9], vcc
	s_cbranch_execz .LBB15_256
; %bb.247:
	s_and_b64 vcc, exec, s[0:1]
	s_cbranch_vccnz .LBB15_249
; %bb.248:
	v_cmp_eq_u32_e32 vcc, 1, v0
	s_waitcnt vmcnt(7)
	v_cndmask_b32_e32 v18, v2, v3, vcc
	v_cmp_eq_u32_e32 vcc, 2, v0
	v_cndmask_b32_e32 v18, v18, v4, vcc
	v_cmp_eq_u32_e32 vcc, 3, v0
	;; [unrolled: 2-line block ×8, first 2 shown]
	s_waitcnt vmcnt(6)
	v_cndmask_b32_e32 v18, v18, v11, vcc
	v_cmp_eq_u32_e32 vcc, 10, v0
	s_waitcnt vmcnt(5)
	v_cndmask_b32_e32 v18, v18, v12, vcc
	v_cmp_eq_u32_e32 vcc, 11, v0
	;; [unrolled: 3-line block ×3, first 2 shown]
	ds_read_b32 v19, v66
	s_waitcnt vmcnt(3)
	v_cndmask_b32_e32 v18, v18, v14, vcc
	v_cmp_eq_u32_e32 vcc, 13, v0
	s_waitcnt vmcnt(2)
	v_cndmask_b32_e32 v18, v18, v15, vcc
	v_cmp_eq_u32_e32 vcc, 14, v0
	;; [unrolled: 3-line block ×3, first 2 shown]
	s_waitcnt vmcnt(0)
	v_cndmask_b32_e32 v18, v18, v17, vcc
	s_waitcnt lgkmcnt(0)
	v_mul_f32_e32 v21, v18, v19
	s_cbranch_execz .LBB15_250
	s_branch .LBB15_251
.LBB15_249:
                                        ; implicit-def: $vgpr21
.LBB15_250:
	ds_read_b32 v21, v66
.LBB15_251:
	v_cmp_ne_u32_e32 vcc, 3, v0
	s_and_saveexec_b64 s[10:11], vcc
	s_cbranch_execz .LBB15_255
; %bb.252:
	v_mov_b32_e32 v18, 0x44
	v_lshl_add_u32 v22, v0, 2, v18
	v_mov_b32_e32 v19, v1
	s_mov_b64 s[12:13], 0
	v_mov_b32_e32 v18, v0
.LBB15_253:                             ; =>This Inner Loop Header: Depth=1
	v_add_co_u32_e32 v18, vcc, 1, v18
	v_addc_co_u32_e32 v19, vcc, 0, v19, vcc
	v_cmp_eq_u32_e32 vcc, 1, v18
	s_waitcnt vmcnt(7)
	v_cndmask_b32_e32 v24, v2, v3, vcc
	v_cmp_lt_u32_e32 vcc, 2, v18
	v_cmp_eq_u32_e64 s[6:7], 2, v18
	v_cndmask_b32_e64 v24, v24, v4, s[6:7]
	s_or_b64 s[12:13], vcc, s[12:13]
	v_cmp_eq_u32_e32 vcc, 3, v18
	v_cndmask_b32_e32 v24, v24, v5, vcc
	v_cmp_eq_u32_e32 vcc, 4, v18
	v_cndmask_b32_e32 v24, v24, v6, vcc
	;; [unrolled: 2-line block ×6, first 2 shown]
	v_cmp_eq_u32_e32 vcc, 9, v18
	s_waitcnt vmcnt(6)
	v_cndmask_b32_e32 v24, v24, v11, vcc
	v_cmp_eq_u32_e32 vcc, 10, v18
	s_waitcnt vmcnt(5)
	v_cndmask_b32_e32 v24, v24, v12, vcc
	v_cmp_eq_u32_e32 vcc, 11, v18
	ds_read_b32 v23, v22
	s_waitcnt vmcnt(4)
	v_cndmask_b32_e32 v24, v24, v13, vcc
	v_cmp_eq_u32_e32 vcc, 12, v18
	s_waitcnt vmcnt(3)
	v_cndmask_b32_e32 v24, v24, v14, vcc
	v_cmp_eq_u32_e32 vcc, 13, v18
	;; [unrolled: 3-line block ×4, first 2 shown]
	s_waitcnt vmcnt(0)
	v_cndmask_b32_e32 v24, v24, v17, vcc
	v_add_u32_e32 v22, 4, v22
	s_waitcnt lgkmcnt(0)
	v_fmac_f32_e32 v21, v24, v23
	s_andn2_b64 exec, exec, s[12:13]
	s_cbranch_execnz .LBB15_253
; %bb.254:
	s_or_b64 exec, exec, s[12:13]
.LBB15_255:
	s_or_b64 exec, exec, s[10:11]
	v_mov_b32_e32 v6, 0
	ds_read_b32 v6, v6 offset:16
	s_waitcnt lgkmcnt(0)
	v_mul_f32_e32 v6, v21, v6
.LBB15_256:
	s_or_b64 exec, exec, s[8:9]
	v_cmp_gt_u32_e64 s[6:7], 5, v0
	s_waitcnt vmcnt(11)
	ds_write_b32 v66, v7
	s_waitcnt lgkmcnt(0)
	; wave barrier
	s_and_saveexec_b64 s[10:11], s[6:7]
	s_cbranch_execz .LBB15_266
; %bb.257:
	s_and_b64 vcc, exec, s[0:1]
	s_cbranch_vccnz .LBB15_259
; %bb.258:
	v_cmp_eq_u32_e32 vcc, 1, v0
	s_waitcnt vmcnt(7)
	v_cndmask_b32_e32 v18, v2, v3, vcc
	v_cmp_eq_u32_e32 vcc, 2, v0
	v_cndmask_b32_e32 v18, v18, v4, vcc
	v_cmp_eq_u32_e32 vcc, 3, v0
	;; [unrolled: 2-line block ×8, first 2 shown]
	s_waitcnt vmcnt(6)
	v_cndmask_b32_e32 v18, v18, v11, vcc
	v_cmp_eq_u32_e32 vcc, 10, v0
	s_waitcnt vmcnt(5)
	v_cndmask_b32_e32 v18, v18, v12, vcc
	v_cmp_eq_u32_e32 vcc, 11, v0
	;; [unrolled: 3-line block ×3, first 2 shown]
	ds_read_b32 v19, v66
	s_waitcnt vmcnt(3)
	v_cndmask_b32_e32 v18, v18, v14, vcc
	v_cmp_eq_u32_e32 vcc, 13, v0
	s_waitcnt vmcnt(2)
	v_cndmask_b32_e32 v18, v18, v15, vcc
	v_cmp_eq_u32_e32 vcc, 14, v0
	;; [unrolled: 3-line block ×3, first 2 shown]
	s_waitcnt vmcnt(0)
	v_cndmask_b32_e32 v18, v18, v17, vcc
	s_waitcnt lgkmcnt(0)
	v_mul_f32_e32 v21, v18, v19
	s_cbranch_execz .LBB15_260
	s_branch .LBB15_261
.LBB15_259:
                                        ; implicit-def: $vgpr21
.LBB15_260:
	ds_read_b32 v21, v66
.LBB15_261:
	v_cmp_ne_u32_e32 vcc, 4, v0
	s_and_saveexec_b64 s[12:13], vcc
	s_cbranch_execz .LBB15_265
; %bb.262:
	v_mov_b32_e32 v18, 0x44
	v_lshl_add_u32 v22, v0, 2, v18
	v_mov_b32_e32 v19, v1
	s_mov_b64 s[14:15], 0
	v_mov_b32_e32 v18, v0
.LBB15_263:                             ; =>This Inner Loop Header: Depth=1
	v_add_co_u32_e32 v18, vcc, 1, v18
	v_addc_co_u32_e32 v19, vcc, 0, v19, vcc
	v_cmp_eq_u32_e32 vcc, 1, v18
	s_waitcnt vmcnt(7)
	v_cndmask_b32_e32 v24, v2, v3, vcc
	v_cmp_lt_u32_e32 vcc, 3, v18
	v_cmp_eq_u32_e64 s[8:9], 2, v18
	v_cndmask_b32_e64 v24, v24, v4, s[8:9]
	s_or_b64 s[14:15], vcc, s[14:15]
	v_cmp_eq_u32_e32 vcc, 3, v18
	v_cndmask_b32_e32 v24, v24, v5, vcc
	v_cmp_eq_u32_e32 vcc, 4, v18
	v_cndmask_b32_e32 v24, v24, v6, vcc
	;; [unrolled: 2-line block ×6, first 2 shown]
	v_cmp_eq_u32_e32 vcc, 9, v18
	s_waitcnt vmcnt(6)
	v_cndmask_b32_e32 v24, v24, v11, vcc
	v_cmp_eq_u32_e32 vcc, 10, v18
	s_waitcnt vmcnt(5)
	v_cndmask_b32_e32 v24, v24, v12, vcc
	v_cmp_eq_u32_e32 vcc, 11, v18
	ds_read_b32 v23, v22
	s_waitcnt vmcnt(4)
	v_cndmask_b32_e32 v24, v24, v13, vcc
	v_cmp_eq_u32_e32 vcc, 12, v18
	s_waitcnt vmcnt(3)
	v_cndmask_b32_e32 v24, v24, v14, vcc
	v_cmp_eq_u32_e32 vcc, 13, v18
	;; [unrolled: 3-line block ×4, first 2 shown]
	s_waitcnt vmcnt(0)
	v_cndmask_b32_e32 v24, v24, v17, vcc
	v_add_u32_e32 v22, 4, v22
	s_waitcnt lgkmcnt(0)
	v_fmac_f32_e32 v21, v24, v23
	s_andn2_b64 exec, exec, s[14:15]
	s_cbranch_execnz .LBB15_263
; %bb.264:
	s_or_b64 exec, exec, s[14:15]
.LBB15_265:
	s_or_b64 exec, exec, s[12:13]
	v_mov_b32_e32 v7, 0
	ds_read_b32 v7, v7 offset:20
	s_waitcnt lgkmcnt(0)
	v_mul_f32_e32 v7, v21, v7
.LBB15_266:
	s_or_b64 exec, exec, s[10:11]
	v_cmp_gt_u32_e32 vcc, 6, v0
	s_waitcnt vmcnt(10)
	ds_write_b32 v66, v8
	s_waitcnt lgkmcnt(0)
	; wave barrier
	s_and_saveexec_b64 s[10:11], vcc
	s_cbranch_execz .LBB15_276
; %bb.267:
	s_and_b64 vcc, exec, s[0:1]
	s_cbranch_vccnz .LBB15_269
; %bb.268:
	v_cmp_eq_u32_e32 vcc, 1, v0
	s_waitcnt vmcnt(7)
	v_cndmask_b32_e32 v18, v2, v3, vcc
	v_cmp_eq_u32_e32 vcc, 2, v0
	v_cndmask_b32_e32 v18, v18, v4, vcc
	v_cmp_eq_u32_e32 vcc, 3, v0
	;; [unrolled: 2-line block ×8, first 2 shown]
	s_waitcnt vmcnt(6)
	v_cndmask_b32_e32 v18, v18, v11, vcc
	v_cmp_eq_u32_e32 vcc, 10, v0
	s_waitcnt vmcnt(5)
	v_cndmask_b32_e32 v18, v18, v12, vcc
	v_cmp_eq_u32_e32 vcc, 11, v0
	;; [unrolled: 3-line block ×3, first 2 shown]
	ds_read_b32 v19, v66
	s_waitcnt vmcnt(3)
	v_cndmask_b32_e32 v18, v18, v14, vcc
	v_cmp_eq_u32_e32 vcc, 13, v0
	s_waitcnt vmcnt(2)
	v_cndmask_b32_e32 v18, v18, v15, vcc
	v_cmp_eq_u32_e32 vcc, 14, v0
	;; [unrolled: 3-line block ×3, first 2 shown]
	s_waitcnt vmcnt(0)
	v_cndmask_b32_e32 v18, v18, v17, vcc
	s_waitcnt lgkmcnt(0)
	v_mul_f32_e32 v21, v18, v19
	s_cbranch_execz .LBB15_270
	s_branch .LBB15_271
.LBB15_269:
                                        ; implicit-def: $vgpr21
.LBB15_270:
	ds_read_b32 v21, v66
.LBB15_271:
	v_cmp_ne_u32_e32 vcc, 5, v0
	s_and_saveexec_b64 s[12:13], vcc
	s_cbranch_execz .LBB15_275
; %bb.272:
	v_mov_b32_e32 v18, 0x44
	v_lshl_add_u32 v22, v0, 2, v18
	v_mov_b32_e32 v19, v1
	s_mov_b64 s[14:15], 0
	v_mov_b32_e32 v18, v0
.LBB15_273:                             ; =>This Inner Loop Header: Depth=1
	v_add_co_u32_e32 v18, vcc, 1, v18
	v_addc_co_u32_e32 v19, vcc, 0, v19, vcc
	v_cmp_eq_u32_e32 vcc, 1, v18
	s_waitcnt vmcnt(7)
	v_cndmask_b32_e32 v24, v2, v3, vcc
	v_cmp_lt_u32_e32 vcc, 4, v18
	v_cmp_eq_u32_e64 s[8:9], 2, v18
	v_cndmask_b32_e64 v24, v24, v4, s[8:9]
	s_or_b64 s[14:15], vcc, s[14:15]
	v_cmp_eq_u32_e32 vcc, 3, v18
	v_cndmask_b32_e32 v24, v24, v5, vcc
	v_cmp_eq_u32_e32 vcc, 4, v18
	v_cndmask_b32_e32 v24, v24, v6, vcc
	;; [unrolled: 2-line block ×6, first 2 shown]
	v_cmp_eq_u32_e32 vcc, 9, v18
	s_waitcnt vmcnt(6)
	v_cndmask_b32_e32 v24, v24, v11, vcc
	v_cmp_eq_u32_e32 vcc, 10, v18
	s_waitcnt vmcnt(5)
	v_cndmask_b32_e32 v24, v24, v12, vcc
	v_cmp_eq_u32_e32 vcc, 11, v18
	ds_read_b32 v23, v22
	s_waitcnt vmcnt(4)
	v_cndmask_b32_e32 v24, v24, v13, vcc
	v_cmp_eq_u32_e32 vcc, 12, v18
	s_waitcnt vmcnt(3)
	v_cndmask_b32_e32 v24, v24, v14, vcc
	v_cmp_eq_u32_e32 vcc, 13, v18
	;; [unrolled: 3-line block ×4, first 2 shown]
	s_waitcnt vmcnt(0)
	v_cndmask_b32_e32 v24, v24, v17, vcc
	v_add_u32_e32 v22, 4, v22
	s_waitcnt lgkmcnt(0)
	v_fmac_f32_e32 v21, v24, v23
	s_andn2_b64 exec, exec, s[14:15]
	s_cbranch_execnz .LBB15_273
; %bb.274:
	s_or_b64 exec, exec, s[14:15]
.LBB15_275:
	s_or_b64 exec, exec, s[12:13]
	v_mov_b32_e32 v8, 0
	ds_read_b32 v8, v8 offset:24
	s_waitcnt lgkmcnt(0)
	v_mul_f32_e32 v8, v21, v8
.LBB15_276:
	s_or_b64 exec, exec, s[10:11]
	v_cmp_gt_u32_e64 s[8:9], 7, v0
	s_waitcnt vmcnt(9)
	ds_write_b32 v66, v9
	s_waitcnt lgkmcnt(0)
	; wave barrier
	s_and_saveexec_b64 s[12:13], s[8:9]
	s_cbranch_execz .LBB15_286
; %bb.277:
	s_and_b64 vcc, exec, s[0:1]
	s_cbranch_vccnz .LBB15_279
; %bb.278:
	v_cmp_eq_u32_e32 vcc, 1, v0
	s_waitcnt vmcnt(7)
	v_cndmask_b32_e32 v18, v2, v3, vcc
	v_cmp_eq_u32_e32 vcc, 2, v0
	v_cndmask_b32_e32 v18, v18, v4, vcc
	v_cmp_eq_u32_e32 vcc, 3, v0
	;; [unrolled: 2-line block ×8, first 2 shown]
	s_waitcnt vmcnt(6)
	v_cndmask_b32_e32 v18, v18, v11, vcc
	v_cmp_eq_u32_e32 vcc, 10, v0
	s_waitcnt vmcnt(5)
	v_cndmask_b32_e32 v18, v18, v12, vcc
	v_cmp_eq_u32_e32 vcc, 11, v0
	;; [unrolled: 3-line block ×3, first 2 shown]
	ds_read_b32 v19, v66
	s_waitcnt vmcnt(3)
	v_cndmask_b32_e32 v18, v18, v14, vcc
	v_cmp_eq_u32_e32 vcc, 13, v0
	s_waitcnt vmcnt(2)
	v_cndmask_b32_e32 v18, v18, v15, vcc
	v_cmp_eq_u32_e32 vcc, 14, v0
	;; [unrolled: 3-line block ×3, first 2 shown]
	s_waitcnt vmcnt(0)
	v_cndmask_b32_e32 v18, v18, v17, vcc
	s_waitcnt lgkmcnt(0)
	v_mul_f32_e32 v21, v18, v19
	s_cbranch_execz .LBB15_280
	s_branch .LBB15_281
.LBB15_279:
                                        ; implicit-def: $vgpr21
.LBB15_280:
	ds_read_b32 v21, v66
.LBB15_281:
	v_cmp_ne_u32_e32 vcc, 6, v0
	s_and_saveexec_b64 s[14:15], vcc
	s_cbranch_execz .LBB15_285
; %bb.282:
	v_mov_b32_e32 v18, 0x44
	v_lshl_add_u32 v22, v0, 2, v18
	v_mov_b32_e32 v19, v1
	s_mov_b64 s[16:17], 0
	v_mov_b32_e32 v18, v0
.LBB15_283:                             ; =>This Inner Loop Header: Depth=1
	v_add_co_u32_e32 v18, vcc, 1, v18
	v_addc_co_u32_e32 v19, vcc, 0, v19, vcc
	v_cmp_eq_u32_e32 vcc, 1, v18
	s_waitcnt vmcnt(7)
	v_cndmask_b32_e32 v24, v2, v3, vcc
	v_cmp_lt_u32_e32 vcc, 5, v18
	v_cmp_eq_u32_e64 s[10:11], 2, v18
	v_cndmask_b32_e64 v24, v24, v4, s[10:11]
	s_or_b64 s[16:17], vcc, s[16:17]
	v_cmp_eq_u32_e32 vcc, 3, v18
	v_cndmask_b32_e32 v24, v24, v5, vcc
	v_cmp_eq_u32_e32 vcc, 4, v18
	v_cndmask_b32_e32 v24, v24, v6, vcc
	;; [unrolled: 2-line block ×6, first 2 shown]
	v_cmp_eq_u32_e32 vcc, 9, v18
	s_waitcnt vmcnt(6)
	v_cndmask_b32_e32 v24, v24, v11, vcc
	v_cmp_eq_u32_e32 vcc, 10, v18
	s_waitcnt vmcnt(5)
	v_cndmask_b32_e32 v24, v24, v12, vcc
	v_cmp_eq_u32_e32 vcc, 11, v18
	ds_read_b32 v23, v22
	s_waitcnt vmcnt(4)
	v_cndmask_b32_e32 v24, v24, v13, vcc
	v_cmp_eq_u32_e32 vcc, 12, v18
	s_waitcnt vmcnt(3)
	v_cndmask_b32_e32 v24, v24, v14, vcc
	v_cmp_eq_u32_e32 vcc, 13, v18
	s_waitcnt vmcnt(2)
	v_cndmask_b32_e32 v24, v24, v15, vcc
	v_cmp_eq_u32_e32 vcc, 14, v18
	s_waitcnt vmcnt(1)
	v_cndmask_b32_e32 v24, v24, v16, vcc
	v_cmp_eq_u32_e32 vcc, 15, v18
	s_waitcnt vmcnt(0)
	v_cndmask_b32_e32 v24, v24, v17, vcc
	v_add_u32_e32 v22, 4, v22
	s_waitcnt lgkmcnt(0)
	v_fmac_f32_e32 v21, v24, v23
	s_andn2_b64 exec, exec, s[16:17]
	s_cbranch_execnz .LBB15_283
; %bb.284:
	s_or_b64 exec, exec, s[16:17]
.LBB15_285:
	s_or_b64 exec, exec, s[14:15]
	v_mov_b32_e32 v9, 0
	ds_read_b32 v9, v9 offset:28
	s_waitcnt lgkmcnt(0)
	v_mul_f32_e32 v9, v21, v9
.LBB15_286:
	s_or_b64 exec, exec, s[12:13]
	v_cmp_gt_u32_e32 vcc, 8, v0
	s_waitcnt vmcnt(8)
	ds_write_b32 v66, v10
	s_waitcnt lgkmcnt(0)
	; wave barrier
	s_and_saveexec_b64 s[12:13], vcc
	s_cbranch_execz .LBB15_296
; %bb.287:
	s_and_b64 vcc, exec, s[0:1]
	s_cbranch_vccnz .LBB15_289
; %bb.288:
	v_cmp_eq_u32_e32 vcc, 1, v0
	s_waitcnt vmcnt(7)
	v_cndmask_b32_e32 v18, v2, v3, vcc
	v_cmp_eq_u32_e32 vcc, 2, v0
	v_cndmask_b32_e32 v18, v18, v4, vcc
	v_cmp_eq_u32_e32 vcc, 3, v0
	;; [unrolled: 2-line block ×8, first 2 shown]
	s_waitcnt vmcnt(6)
	v_cndmask_b32_e32 v18, v18, v11, vcc
	v_cmp_eq_u32_e32 vcc, 10, v0
	s_waitcnt vmcnt(5)
	v_cndmask_b32_e32 v18, v18, v12, vcc
	v_cmp_eq_u32_e32 vcc, 11, v0
	;; [unrolled: 3-line block ×3, first 2 shown]
	ds_read_b32 v19, v66
	s_waitcnt vmcnt(3)
	v_cndmask_b32_e32 v18, v18, v14, vcc
	v_cmp_eq_u32_e32 vcc, 13, v0
	s_waitcnt vmcnt(2)
	v_cndmask_b32_e32 v18, v18, v15, vcc
	v_cmp_eq_u32_e32 vcc, 14, v0
	;; [unrolled: 3-line block ×3, first 2 shown]
	s_waitcnt vmcnt(0)
	v_cndmask_b32_e32 v18, v18, v17, vcc
	s_waitcnt lgkmcnt(0)
	v_mul_f32_e32 v21, v18, v19
	s_cbranch_execz .LBB15_290
	s_branch .LBB15_291
.LBB15_289:
                                        ; implicit-def: $vgpr21
.LBB15_290:
	ds_read_b32 v21, v66
.LBB15_291:
	v_cmp_ne_u32_e32 vcc, 7, v0
	s_and_saveexec_b64 s[14:15], vcc
	s_cbranch_execz .LBB15_295
; %bb.292:
	v_mov_b32_e32 v18, 0x44
	v_lshl_add_u32 v22, v0, 2, v18
	v_mov_b32_e32 v19, v1
	s_mov_b64 s[16:17], 0
	v_mov_b32_e32 v18, v0
.LBB15_293:                             ; =>This Inner Loop Header: Depth=1
	v_add_co_u32_e32 v18, vcc, 1, v18
	v_addc_co_u32_e32 v19, vcc, 0, v19, vcc
	v_cmp_eq_u32_e32 vcc, 1, v18
	s_waitcnt vmcnt(7)
	v_cndmask_b32_e32 v24, v2, v3, vcc
	v_cmp_lt_u32_e32 vcc, 6, v18
	v_cmp_eq_u32_e64 s[10:11], 2, v18
	v_cndmask_b32_e64 v24, v24, v4, s[10:11]
	s_or_b64 s[16:17], vcc, s[16:17]
	v_cmp_eq_u32_e32 vcc, 3, v18
	v_cndmask_b32_e32 v24, v24, v5, vcc
	v_cmp_eq_u32_e32 vcc, 4, v18
	v_cndmask_b32_e32 v24, v24, v6, vcc
	;; [unrolled: 2-line block ×6, first 2 shown]
	v_cmp_eq_u32_e32 vcc, 9, v18
	s_waitcnt vmcnt(6)
	v_cndmask_b32_e32 v24, v24, v11, vcc
	v_cmp_eq_u32_e32 vcc, 10, v18
	s_waitcnt vmcnt(5)
	v_cndmask_b32_e32 v24, v24, v12, vcc
	v_cmp_eq_u32_e32 vcc, 11, v18
	ds_read_b32 v23, v22
	s_waitcnt vmcnt(4)
	v_cndmask_b32_e32 v24, v24, v13, vcc
	v_cmp_eq_u32_e32 vcc, 12, v18
	s_waitcnt vmcnt(3)
	v_cndmask_b32_e32 v24, v24, v14, vcc
	v_cmp_eq_u32_e32 vcc, 13, v18
	;; [unrolled: 3-line block ×4, first 2 shown]
	s_waitcnt vmcnt(0)
	v_cndmask_b32_e32 v24, v24, v17, vcc
	v_add_u32_e32 v22, 4, v22
	s_waitcnt lgkmcnt(0)
	v_fmac_f32_e32 v21, v24, v23
	s_andn2_b64 exec, exec, s[16:17]
	s_cbranch_execnz .LBB15_293
; %bb.294:
	s_or_b64 exec, exec, s[16:17]
.LBB15_295:
	s_or_b64 exec, exec, s[14:15]
	v_mov_b32_e32 v10, 0
	ds_read_b32 v10, v10 offset:32
	s_waitcnt lgkmcnt(0)
	v_mul_f32_e32 v10, v21, v10
.LBB15_296:
	s_or_b64 exec, exec, s[12:13]
	v_cmp_gt_u32_e32 vcc, 9, v0
	s_waitcnt vmcnt(6)
	ds_write_b32 v66, v11
	s_waitcnt lgkmcnt(0)
	; wave barrier
	s_and_saveexec_b64 s[10:11], vcc
	s_cbranch_execz .LBB15_318
; %bb.297:
	s_and_b64 vcc, exec, s[0:1]
	s_cbranch_vccnz .LBB15_299
; %bb.298:
	v_cmp_eq_u32_e32 vcc, 1, v0
	v_cndmask_b32_e32 v18, v2, v3, vcc
	v_cmp_eq_u32_e32 vcc, 2, v0
	v_cndmask_b32_e32 v18, v18, v4, vcc
	;; [unrolled: 2-line block ×9, first 2 shown]
	v_cmp_eq_u32_e32 vcc, 10, v0
	s_waitcnt vmcnt(5)
	v_cndmask_b32_e32 v18, v18, v12, vcc
	v_cmp_eq_u32_e32 vcc, 11, v0
	s_waitcnt vmcnt(4)
	v_cndmask_b32_e32 v18, v18, v13, vcc
	v_cmp_eq_u32_e32 vcc, 12, v0
	ds_read_b32 v19, v66
	s_waitcnt vmcnt(3)
	v_cndmask_b32_e32 v18, v18, v14, vcc
	v_cmp_eq_u32_e32 vcc, 13, v0
	s_waitcnt vmcnt(2)
	v_cndmask_b32_e32 v18, v18, v15, vcc
	v_cmp_eq_u32_e32 vcc, 14, v0
	;; [unrolled: 3-line block ×3, first 2 shown]
	s_waitcnt vmcnt(0)
	v_cndmask_b32_e32 v18, v18, v17, vcc
	s_waitcnt lgkmcnt(0)
	v_mul_f32_e32 v18, v18, v19
	s_cbranch_execz .LBB15_300
	s_branch .LBB15_301
.LBB15_299:
                                        ; implicit-def: $vgpr18
.LBB15_300:
	ds_read_b32 v18, v66
.LBB15_301:
	v_cmp_ne_u32_e32 vcc, 8, v0
	s_and_saveexec_b64 s[12:13], vcc
	s_cbranch_execz .LBB15_317
; %bb.302:
	v_cmp_eq_u32_e32 vcc, 1, v20
	v_cndmask_b32_e32 v19, v2, v3, vcc
	v_cmp_eq_u32_e32 vcc, 2, v20
	v_cndmask_b32_e32 v19, v19, v4, vcc
	;; [unrolled: 2-line block ×9, first 2 shown]
	v_cmp_eq_u32_e32 vcc, 10, v20
	s_waitcnt vmcnt(5)
	v_cndmask_b32_e32 v19, v19, v12, vcc
	v_cmp_eq_u32_e32 vcc, 11, v20
	s_waitcnt vmcnt(4)
	v_cndmask_b32_e32 v19, v19, v13, vcc
	v_cmp_eq_u32_e32 vcc, 12, v20
	ds_read_b32 v21, v66 offset:4
	s_waitcnt vmcnt(3)
	v_cndmask_b32_e32 v19, v19, v14, vcc
	v_cmp_eq_u32_e32 vcc, 13, v20
	s_waitcnt vmcnt(2)
	v_cndmask_b32_e32 v19, v19, v15, vcc
	v_cmp_eq_u32_e32 vcc, 14, v20
	s_waitcnt vmcnt(1)
	v_cndmask_b32_e32 v19, v19, v16, vcc
	v_cmp_eq_u32_e32 vcc, 15, v20
	s_waitcnt vmcnt(0)
	v_cndmask_b32_e32 v19, v19, v17, vcc
	s_waitcnt lgkmcnt(0)
	v_fmac_f32_e32 v18, v19, v21
	s_and_saveexec_b64 s[14:15], s[8:9]
	s_cbranch_execz .LBB15_316
; %bb.303:
	v_add_u32_e32 v19, 2, v0
	v_cmp_eq_u32_e32 vcc, 1, v19
	v_cndmask_b32_e32 v20, v2, v3, vcc
	v_cmp_eq_u32_e32 vcc, 2, v19
	v_cndmask_b32_e32 v20, v20, v4, vcc
	;; [unrolled: 2-line block ×11, first 2 shown]
	v_cmp_eq_u32_e32 vcc, 12, v19
	ds_read_b32 v21, v66 offset:8
	v_cndmask_b32_e32 v20, v20, v14, vcc
	v_cmp_eq_u32_e32 vcc, 13, v19
	v_cndmask_b32_e32 v20, v20, v15, vcc
	v_cmp_eq_u32_e32 vcc, 14, v19
	;; [unrolled: 2-line block ×3, first 2 shown]
	v_cndmask_b32_e32 v19, v20, v17, vcc
	s_waitcnt lgkmcnt(0)
	v_fmac_f32_e32 v18, v19, v21
	v_cmp_ne_u32_e32 vcc, 6, v0
	s_and_saveexec_b64 s[8:9], vcc
	s_cbranch_execz .LBB15_315
; %bb.304:
	v_add_u32_e32 v19, 3, v0
	v_cmp_eq_u32_e32 vcc, 1, v19
	v_cndmask_b32_e32 v20, v2, v3, vcc
	v_cmp_eq_u32_e32 vcc, 2, v19
	v_cndmask_b32_e32 v20, v20, v4, vcc
	;; [unrolled: 2-line block ×11, first 2 shown]
	v_cmp_eq_u32_e32 vcc, 12, v19
	ds_read_b32 v21, v66 offset:12
	v_cndmask_b32_e32 v20, v20, v14, vcc
	v_cmp_eq_u32_e32 vcc, 13, v19
	v_cndmask_b32_e32 v20, v20, v15, vcc
	v_cmp_eq_u32_e32 vcc, 14, v19
	v_cndmask_b32_e32 v20, v20, v16, vcc
	v_cmp_eq_u32_e32 vcc, 15, v19
	v_cndmask_b32_e32 v19, v20, v17, vcc
	s_waitcnt lgkmcnt(0)
	v_fmac_f32_e32 v18, v19, v21
	s_and_saveexec_b64 s[16:17], s[6:7]
	s_cbranch_execz .LBB15_314
; %bb.305:
	v_add_u32_e32 v19, 4, v0
	v_cmp_eq_u32_e32 vcc, 1, v19
	v_cndmask_b32_e32 v20, v2, v3, vcc
	v_cmp_eq_u32_e32 vcc, 2, v19
	v_cndmask_b32_e32 v20, v20, v4, vcc
	;; [unrolled: 2-line block ×11, first 2 shown]
	v_cmp_eq_u32_e32 vcc, 12, v19
	ds_read_b32 v21, v66 offset:16
	v_cndmask_b32_e32 v20, v20, v14, vcc
	v_cmp_eq_u32_e32 vcc, 13, v19
	v_cndmask_b32_e32 v20, v20, v15, vcc
	v_cmp_eq_u32_e32 vcc, 14, v19
	;; [unrolled: 2-line block ×3, first 2 shown]
	v_cndmask_b32_e32 v19, v20, v17, vcc
	s_waitcnt lgkmcnt(0)
	v_fmac_f32_e32 v18, v19, v21
	v_cmp_ne_u32_e32 vcc, 4, v0
	s_and_saveexec_b64 s[6:7], vcc
	s_cbranch_execz .LBB15_313
; %bb.306:
	v_add_u32_e32 v19, 5, v0
	v_cmp_eq_u32_e32 vcc, 1, v19
	v_cndmask_b32_e32 v20, v2, v3, vcc
	v_cmp_eq_u32_e32 vcc, 2, v19
	v_cndmask_b32_e32 v20, v20, v4, vcc
	;; [unrolled: 2-line block ×11, first 2 shown]
	v_cmp_eq_u32_e32 vcc, 12, v19
	ds_read_b32 v21, v66 offset:20
	v_cndmask_b32_e32 v20, v20, v14, vcc
	v_cmp_eq_u32_e32 vcc, 13, v19
	v_cndmask_b32_e32 v20, v20, v15, vcc
	v_cmp_eq_u32_e32 vcc, 14, v19
	;; [unrolled: 2-line block ×3, first 2 shown]
	v_cndmask_b32_e32 v19, v20, v17, vcc
	s_waitcnt lgkmcnt(0)
	v_fmac_f32_e32 v18, v19, v21
	s_and_saveexec_b64 s[18:19], s[4:5]
	s_cbranch_execz .LBB15_312
; %bb.307:
	v_add_u32_e32 v19, 6, v0
	v_cmp_eq_u32_e32 vcc, 1, v19
	v_cndmask_b32_e32 v20, v2, v3, vcc
	v_cmp_eq_u32_e32 vcc, 2, v19
	v_cndmask_b32_e32 v20, v20, v4, vcc
	;; [unrolled: 2-line block ×11, first 2 shown]
	v_cmp_eq_u32_e32 vcc, 12, v19
	ds_read_b32 v21, v66 offset:24
	v_cndmask_b32_e32 v20, v20, v14, vcc
	v_cmp_eq_u32_e32 vcc, 13, v19
	v_cndmask_b32_e32 v20, v20, v15, vcc
	v_cmp_eq_u32_e32 vcc, 14, v19
	;; [unrolled: 2-line block ×3, first 2 shown]
	v_cndmask_b32_e32 v19, v20, v17, vcc
	s_waitcnt lgkmcnt(0)
	v_fmac_f32_e32 v18, v19, v21
	v_cmp_ne_u32_e32 vcc, 2, v0
	s_and_saveexec_b64 s[4:5], vcc
	s_cbranch_execz .LBB15_311
; %bb.308:
	v_add_u32_e32 v19, 7, v0
	v_cmp_eq_u32_e32 vcc, 1, v19
	v_cndmask_b32_e32 v20, v2, v3, vcc
	v_cmp_eq_u32_e32 vcc, 2, v19
	v_cndmask_b32_e32 v20, v20, v4, vcc
	;; [unrolled: 2-line block ×11, first 2 shown]
	v_cmp_eq_u32_e32 vcc, 12, v19
	ds_read_b32 v20, v66 offset:28
	v_cndmask_b32_e32 v11, v11, v14, vcc
	v_cmp_eq_u32_e32 vcc, 13, v19
	v_cndmask_b32_e32 v11, v11, v15, vcc
	v_cmp_eq_u32_e32 vcc, 14, v19
	;; [unrolled: 2-line block ×3, first 2 shown]
	v_cndmask_b32_e32 v11, v11, v17, vcc
	s_waitcnt lgkmcnt(0)
	v_fmac_f32_e32 v18, v11, v20
	s_and_saveexec_b64 s[20:21], s[2:3]
	s_cbranch_execz .LBB15_310
; %bb.309:
	ds_read_b32 v11, v66 offset:32
	s_waitcnt lgkmcnt(0)
	v_fmac_f32_e32 v18, v10, v11
.LBB15_310:
	s_or_b64 exec, exec, s[20:21]
.LBB15_311:
	s_or_b64 exec, exec, s[4:5]
.LBB15_312:
	s_or_b64 exec, exec, s[18:19]
.LBB15_313:
	s_or_b64 exec, exec, s[6:7]
.LBB15_314:
	s_or_b64 exec, exec, s[16:17]
.LBB15_315:
	s_or_b64 exec, exec, s[8:9]
.LBB15_316:
	s_or_b64 exec, exec, s[14:15]
.LBB15_317:
	s_or_b64 exec, exec, s[12:13]
	v_mov_b32_e32 v11, 0
	ds_read_b32 v11, v11 offset:36
	s_waitcnt lgkmcnt(0)
	v_mul_f32_e32 v11, v18, v11
.LBB15_318:
	s_or_b64 exec, exec, s[10:11]
	v_cmp_gt_u32_e32 vcc, 10, v0
	s_waitcnt vmcnt(5)
	ds_write_b32 v66, v12
	s_waitcnt lgkmcnt(0)
	; wave barrier
	s_and_saveexec_b64 s[4:5], vcc
	s_cbranch_execz .LBB15_328
; %bb.319:
	s_and_b64 vcc, exec, s[0:1]
	s_cbranch_vccnz .LBB15_321
; %bb.320:
	v_cmp_eq_u32_e32 vcc, 1, v0
	v_cndmask_b32_e32 v18, v2, v3, vcc
	v_cmp_eq_u32_e32 vcc, 2, v0
	v_cndmask_b32_e32 v18, v18, v4, vcc
	;; [unrolled: 2-line block ×10, first 2 shown]
	v_cmp_eq_u32_e32 vcc, 11, v0
	s_waitcnt vmcnt(4)
	v_cndmask_b32_e32 v18, v18, v13, vcc
	v_cmp_eq_u32_e32 vcc, 12, v0
	ds_read_b32 v19, v66
	s_waitcnt vmcnt(3)
	v_cndmask_b32_e32 v18, v18, v14, vcc
	v_cmp_eq_u32_e32 vcc, 13, v0
	s_waitcnt vmcnt(2)
	v_cndmask_b32_e32 v18, v18, v15, vcc
	v_cmp_eq_u32_e32 vcc, 14, v0
	;; [unrolled: 3-line block ×3, first 2 shown]
	s_waitcnt vmcnt(0)
	v_cndmask_b32_e32 v18, v18, v17, vcc
	s_waitcnt lgkmcnt(0)
	v_mul_f32_e32 v20, v18, v19
	s_cbranch_execz .LBB15_322
	s_branch .LBB15_323
.LBB15_321:
                                        ; implicit-def: $vgpr20
.LBB15_322:
	ds_read_b32 v20, v66
.LBB15_323:
	v_cmp_ne_u32_e32 vcc, 9, v0
	s_and_saveexec_b64 s[6:7], vcc
	s_cbranch_execz .LBB15_327
; %bb.324:
	v_mov_b32_e32 v18, 0x44
	v_lshl_add_u32 v21, v0, 2, v18
	v_mov_b32_e32 v19, v1
	s_mov_b64 s[8:9], 0
	v_mov_b32_e32 v18, v0
.LBB15_325:                             ; =>This Inner Loop Header: Depth=1
	v_add_co_u32_e32 v18, vcc, 1, v18
	v_addc_co_u32_e32 v19, vcc, 0, v19, vcc
	v_cmp_eq_u32_e32 vcc, 1, v18
	v_cndmask_b32_e32 v23, v2, v3, vcc
	v_cmp_lt_u32_e32 vcc, 8, v18
	v_cmp_eq_u32_e64 s[2:3], 2, v18
	v_cndmask_b32_e64 v23, v23, v4, s[2:3]
	s_or_b64 s[8:9], vcc, s[8:9]
	v_cmp_eq_u32_e32 vcc, 3, v18
	v_cndmask_b32_e32 v23, v23, v5, vcc
	v_cmp_eq_u32_e32 vcc, 4, v18
	v_cndmask_b32_e32 v23, v23, v6, vcc
	;; [unrolled: 2-line block ×8, first 2 shown]
	v_cmp_eq_u32_e32 vcc, 11, v18
	ds_read_b32 v22, v21
	s_waitcnt vmcnt(4)
	v_cndmask_b32_e32 v23, v23, v13, vcc
	v_cmp_eq_u32_e32 vcc, 12, v18
	s_waitcnt vmcnt(3)
	v_cndmask_b32_e32 v23, v23, v14, vcc
	v_cmp_eq_u32_e32 vcc, 13, v18
	;; [unrolled: 3-line block ×4, first 2 shown]
	s_waitcnt vmcnt(0)
	v_cndmask_b32_e32 v23, v23, v17, vcc
	v_add_u32_e32 v21, 4, v21
	s_waitcnt lgkmcnt(0)
	v_fmac_f32_e32 v20, v23, v22
	s_andn2_b64 exec, exec, s[8:9]
	s_cbranch_execnz .LBB15_325
; %bb.326:
	s_or_b64 exec, exec, s[8:9]
.LBB15_327:
	s_or_b64 exec, exec, s[6:7]
	v_mov_b32_e32 v12, 0
	ds_read_b32 v12, v12 offset:40
	s_waitcnt lgkmcnt(0)
	v_mul_f32_e32 v12, v20, v12
.LBB15_328:
	s_or_b64 exec, exec, s[4:5]
	v_cmp_gt_u32_e32 vcc, 11, v0
	s_waitcnt vmcnt(4)
	ds_write_b32 v66, v13
	s_waitcnt lgkmcnt(0)
	; wave barrier
	s_and_saveexec_b64 s[4:5], vcc
	s_cbranch_execz .LBB15_338
; %bb.329:
	s_and_b64 vcc, exec, s[0:1]
	s_cbranch_vccnz .LBB15_331
; %bb.330:
	v_cmp_eq_u32_e32 vcc, 1, v0
	v_cndmask_b32_e32 v18, v2, v3, vcc
	v_cmp_eq_u32_e32 vcc, 2, v0
	v_cndmask_b32_e32 v18, v18, v4, vcc
	;; [unrolled: 2-line block ×11, first 2 shown]
	v_cmp_eq_u32_e32 vcc, 12, v0
	ds_read_b32 v19, v66
	s_waitcnt vmcnt(3)
	v_cndmask_b32_e32 v18, v18, v14, vcc
	v_cmp_eq_u32_e32 vcc, 13, v0
	s_waitcnt vmcnt(2)
	v_cndmask_b32_e32 v18, v18, v15, vcc
	v_cmp_eq_u32_e32 vcc, 14, v0
	;; [unrolled: 3-line block ×3, first 2 shown]
	s_waitcnt vmcnt(0)
	v_cndmask_b32_e32 v18, v18, v17, vcc
	s_waitcnt lgkmcnt(0)
	v_mul_f32_e32 v20, v18, v19
	s_cbranch_execz .LBB15_332
	s_branch .LBB15_333
.LBB15_331:
                                        ; implicit-def: $vgpr20
.LBB15_332:
	ds_read_b32 v20, v66
.LBB15_333:
	v_cmp_ne_u32_e32 vcc, 10, v0
	s_and_saveexec_b64 s[6:7], vcc
	s_cbranch_execz .LBB15_337
; %bb.334:
	v_mov_b32_e32 v18, 0x44
	v_lshl_add_u32 v21, v0, 2, v18
	v_mov_b32_e32 v19, v1
	s_mov_b64 s[8:9], 0
	v_mov_b32_e32 v18, v0
.LBB15_335:                             ; =>This Inner Loop Header: Depth=1
	v_add_co_u32_e32 v18, vcc, 1, v18
	v_addc_co_u32_e32 v19, vcc, 0, v19, vcc
	v_cmp_eq_u32_e32 vcc, 1, v18
	v_cndmask_b32_e32 v23, v2, v3, vcc
	v_cmp_lt_u32_e32 vcc, 9, v18
	v_cmp_eq_u32_e64 s[2:3], 2, v18
	v_cndmask_b32_e64 v23, v23, v4, s[2:3]
	s_or_b64 s[8:9], vcc, s[8:9]
	v_cmp_eq_u32_e32 vcc, 3, v18
	v_cndmask_b32_e32 v23, v23, v5, vcc
	v_cmp_eq_u32_e32 vcc, 4, v18
	v_cndmask_b32_e32 v23, v23, v6, vcc
	;; [unrolled: 2-line block ×8, first 2 shown]
	v_cmp_eq_u32_e32 vcc, 11, v18
	ds_read_b32 v22, v21
	v_cndmask_b32_e32 v23, v23, v13, vcc
	v_cmp_eq_u32_e32 vcc, 12, v18
	s_waitcnt vmcnt(3)
	v_cndmask_b32_e32 v23, v23, v14, vcc
	v_cmp_eq_u32_e32 vcc, 13, v18
	s_waitcnt vmcnt(2)
	;; [unrolled: 3-line block ×4, first 2 shown]
	v_cndmask_b32_e32 v23, v23, v17, vcc
	v_add_u32_e32 v21, 4, v21
	s_waitcnt lgkmcnt(0)
	v_fmac_f32_e32 v20, v23, v22
	s_andn2_b64 exec, exec, s[8:9]
	s_cbranch_execnz .LBB15_335
; %bb.336:
	s_or_b64 exec, exec, s[8:9]
.LBB15_337:
	s_or_b64 exec, exec, s[6:7]
	v_mov_b32_e32 v13, 0
	ds_read_b32 v13, v13 offset:44
	s_waitcnt lgkmcnt(0)
	v_mul_f32_e32 v13, v20, v13
.LBB15_338:
	s_or_b64 exec, exec, s[4:5]
	v_cmp_gt_u32_e32 vcc, 12, v0
	s_waitcnt vmcnt(3)
	ds_write_b32 v66, v14
	s_waitcnt lgkmcnt(0)
	; wave barrier
	s_and_saveexec_b64 s[4:5], vcc
	s_cbranch_execz .LBB15_348
; %bb.339:
	s_and_b64 vcc, exec, s[0:1]
	s_cbranch_vccnz .LBB15_341
; %bb.340:
	v_cmp_eq_u32_e32 vcc, 1, v0
	v_cndmask_b32_e32 v18, v2, v3, vcc
	v_cmp_eq_u32_e32 vcc, 2, v0
	v_cndmask_b32_e32 v18, v18, v4, vcc
	;; [unrolled: 2-line block ×11, first 2 shown]
	v_cmp_eq_u32_e32 vcc, 12, v0
	ds_read_b32 v19, v66
	v_cndmask_b32_e32 v18, v18, v14, vcc
	v_cmp_eq_u32_e32 vcc, 13, v0
	s_waitcnt vmcnt(2)
	v_cndmask_b32_e32 v18, v18, v15, vcc
	v_cmp_eq_u32_e32 vcc, 14, v0
	s_waitcnt vmcnt(1)
	;; [unrolled: 3-line block ×3, first 2 shown]
	v_cndmask_b32_e32 v18, v18, v17, vcc
	s_waitcnt lgkmcnt(0)
	v_mul_f32_e32 v20, v18, v19
	s_cbranch_execz .LBB15_342
	s_branch .LBB15_343
.LBB15_341:
                                        ; implicit-def: $vgpr20
.LBB15_342:
	ds_read_b32 v20, v66
.LBB15_343:
	v_cmp_ne_u32_e32 vcc, 11, v0
	s_and_saveexec_b64 s[6:7], vcc
	s_cbranch_execz .LBB15_347
; %bb.344:
	v_mov_b32_e32 v18, 0x44
	v_lshl_add_u32 v21, v0, 2, v18
	v_mov_b32_e32 v19, v1
	s_mov_b64 s[8:9], 0
	v_mov_b32_e32 v18, v0
.LBB15_345:                             ; =>This Inner Loop Header: Depth=1
	v_add_co_u32_e32 v18, vcc, 1, v18
	v_addc_co_u32_e32 v19, vcc, 0, v19, vcc
	v_cmp_eq_u32_e32 vcc, 1, v18
	v_cndmask_b32_e32 v23, v2, v3, vcc
	v_cmp_lt_u32_e32 vcc, 10, v18
	v_cmp_eq_u32_e64 s[2:3], 2, v18
	v_cndmask_b32_e64 v23, v23, v4, s[2:3]
	s_or_b64 s[8:9], vcc, s[8:9]
	v_cmp_eq_u32_e32 vcc, 3, v18
	v_cndmask_b32_e32 v23, v23, v5, vcc
	v_cmp_eq_u32_e32 vcc, 4, v18
	v_cndmask_b32_e32 v23, v23, v6, vcc
	;; [unrolled: 2-line block ×8, first 2 shown]
	v_cmp_eq_u32_e32 vcc, 11, v18
	ds_read_b32 v22, v21
	v_cndmask_b32_e32 v23, v23, v13, vcc
	v_cmp_eq_u32_e32 vcc, 12, v18
	v_cndmask_b32_e32 v23, v23, v14, vcc
	v_cmp_eq_u32_e32 vcc, 13, v18
	s_waitcnt vmcnt(2)
	v_cndmask_b32_e32 v23, v23, v15, vcc
	v_cmp_eq_u32_e32 vcc, 14, v18
	s_waitcnt vmcnt(1)
	;; [unrolled: 3-line block ×3, first 2 shown]
	v_cndmask_b32_e32 v23, v23, v17, vcc
	v_add_u32_e32 v21, 4, v21
	s_waitcnt lgkmcnt(0)
	v_fmac_f32_e32 v20, v23, v22
	s_andn2_b64 exec, exec, s[8:9]
	s_cbranch_execnz .LBB15_345
; %bb.346:
	s_or_b64 exec, exec, s[8:9]
.LBB15_347:
	s_or_b64 exec, exec, s[6:7]
	v_mov_b32_e32 v14, 0
	ds_read_b32 v14, v14 offset:48
	s_waitcnt lgkmcnt(0)
	v_mul_f32_e32 v14, v20, v14
.LBB15_348:
	s_or_b64 exec, exec, s[4:5]
	v_cmp_gt_u32_e32 vcc, 13, v0
	s_waitcnt vmcnt(2)
	ds_write_b32 v66, v15
	s_waitcnt lgkmcnt(0)
	; wave barrier
	s_and_saveexec_b64 s[4:5], vcc
	s_cbranch_execz .LBB15_358
; %bb.349:
	s_and_b64 vcc, exec, s[0:1]
	s_cbranch_vccnz .LBB15_351
; %bb.350:
	v_cmp_eq_u32_e32 vcc, 1, v0
	v_cndmask_b32_e32 v18, v2, v3, vcc
	v_cmp_eq_u32_e32 vcc, 2, v0
	v_cndmask_b32_e32 v18, v18, v4, vcc
	;; [unrolled: 2-line block ×11, first 2 shown]
	v_cmp_eq_u32_e32 vcc, 12, v0
	ds_read_b32 v19, v66
	v_cndmask_b32_e32 v18, v18, v14, vcc
	v_cmp_eq_u32_e32 vcc, 13, v0
	v_cndmask_b32_e32 v18, v18, v15, vcc
	v_cmp_eq_u32_e32 vcc, 14, v0
	s_waitcnt vmcnt(1)
	v_cndmask_b32_e32 v18, v18, v16, vcc
	v_cmp_eq_u32_e32 vcc, 15, v0
	s_waitcnt vmcnt(0)
	v_cndmask_b32_e32 v18, v18, v17, vcc
	s_waitcnt lgkmcnt(0)
	v_mul_f32_e32 v20, v18, v19
	s_cbranch_execz .LBB15_352
	s_branch .LBB15_353
.LBB15_351:
                                        ; implicit-def: $vgpr20
.LBB15_352:
	ds_read_b32 v20, v66
.LBB15_353:
	v_cmp_ne_u32_e32 vcc, 12, v0
	s_and_saveexec_b64 s[6:7], vcc
	s_cbranch_execz .LBB15_357
; %bb.354:
	v_mov_b32_e32 v18, 0x44
	v_lshl_add_u32 v21, v0, 2, v18
	v_mov_b32_e32 v19, v1
	s_mov_b64 s[8:9], 0
	v_mov_b32_e32 v18, v0
.LBB15_355:                             ; =>This Inner Loop Header: Depth=1
	v_add_co_u32_e32 v18, vcc, 1, v18
	v_addc_co_u32_e32 v19, vcc, 0, v19, vcc
	v_cmp_eq_u32_e32 vcc, 1, v18
	v_cndmask_b32_e32 v23, v2, v3, vcc
	v_cmp_lt_u32_e32 vcc, 11, v18
	v_cmp_eq_u32_e64 s[2:3], 2, v18
	v_cndmask_b32_e64 v23, v23, v4, s[2:3]
	s_or_b64 s[8:9], vcc, s[8:9]
	v_cmp_eq_u32_e32 vcc, 3, v18
	v_cndmask_b32_e32 v23, v23, v5, vcc
	v_cmp_eq_u32_e32 vcc, 4, v18
	v_cndmask_b32_e32 v23, v23, v6, vcc
	;; [unrolled: 2-line block ×8, first 2 shown]
	v_cmp_eq_u32_e32 vcc, 11, v18
	ds_read_b32 v22, v21
	v_cndmask_b32_e32 v23, v23, v13, vcc
	v_cmp_eq_u32_e32 vcc, 12, v18
	v_cndmask_b32_e32 v23, v23, v14, vcc
	v_cmp_eq_u32_e32 vcc, 13, v18
	;; [unrolled: 2-line block ×3, first 2 shown]
	s_waitcnt vmcnt(1)
	v_cndmask_b32_e32 v23, v23, v16, vcc
	v_cmp_eq_u32_e32 vcc, 15, v18
	s_waitcnt vmcnt(0)
	v_cndmask_b32_e32 v23, v23, v17, vcc
	v_add_u32_e32 v21, 4, v21
	s_waitcnt lgkmcnt(0)
	v_fmac_f32_e32 v20, v23, v22
	s_andn2_b64 exec, exec, s[8:9]
	s_cbranch_execnz .LBB15_355
; %bb.356:
	s_or_b64 exec, exec, s[8:9]
.LBB15_357:
	s_or_b64 exec, exec, s[6:7]
	v_mov_b32_e32 v15, 0
	ds_read_b32 v15, v15 offset:52
	s_waitcnt lgkmcnt(0)
	v_mul_f32_e32 v15, v20, v15
.LBB15_358:
	s_or_b64 exec, exec, s[4:5]
	v_cmp_gt_u32_e64 s[2:3], 14, v0
	s_waitcnt vmcnt(1)
	ds_write_b32 v66, v16
	s_waitcnt lgkmcnt(0)
	; wave barrier
	s_and_saveexec_b64 s[6:7], s[2:3]
	s_cbranch_execz .LBB15_368
; %bb.359:
	s_and_b64 vcc, exec, s[0:1]
	s_cbranch_vccnz .LBB15_361
; %bb.360:
	v_cmp_eq_u32_e32 vcc, 1, v0
	v_cndmask_b32_e32 v18, v2, v3, vcc
	v_cmp_eq_u32_e32 vcc, 2, v0
	v_cndmask_b32_e32 v18, v18, v4, vcc
	;; [unrolled: 2-line block ×11, first 2 shown]
	v_cmp_eq_u32_e32 vcc, 12, v0
	ds_read_b32 v19, v66
	v_cndmask_b32_e32 v18, v18, v14, vcc
	v_cmp_eq_u32_e32 vcc, 13, v0
	v_cndmask_b32_e32 v18, v18, v15, vcc
	v_cmp_eq_u32_e32 vcc, 14, v0
	;; [unrolled: 2-line block ×3, first 2 shown]
	s_waitcnt vmcnt(0)
	v_cndmask_b32_e32 v18, v18, v17, vcc
	s_waitcnt lgkmcnt(0)
	v_mul_f32_e32 v20, v18, v19
	s_cbranch_execz .LBB15_362
	s_branch .LBB15_363
.LBB15_361:
                                        ; implicit-def: $vgpr20
.LBB15_362:
	ds_read_b32 v20, v66
.LBB15_363:
	v_cmp_ne_u32_e32 vcc, 13, v0
	s_and_saveexec_b64 s[8:9], vcc
	s_cbranch_execz .LBB15_367
; %bb.364:
	v_mov_b32_e32 v18, 0x44
	v_lshl_add_u32 v21, v0, 2, v18
	v_mov_b32_e32 v19, v1
	s_mov_b64 s[10:11], 0
	v_mov_b32_e32 v18, v0
.LBB15_365:                             ; =>This Inner Loop Header: Depth=1
	v_add_co_u32_e32 v18, vcc, 1, v18
	v_addc_co_u32_e32 v19, vcc, 0, v19, vcc
	v_cmp_eq_u32_e32 vcc, 1, v18
	v_cndmask_b32_e32 v23, v2, v3, vcc
	v_cmp_lt_u32_e32 vcc, 12, v18
	v_cmp_eq_u32_e64 s[4:5], 2, v18
	v_cndmask_b32_e64 v23, v23, v4, s[4:5]
	s_or_b64 s[10:11], vcc, s[10:11]
	v_cmp_eq_u32_e32 vcc, 3, v18
	v_cndmask_b32_e32 v23, v23, v5, vcc
	v_cmp_eq_u32_e32 vcc, 4, v18
	v_cndmask_b32_e32 v23, v23, v6, vcc
	v_cmp_eq_u32_e32 vcc, 5, v18
	v_cndmask_b32_e32 v23, v23, v7, vcc
	v_cmp_eq_u32_e32 vcc, 6, v18
	v_cndmask_b32_e32 v23, v23, v8, vcc
	v_cmp_eq_u32_e32 vcc, 7, v18
	v_cndmask_b32_e32 v23, v23, v9, vcc
	v_cmp_eq_u32_e32 vcc, 8, v18
	v_cndmask_b32_e32 v23, v23, v10, vcc
	v_cmp_eq_u32_e32 vcc, 9, v18
	v_cndmask_b32_e32 v23, v23, v11, vcc
	v_cmp_eq_u32_e32 vcc, 10, v18
	v_cndmask_b32_e32 v23, v23, v12, vcc
	v_cmp_eq_u32_e32 vcc, 11, v18
	ds_read_b32 v22, v21
	v_cndmask_b32_e32 v23, v23, v13, vcc
	v_cmp_eq_u32_e32 vcc, 12, v18
	v_cndmask_b32_e32 v23, v23, v14, vcc
	v_cmp_eq_u32_e32 vcc, 13, v18
	;; [unrolled: 2-line block ×4, first 2 shown]
	s_waitcnt vmcnt(0)
	v_cndmask_b32_e32 v23, v23, v17, vcc
	v_add_u32_e32 v21, 4, v21
	s_waitcnt lgkmcnt(0)
	v_fmac_f32_e32 v20, v23, v22
	s_andn2_b64 exec, exec, s[10:11]
	s_cbranch_execnz .LBB15_365
; %bb.366:
	s_or_b64 exec, exec, s[10:11]
.LBB15_367:
	s_or_b64 exec, exec, s[8:9]
	v_mov_b32_e32 v16, 0
	ds_read_b32 v16, v16 offset:56
	s_waitcnt lgkmcnt(0)
	v_mul_f32_e32 v16, v20, v16
.LBB15_368:
	s_or_b64 exec, exec, s[6:7]
	v_cmp_ne_u32_e32 vcc, 15, v0
	s_waitcnt vmcnt(0)
	ds_write_b32 v66, v17
	s_waitcnt lgkmcnt(0)
	; wave barrier
	s_and_saveexec_b64 s[4:5], vcc
	s_cbranch_execz .LBB15_378
; %bb.369:
	s_and_b64 vcc, exec, s[0:1]
	s_cbranch_vccnz .LBB15_371
; %bb.370:
	v_cmp_eq_u32_e32 vcc, 1, v0
	v_cndmask_b32_e32 v18, v2, v3, vcc
	v_cmp_eq_u32_e32 vcc, 2, v0
	v_cndmask_b32_e32 v18, v18, v4, vcc
	v_cmp_eq_u32_e32 vcc, 3, v0
	v_cndmask_b32_e32 v18, v18, v5, vcc
	v_cmp_eq_u32_e32 vcc, 4, v0
	v_cndmask_b32_e32 v18, v18, v6, vcc
	v_cmp_eq_u32_e32 vcc, 5, v0
	v_cndmask_b32_e32 v18, v18, v7, vcc
	v_cmp_eq_u32_e32 vcc, 6, v0
	v_cndmask_b32_e32 v18, v18, v8, vcc
	v_cmp_eq_u32_e32 vcc, 7, v0
	v_cndmask_b32_e32 v18, v18, v9, vcc
	v_cmp_eq_u32_e32 vcc, 8, v0
	v_cndmask_b32_e32 v18, v18, v10, vcc
	v_cmp_eq_u32_e32 vcc, 9, v0
	v_cndmask_b32_e32 v18, v18, v11, vcc
	v_cmp_eq_u32_e32 vcc, 10, v0
	v_cndmask_b32_e32 v18, v18, v12, vcc
	v_cmp_eq_u32_e32 vcc, 11, v0
	v_cndmask_b32_e32 v18, v18, v13, vcc
	v_cmp_eq_u32_e32 vcc, 12, v0
	ds_read_b32 v19, v66
	v_cndmask_b32_e32 v18, v18, v14, vcc
	v_cmp_eq_u32_e32 vcc, 13, v0
	v_cndmask_b32_e32 v18, v18, v15, vcc
	v_cmp_eq_u32_e32 vcc, 14, v0
	;; [unrolled: 2-line block ×3, first 2 shown]
	v_cndmask_b32_e32 v18, v18, v17, vcc
	s_waitcnt lgkmcnt(0)
	v_mul_f32_e32 v18, v18, v19
	s_cbranch_execz .LBB15_372
	s_branch .LBB15_373
.LBB15_371:
                                        ; implicit-def: $vgpr18
.LBB15_372:
	ds_read_b32 v18, v66
.LBB15_373:
	s_and_saveexec_b64 s[6:7], s[2:3]
	s_cbranch_execz .LBB15_377
; %bb.374:
	v_mov_b32_e32 v19, 0x44
	v_lshl_add_u32 v19, v0, 2, v19
	s_mov_b64 s[2:3], 0
.LBB15_375:                             ; =>This Inner Loop Header: Depth=1
	v_add_co_u32_e32 v0, vcc, 1, v0
	v_addc_co_u32_e32 v1, vcc, 0, v1, vcc
	v_cmp_eq_u32_e32 vcc, 1, v0
	v_cndmask_b32_e32 v21, v2, v3, vcc
	v_cmp_lt_u32_e32 vcc, 13, v0
	v_cmp_eq_u32_e64 s[0:1], 2, v0
	v_cndmask_b32_e64 v21, v21, v4, s[0:1]
	s_or_b64 s[2:3], vcc, s[2:3]
	v_cmp_eq_u32_e32 vcc, 3, v0
	v_cndmask_b32_e32 v21, v21, v5, vcc
	v_cmp_eq_u32_e32 vcc, 4, v0
	v_cndmask_b32_e32 v21, v21, v6, vcc
	;; [unrolled: 2-line block ×8, first 2 shown]
	v_cmp_eq_u32_e32 vcc, 11, v0
	ds_read_b32 v20, v19
	v_cndmask_b32_e32 v21, v21, v13, vcc
	v_cmp_eq_u32_e32 vcc, 12, v0
	v_cndmask_b32_e32 v21, v21, v14, vcc
	v_cmp_eq_u32_e32 vcc, 13, v0
	v_cndmask_b32_e32 v21, v21, v15, vcc
	v_cmp_eq_u32_e32 vcc, 14, v0
	v_cndmask_b32_e32 v21, v21, v16, vcc
	v_cmp_eq_u32_e32 vcc, 15, v0
	v_cndmask_b32_e32 v21, v21, v17, vcc
	v_add_u32_e32 v19, 4, v19
	s_waitcnt lgkmcnt(0)
	v_fmac_f32_e32 v18, v21, v20
	s_andn2_b64 exec, exec, s[2:3]
	s_cbranch_execnz .LBB15_375
; %bb.376:
	s_or_b64 exec, exec, s[2:3]
.LBB15_377:
	s_or_b64 exec, exec, s[6:7]
	v_mov_b32_e32 v0, 0
	ds_read_b32 v0, v0 offset:60
	s_waitcnt lgkmcnt(0)
	v_mul_f32_e32 v17, v18, v0
.LBB15_378:
	s_or_b64 exec, exec, s[4:5]
	v_mov_b32_e32 v33, v17
	v_mov_b32_e32 v32, v16
	;; [unrolled: 1-line block ×16, first 2 shown]
.LBB15_379:
	global_store_dword v[62:63], v18, off
	global_store_dword v[64:65], v19, off
	;; [unrolled: 1-line block ×16, first 2 shown]
.LBB15_380:
	s_endpgm
	.section	.rodata,"a",@progbits
	.p2align	6, 0x0
	.amdhsa_kernel _ZN9rocsolver6v33100L18trti2_kernel_smallILi16EfPfEEv13rocblas_fill_17rocblas_diagonal_T1_iil
		.amdhsa_group_segment_fixed_size 128
		.amdhsa_private_segment_fixed_size 0
		.amdhsa_kernarg_size 32
		.amdhsa_user_sgpr_count 6
		.amdhsa_user_sgpr_private_segment_buffer 1
		.amdhsa_user_sgpr_dispatch_ptr 0
		.amdhsa_user_sgpr_queue_ptr 0
		.amdhsa_user_sgpr_kernarg_segment_ptr 1
		.amdhsa_user_sgpr_dispatch_id 0
		.amdhsa_user_sgpr_flat_scratch_init 0
		.amdhsa_user_sgpr_private_segment_size 0
		.amdhsa_uses_dynamic_stack 0
		.amdhsa_system_sgpr_private_segment_wavefront_offset 0
		.amdhsa_system_sgpr_workgroup_id_x 1
		.amdhsa_system_sgpr_workgroup_id_y 0
		.amdhsa_system_sgpr_workgroup_id_z 0
		.amdhsa_system_sgpr_workgroup_info 0
		.amdhsa_system_vgpr_workitem_id 0
		.amdhsa_next_free_vgpr 84
		.amdhsa_next_free_sgpr 44
		.amdhsa_reserve_vcc 1
		.amdhsa_reserve_flat_scratch 0
		.amdhsa_float_round_mode_32 0
		.amdhsa_float_round_mode_16_64 0
		.amdhsa_float_denorm_mode_32 3
		.amdhsa_float_denorm_mode_16_64 3
		.amdhsa_dx10_clamp 1
		.amdhsa_ieee_mode 1
		.amdhsa_fp16_overflow 0
		.amdhsa_exception_fp_ieee_invalid_op 0
		.amdhsa_exception_fp_denorm_src 0
		.amdhsa_exception_fp_ieee_div_zero 0
		.amdhsa_exception_fp_ieee_overflow 0
		.amdhsa_exception_fp_ieee_underflow 0
		.amdhsa_exception_fp_ieee_inexact 0
		.amdhsa_exception_int_div_zero 0
	.end_amdhsa_kernel
	.section	.text._ZN9rocsolver6v33100L18trti2_kernel_smallILi16EfPfEEv13rocblas_fill_17rocblas_diagonal_T1_iil,"axG",@progbits,_ZN9rocsolver6v33100L18trti2_kernel_smallILi16EfPfEEv13rocblas_fill_17rocblas_diagonal_T1_iil,comdat
.Lfunc_end15:
	.size	_ZN9rocsolver6v33100L18trti2_kernel_smallILi16EfPfEEv13rocblas_fill_17rocblas_diagonal_T1_iil, .Lfunc_end15-_ZN9rocsolver6v33100L18trti2_kernel_smallILi16EfPfEEv13rocblas_fill_17rocblas_diagonal_T1_iil
                                        ; -- End function
	.set _ZN9rocsolver6v33100L18trti2_kernel_smallILi16EfPfEEv13rocblas_fill_17rocblas_diagonal_T1_iil.num_vgpr, 84
	.set _ZN9rocsolver6v33100L18trti2_kernel_smallILi16EfPfEEv13rocblas_fill_17rocblas_diagonal_T1_iil.num_agpr, 0
	.set _ZN9rocsolver6v33100L18trti2_kernel_smallILi16EfPfEEv13rocblas_fill_17rocblas_diagonal_T1_iil.numbered_sgpr, 44
	.set _ZN9rocsolver6v33100L18trti2_kernel_smallILi16EfPfEEv13rocblas_fill_17rocblas_diagonal_T1_iil.num_named_barrier, 0
	.set _ZN9rocsolver6v33100L18trti2_kernel_smallILi16EfPfEEv13rocblas_fill_17rocblas_diagonal_T1_iil.private_seg_size, 0
	.set _ZN9rocsolver6v33100L18trti2_kernel_smallILi16EfPfEEv13rocblas_fill_17rocblas_diagonal_T1_iil.uses_vcc, 1
	.set _ZN9rocsolver6v33100L18trti2_kernel_smallILi16EfPfEEv13rocblas_fill_17rocblas_diagonal_T1_iil.uses_flat_scratch, 0
	.set _ZN9rocsolver6v33100L18trti2_kernel_smallILi16EfPfEEv13rocblas_fill_17rocblas_diagonal_T1_iil.has_dyn_sized_stack, 0
	.set _ZN9rocsolver6v33100L18trti2_kernel_smallILi16EfPfEEv13rocblas_fill_17rocblas_diagonal_T1_iil.has_recursion, 0
	.set _ZN9rocsolver6v33100L18trti2_kernel_smallILi16EfPfEEv13rocblas_fill_17rocblas_diagonal_T1_iil.has_indirect_call, 0
	.section	.AMDGPU.csdata,"",@progbits
; Kernel info:
; codeLenInByte = 19036
; TotalNumSgprs: 48
; NumVgprs: 84
; ScratchSize: 0
; MemoryBound: 0
; FloatMode: 240
; IeeeMode: 1
; LDSByteSize: 128 bytes/workgroup (compile time only)
; SGPRBlocks: 5
; VGPRBlocks: 20
; NumSGPRsForWavesPerEU: 48
; NumVGPRsForWavesPerEU: 84
; Occupancy: 3
; WaveLimiterHint : 0
; COMPUTE_PGM_RSRC2:SCRATCH_EN: 0
; COMPUTE_PGM_RSRC2:USER_SGPR: 6
; COMPUTE_PGM_RSRC2:TRAP_HANDLER: 0
; COMPUTE_PGM_RSRC2:TGID_X_EN: 1
; COMPUTE_PGM_RSRC2:TGID_Y_EN: 0
; COMPUTE_PGM_RSRC2:TGID_Z_EN: 0
; COMPUTE_PGM_RSRC2:TIDIG_COMP_CNT: 0
	.section	.text._ZN9rocsolver6v33100L18trti2_kernel_smallILi17EfPfEEv13rocblas_fill_17rocblas_diagonal_T1_iil,"axG",@progbits,_ZN9rocsolver6v33100L18trti2_kernel_smallILi17EfPfEEv13rocblas_fill_17rocblas_diagonal_T1_iil,comdat
	.globl	_ZN9rocsolver6v33100L18trti2_kernel_smallILi17EfPfEEv13rocblas_fill_17rocblas_diagonal_T1_iil ; -- Begin function _ZN9rocsolver6v33100L18trti2_kernel_smallILi17EfPfEEv13rocblas_fill_17rocblas_diagonal_T1_iil
	.p2align	8
	.type	_ZN9rocsolver6v33100L18trti2_kernel_smallILi17EfPfEEv13rocblas_fill_17rocblas_diagonal_T1_iil,@function
_ZN9rocsolver6v33100L18trti2_kernel_smallILi17EfPfEEv13rocblas_fill_17rocblas_diagonal_T1_iil: ; @_ZN9rocsolver6v33100L18trti2_kernel_smallILi17EfPfEEv13rocblas_fill_17rocblas_diagonal_T1_iil
; %bb.0:
	v_cmp_gt_u32_e32 vcc, 17, v0
	s_and_saveexec_b64 s[0:1], vcc
	s_cbranch_execz .LBB16_406
; %bb.1:
	s_load_dwordx8 s[36:43], s[4:5], 0x0
	s_ashr_i32 s2, s6, 31
	v_lshlrev_b32_e32 v19, 2, v0
	v_mov_b32_e32 v20, -1.0
	s_waitcnt lgkmcnt(0)
	s_mul_hi_u32 s3, s42, s6
	s_mul_i32 s2, s42, s2
	s_add_i32 s2, s3, s2
	s_mul_i32 s3, s43, s6
	s_add_i32 s3, s2, s3
	s_mul_i32 s2, s42, s6
	s_ashr_i32 s1, s40, 31
	s_lshl_b64 s[2:3], s[2:3], 2
	s_mov_b32 s0, s40
	s_add_u32 s2, s38, s2
	s_addc_u32 s3, s39, s3
	s_lshl_b64 s[0:1], s[0:1], 2
	s_add_u32 s0, s2, s0
	s_addc_u32 s1, s3, s1
	s_add_i32 s2, s41, s41
	v_add_u32_e32 v1, s2, v0
	v_ashrrev_i32_e32 v2, 31, v1
	v_lshlrev_b64 v[2:3], 2, v[1:2]
	v_add_u32_e32 v1, s41, v1
	v_mov_b32_e32 v4, s1
	v_add_co_u32_e32 v51, vcc, s0, v2
	v_ashrrev_i32_e32 v2, 31, v1
	v_addc_co_u32_e32 v52, vcc, v4, v3, vcc
	v_lshlrev_b64 v[2:3], 2, v[1:2]
	v_add_u32_e32 v1, s41, v1
	v_add_co_u32_e32 v53, vcc, s0, v2
	v_ashrrev_i32_e32 v2, 31, v1
	v_addc_co_u32_e32 v54, vcc, v4, v3, vcc
	v_lshlrev_b64 v[2:3], 2, v[1:2]
	v_add_u32_e32 v1, s41, v1
	;; [unrolled: 5-line block ×13, first 2 shown]
	v_add_co_u32_e32 v77, vcc, s0, v2
	v_ashrrev_i32_e32 v2, 31, v1
	v_lshlrev_b64 v[1:2], 2, v[1:2]
	v_addc_co_u32_e32 v78, vcc, v4, v3, vcc
	v_mov_b32_e32 v3, s1
	v_add_co_u32_e32 v79, vcc, s0, v1
	v_addc_co_u32_e32 v80, vcc, v3, v2, vcc
	v_mov_b32_e32 v1, s1
	v_add_co_u32_e32 v81, vcc, s0, v19
	s_ashr_i32 s3, s41, 31
	s_mov_b32 s2, s41
	v_addc_co_u32_e32 v82, vcc, 0, v1, vcc
	s_lshl_b64 s[2:3], s[2:3], 2
	v_mov_b32_e32 v1, s3
	v_add_co_u32_e32 v83, vcc, s2, v81
	v_addc_co_u32_e32 v84, vcc, v82, v1, vcc
	global_load_dword v2, v19, s[0:1]
	global_load_dword v3, v[83:84], off
	global_load_dword v4, v[51:52], off
	;; [unrolled: 1-line block ×14, first 2 shown]
                                        ; kill: killed $sgpr0 killed $sgpr1
	global_load_dword v17, v[77:78], off
	global_load_dword v18, v[79:80], off
	s_cmpk_lg_i32 s37, 0x84
	v_mov_b32_e32 v1, 0
	s_cselect_b64 s[38:39], -1, 0
	s_cmpk_eq_i32 s37, 0x84
	v_cmp_eq_u32_e64 s[0:1], 0, v0
	s_cbranch_scc1 .LBB16_3
; %bb.2:
	v_cmp_eq_u32_e64 s[2:3], 1, v0
	s_waitcnt vmcnt(15)
	v_cndmask_b32_e64 v20, v2, v3, s[2:3]
	v_cmp_eq_u32_e64 s[4:5], 2, v0
	s_waitcnt vmcnt(14)
	v_cndmask_b32_e64 v20, v20, v4, s[4:5]
	;; [unrolled: 3-line block ×16, first 2 shown]
	v_div_scale_f32 v21, s[40:41], v20, v20, 1.0
	v_div_scale_f32 v22, vcc, 1.0, v20, 1.0
	v_rcp_f32_e32 v23, v21
	v_fma_f32 v24, -v21, v23, 1.0
	v_fmac_f32_e32 v23, v24, v23
	v_mul_f32_e32 v24, v22, v23
	v_fma_f32 v25, -v21, v24, v22
	v_fmac_f32_e32 v24, v25, v23
	v_fma_f32 v21, -v21, v24, v22
	v_div_fmas_f32 v21, v21, v23, v24
	v_div_fixup_f32 v20, v21, v20, 1.0
	v_cndmask_b32_e64 v18, v18, v20, s[34:35]
	v_cndmask_b32_e64 v17, v17, v20, s[30:31]
	;; [unrolled: 1-line block ×17, first 2 shown]
	v_xor_b32_e32 v20, 0x80000000, v20
.LBB16_3:
	s_cmpk_eq_i32 s36, 0x79
	v_add_u32_e32 v85, 0x50, v19
	ds_write_b32 v19, v20
	s_cbranch_scc1 .LBB16_7
; %bb.4:
	s_waitcnt vmcnt(0)
	v_mov_b32_e32 v50, v33
	v_mov_b32_e32 v49, v32
	;; [unrolled: 1-line block ×32, first 2 shown]
	v_cmp_eq_u32_e64 s[2:3], 16, v0
	ds_write_b32 v85, v17
	s_waitcnt lgkmcnt(0)
	; wave barrier
	s_and_saveexec_b64 s[0:1], s[2:3]
	s_cbranch_execz .LBB16_11
; %bb.5:
	s_and_b64 vcc, exec, s[38:39]
	s_cbranch_vccz .LBB16_8
; %bb.6:
	v_cmp_eq_u32_e32 vcc, 1, v0
	v_cndmask_b32_e32 v19, v2, v3, vcc
	v_cmp_eq_u32_e32 vcc, 2, v0
	v_cndmask_b32_e32 v19, v19, v4, vcc
	;; [unrolled: 2-line block ×12, first 2 shown]
	v_cmp_eq_u32_e32 vcc, 13, v0
	ds_read_b32 v20, v85
	v_cndmask_b32_e32 v19, v19, v15, vcc
	v_cmp_eq_u32_e32 vcc, 14, v0
	v_cndmask_b32_e32 v19, v19, v16, vcc
	v_cmp_eq_u32_e32 vcc, 15, v0
	;; [unrolled: 2-line block ×3, first 2 shown]
	v_cndmask_b32_e32 v19, v19, v18, vcc
	s_waitcnt lgkmcnt(0)
	v_mul_f32_e32 v23, v19, v20
	s_cbranch_execz .LBB16_9
	s_branch .LBB16_10
.LBB16_7:
                                        ; implicit-def: $vgpr19_vgpr20_vgpr21_vgpr22_vgpr23_vgpr24_vgpr25_vgpr26_vgpr27_vgpr28_vgpr29_vgpr30_vgpr31_vgpr32_vgpr33_vgpr34_vgpr35_vgpr36_vgpr37_vgpr38_vgpr39_vgpr40_vgpr41_vgpr42_vgpr43_vgpr44_vgpr45_vgpr46_vgpr47_vgpr48_vgpr49_vgpr50
	s_cbranch_execnz .LBB16_242
	s_branch .LBB16_405
.LBB16_8:
                                        ; implicit-def: $vgpr23
.LBB16_9:
	ds_read_b32 v23, v85
.LBB16_10:
	v_mov_b32_e32 v19, 0
	ds_read_b32 v24, v19 offset:60
	v_mov_b32_e32 v19, v2
	v_mov_b32_e32 v20, v3
	;; [unrolled: 1-line block ×4, first 2 shown]
	s_waitcnt lgkmcnt(0)
	v_mul_f32_e32 v34, v23, v24
	v_mov_b32_e32 v23, v6
	v_mov_b32_e32 v24, v7
	;; [unrolled: 1-line block ×12, first 2 shown]
.LBB16_11:
	s_or_b64 exec, exec, s[0:1]
	v_cmp_lt_u32_e64 s[0:1], 14, v0
	ds_write_b32 v85, v33
	s_waitcnt lgkmcnt(0)
	; wave barrier
	s_and_saveexec_b64 s[4:5], s[0:1]
	s_cbranch_execz .LBB16_17
; %bb.12:
	s_andn2_b64 vcc, exec, s[38:39]
	s_cbranch_vccnz .LBB16_14
; %bb.13:
	v_cmp_eq_u32_e32 vcc, 1, v0
	v_cndmask_b32_e32 v36, v19, v20, vcc
	v_cmp_eq_u32_e32 vcc, 2, v0
	v_cndmask_b32_e32 v36, v36, v21, vcc
	;; [unrolled: 2-line block ×14, first 2 shown]
	ds_read_b32 v36, v85
	v_cmp_eq_u32_e32 vcc, 15, v0
	v_cndmask_b32_e32 v33, v33, v34, vcc
	v_cmp_eq_u32_e32 vcc, 16, v0
	v_cndmask_b32_e32 v33, v33, v35, vcc
	s_waitcnt lgkmcnt(0)
	v_mul_f32_e32 v33, v33, v36
	s_cbranch_execz .LBB16_15
	s_branch .LBB16_16
.LBB16_14:
                                        ; implicit-def: $vgpr33
.LBB16_15:
	ds_read_b32 v33, v85
.LBB16_16:
	v_mov_b32_e32 v36, 0
	ds_read2_b32 v[36:37], v36 offset0:14 offset1:35
	s_waitcnt lgkmcnt(0)
	v_fma_f32 v37, v34, v37, v33
	v_cndmask_b32_e64 v33, v33, v37, s[2:3]
	v_mul_f32_e32 v33, v33, v36
.LBB16_17:
	s_or_b64 exec, exec, s[4:5]
	v_cmp_lt_u32_e64 s[2:3], 13, v0
	ds_write_b32 v85, v32
	s_waitcnt lgkmcnt(0)
	; wave barrier
	s_and_saveexec_b64 s[4:5], s[2:3]
	s_cbranch_execz .LBB16_33
; %bb.18:
	s_andn2_b64 vcc, exec, s[38:39]
	s_cbranch_vccnz .LBB16_20
; %bb.19:
	v_cmp_eq_u32_e32 vcc, 1, v0
	v_cndmask_b32_e32 v86, v19, v20, vcc
	v_cmp_eq_u32_e32 vcc, 2, v0
	v_cndmask_b32_e32 v86, v86, v21, vcc
	;; [unrolled: 2-line block ×12, first 2 shown]
	v_cmp_eq_u32_e32 vcc, 13, v0
	ds_read_b32 v87, v85
	v_cndmask_b32_e32 v86, v86, v32, vcc
	v_cmp_eq_u32_e32 vcc, 14, v0
	v_cndmask_b32_e32 v86, v86, v33, vcc
	v_cmp_eq_u32_e32 vcc, 15, v0
	v_cndmask_b32_e32 v86, v86, v34, vcc
	v_cmp_eq_u32_e32 vcc, 16, v0
	v_cndmask_b32_e32 v86, v86, v35, vcc
	s_waitcnt lgkmcnt(0)
	v_mul_f32_e32 v86, v86, v87
	s_cbranch_execz .LBB16_21
	s_branch .LBB16_22
.LBB16_20:
                                        ; implicit-def: $vgpr86
.LBB16_21:
	ds_read_b32 v86, v85
.LBB16_22:
	s_and_saveexec_b64 s[6:7], s[0:1]
	s_cbranch_execz .LBB16_32
; %bb.23:
	v_add_u32_e32 v87, -15, v0
	v_add_u32_e32 v88, -14, v0
	v_cmp_lt_u32_e32 vcc, 6, v87
	v_mov_b32_e32 v87, 14
	s_and_saveexec_b64 s[0:1], vcc
	s_cbranch_execz .LBB16_27
; %bb.24:
	v_and_b32_e32 v87, -8, v88
	v_sub_u32_e32 v89, 0, v87
	s_mov_b64 s[8:9], 21
	s_movk_i32 s12, 0x88
	s_mov_b64 s[10:11], 0
.LBB16_25:                              ; =>This Inner Loop Header: Depth=1
	s_add_i32 s13, s8, -7
	v_mov_b32_e32 v87, s12
	s_add_i32 s14, s8, -6
	s_set_gpr_idx_on s13, gpr_idx(SRC0)
	v_mov_b32_e32 v98, v19
	s_set_gpr_idx_off
	ds_read2_b64 v[90:93], v87 offset1:1
	s_add_i32 s15, s8, -5
	s_set_gpr_idx_on s14, gpr_idx(SRC0)
	v_mov_b32_e32 v99, v19
	s_set_gpr_idx_off
	s_add_i32 s16, s8, -4
	s_set_gpr_idx_on s15, gpr_idx(SRC0)
	v_mov_b32_e32 v100, v19
	s_set_gpr_idx_off
	;; [unrolled: 4-line block ×4, first 2 shown]
	ds_read2_b64 v[94:97], v87 offset0:2 offset1:3
	s_add_i32 s19, s8, -1
	s_waitcnt lgkmcnt(1)
	v_fmac_f32_e32 v86, v98, v90
	s_set_gpr_idx_on s18, gpr_idx(SRC0)
	v_mov_b32_e32 v90, v19
	s_set_gpr_idx_off
	v_fmac_f32_e32 v86, v99, v91
	s_set_gpr_idx_on s19, gpr_idx(SRC0)
	v_mov_b32_e32 v91, v19
	s_set_gpr_idx_off
	;; [unrolled: 4-line block ×3, first 2 shown]
	v_fmac_f32_e32 v86, v101, v93
	s_add_u32 s8, s8, 8
	s_waitcnt lgkmcnt(0)
	v_fmac_f32_e32 v86, v102, v94
	v_add_u32_e32 v87, s8, v89
	v_fmac_f32_e32 v86, v90, v95
	s_addc_u32 s9, s9, 0
	s_add_i32 s12, s12, 32
	s_add_i32 s13, s8, -7
	v_cmp_eq_u32_e32 vcc, 21, v87
	v_fmac_f32_e32 v86, v91, v96
	v_mov_b32_e32 v87, s13
	s_or_b64 s[10:11], vcc, s[10:11]
	v_fmac_f32_e32 v86, v92, v97
	s_andn2_b64 exec, exec, s[10:11]
	s_cbranch_execnz .LBB16_25
; %bb.26:
	s_or_b64 exec, exec, s[10:11]
.LBB16_27:
	s_or_b64 exec, exec, s[0:1]
	v_and_b32_e32 v36, 7, v88
	v_cmp_ne_u32_e32 vcc, 0, v36
	s_and_saveexec_b64 s[8:9], vcc
	s_cbranch_execz .LBB16_31
; %bb.28:
	v_mov_b32_e32 v37, 0x50
	v_lshl_add_u32 v37, v87, 2, v37
	v_mov_b32_e32 v38, 0
	s_mov_b64 s[10:11], 0
.LBB16_29:                              ; =>This Inner Loop Header: Depth=1
	v_cmp_eq_u32_e32 vcc, 1, v87
	v_cndmask_b32_e32 v39, v19, v20, vcc
	v_add_u32_e32 v36, -1, v36
	v_cmp_eq_u32_e32 vcc, 2, v87
	v_cndmask_b32_e32 v39, v39, v21, vcc
	v_cmp_eq_u32_e32 vcc, 0, v36
	v_cmp_eq_u32_e64 s[0:1], 3, v87
	v_cndmask_b32_e64 v39, v39, v22, s[0:1]
	s_or_b64 s[10:11], vcc, s[10:11]
	v_cmp_eq_u32_e32 vcc, 4, v87
	v_cndmask_b32_e32 v39, v39, v23, vcc
	v_cmp_eq_u32_e32 vcc, 5, v87
	v_cndmask_b32_e32 v39, v39, v24, vcc
	;; [unrolled: 2-line block ×8, first 2 shown]
	v_cmp_eq_u32_e32 vcc, 12, v87
	ds_read_b32 v40, v37
	v_cndmask_b32_e32 v39, v39, v31, vcc
	v_cmp_eq_u32_e32 vcc, 13, v87
	v_cndmask_b32_e32 v39, v39, v32, vcc
	v_cmp_eq_u32_e32 vcc, 14, v87
	;; [unrolled: 2-line block ×4, first 2 shown]
	v_add_co_u32_e64 v87, s[0:1], 1, v87
	v_cndmask_b32_e32 v39, v39, v35, vcc
	v_add_u32_e32 v37, 4, v37
	v_addc_co_u32_e64 v38, s[0:1], 0, v38, s[0:1]
	s_waitcnt lgkmcnt(0)
	v_fmac_f32_e32 v86, v39, v40
	s_andn2_b64 exec, exec, s[10:11]
	s_cbranch_execnz .LBB16_29
; %bb.30:
	s_or_b64 exec, exec, s[10:11]
.LBB16_31:
	s_or_b64 exec, exec, s[8:9]
.LBB16_32:
	s_or_b64 exec, exec, s[6:7]
	v_mov_b32_e32 v32, 0
	ds_read_b32 v32, v32 offset:52
	s_waitcnt lgkmcnt(0)
	v_mul_f32_e32 v32, v86, v32
.LBB16_33:
	s_or_b64 exec, exec, s[4:5]
	v_cmp_lt_u32_e64 s[0:1], 12, v0
	ds_write_b32 v85, v31
	s_waitcnt lgkmcnt(0)
	; wave barrier
	s_and_saveexec_b64 s[4:5], s[0:1]
	s_cbranch_execz .LBB16_49
; %bb.34:
	s_andn2_b64 vcc, exec, s[38:39]
	s_cbranch_vccnz .LBB16_36
; %bb.35:
	v_cmp_eq_u32_e32 vcc, 1, v0
	v_cndmask_b32_e32 v86, v19, v20, vcc
	v_cmp_eq_u32_e32 vcc, 2, v0
	v_cndmask_b32_e32 v86, v86, v21, vcc
	;; [unrolled: 2-line block ×12, first 2 shown]
	v_cmp_eq_u32_e32 vcc, 13, v0
	ds_read_b32 v87, v85
	v_cndmask_b32_e32 v86, v86, v32, vcc
	v_cmp_eq_u32_e32 vcc, 14, v0
	v_cndmask_b32_e32 v86, v86, v33, vcc
	v_cmp_eq_u32_e32 vcc, 15, v0
	;; [unrolled: 2-line block ×3, first 2 shown]
	v_cndmask_b32_e32 v86, v86, v35, vcc
	s_waitcnt lgkmcnt(0)
	v_mul_f32_e32 v86, v86, v87
	s_cbranch_execz .LBB16_37
	s_branch .LBB16_38
.LBB16_36:
                                        ; implicit-def: $vgpr86
.LBB16_37:
	ds_read_b32 v86, v85
.LBB16_38:
	s_and_saveexec_b64 s[6:7], s[2:3]
	s_cbranch_execz .LBB16_48
; %bb.39:
	v_add_u32_e32 v87, -14, v0
	v_add_u32_e32 v88, -13, v0
	v_cmp_lt_u32_e32 vcc, 6, v87
	v_mov_b32_e32 v87, 13
	s_and_saveexec_b64 s[2:3], vcc
	s_cbranch_execz .LBB16_43
; %bb.40:
	v_and_b32_e32 v87, -8, v88
	v_sub_u32_e32 v89, 0, v87
	s_mov_b64 s[8:9], 20
	s_movk_i32 s12, 0x84
	s_mov_b64 s[10:11], 0
.LBB16_41:                              ; =>This Inner Loop Header: Depth=1
	s_add_i32 s13, s8, -7
	v_mov_b32_e32 v87, s12
	s_add_i32 s14, s8, -6
	s_set_gpr_idx_on s13, gpr_idx(SRC0)
	v_mov_b32_e32 v96, v19
	s_set_gpr_idx_off
	ds_read2_b32 v[90:91], v87 offset1:1
	s_add_i32 s15, s8, -5
	s_set_gpr_idx_on s14, gpr_idx(SRC0)
	v_mov_b32_e32 v97, v19
	s_set_gpr_idx_off
	s_add_i32 s16, s8, -4
	s_set_gpr_idx_on s15, gpr_idx(SRC0)
	v_mov_b32_e32 v98, v19
	s_set_gpr_idx_off
	ds_read2_b32 v[92:93], v87 offset0:2 offset1:3
	s_add_i32 s17, s8, -3
	s_set_gpr_idx_on s16, gpr_idx(SRC0)
	v_mov_b32_e32 v99, v19
	s_set_gpr_idx_off
	s_add_i32 s18, s8, -2
	s_set_gpr_idx_on s17, gpr_idx(SRC0)
	v_mov_b32_e32 v100, v19
	s_set_gpr_idx_off
	ds_read2_b32 v[94:95], v87 offset0:4 offset1:5
	s_add_i32 s19, s8, -1
	s_waitcnt lgkmcnt(2)
	v_fmac_f32_e32 v86, v96, v90
	s_set_gpr_idx_on s18, gpr_idx(SRC0)
	v_mov_b32_e32 v96, v19
	s_set_gpr_idx_off
	v_fmac_f32_e32 v86, v97, v91
	s_set_gpr_idx_on s19, gpr_idx(SRC0)
	v_mov_b32_e32 v97, v19
	s_set_gpr_idx_off
	ds_read2_b32 v[90:91], v87 offset0:6 offset1:7
	s_waitcnt lgkmcnt(2)
	v_fmac_f32_e32 v86, v98, v92
	s_set_gpr_idx_on s8, gpr_idx(SRC0)
	v_mov_b32_e32 v92, v19
	s_set_gpr_idx_off
	v_fmac_f32_e32 v86, v99, v93
	s_add_u32 s8, s8, 8
	s_waitcnt lgkmcnt(1)
	v_fmac_f32_e32 v86, v100, v94
	v_add_u32_e32 v87, s8, v89
	v_fmac_f32_e32 v86, v96, v95
	s_addc_u32 s9, s9, 0
	s_add_i32 s12, s12, 32
	s_add_i32 s13, s8, -7
	v_cmp_eq_u32_e32 vcc, 20, v87
	s_waitcnt lgkmcnt(0)
	v_fmac_f32_e32 v86, v97, v90
	v_mov_b32_e32 v87, s13
	s_or_b64 s[10:11], vcc, s[10:11]
	v_fmac_f32_e32 v86, v92, v91
	s_andn2_b64 exec, exec, s[10:11]
	s_cbranch_execnz .LBB16_41
; %bb.42:
	s_or_b64 exec, exec, s[10:11]
.LBB16_43:
	s_or_b64 exec, exec, s[2:3]
	v_and_b32_e32 v36, 7, v88
	v_cmp_ne_u32_e32 vcc, 0, v36
	s_and_saveexec_b64 s[8:9], vcc
	s_cbranch_execz .LBB16_47
; %bb.44:
	v_mov_b32_e32 v37, 0x50
	v_lshl_add_u32 v37, v87, 2, v37
	v_mov_b32_e32 v38, 0
	s_mov_b64 s[10:11], 0
.LBB16_45:                              ; =>This Inner Loop Header: Depth=1
	v_cmp_eq_u32_e32 vcc, 1, v87
	v_cndmask_b32_e32 v39, v19, v20, vcc
	v_add_u32_e32 v36, -1, v36
	v_cmp_eq_u32_e32 vcc, 2, v87
	v_cndmask_b32_e32 v39, v39, v21, vcc
	v_cmp_eq_u32_e32 vcc, 0, v36
	v_cmp_eq_u32_e64 s[2:3], 3, v87
	v_cndmask_b32_e64 v39, v39, v22, s[2:3]
	s_or_b64 s[10:11], vcc, s[10:11]
	v_cmp_eq_u32_e32 vcc, 4, v87
	v_cndmask_b32_e32 v39, v39, v23, vcc
	v_cmp_eq_u32_e32 vcc, 5, v87
	v_cndmask_b32_e32 v39, v39, v24, vcc
	;; [unrolled: 2-line block ×8, first 2 shown]
	v_cmp_eq_u32_e32 vcc, 12, v87
	ds_read_b32 v40, v37
	v_cndmask_b32_e32 v39, v39, v31, vcc
	v_cmp_eq_u32_e32 vcc, 13, v87
	v_cndmask_b32_e32 v39, v39, v32, vcc
	v_cmp_eq_u32_e32 vcc, 14, v87
	;; [unrolled: 2-line block ×4, first 2 shown]
	v_add_co_u32_e64 v87, s[2:3], 1, v87
	v_cndmask_b32_e32 v39, v39, v35, vcc
	v_add_u32_e32 v37, 4, v37
	v_addc_co_u32_e64 v38, s[2:3], 0, v38, s[2:3]
	s_waitcnt lgkmcnt(0)
	v_fmac_f32_e32 v86, v39, v40
	s_andn2_b64 exec, exec, s[10:11]
	s_cbranch_execnz .LBB16_45
; %bb.46:
	s_or_b64 exec, exec, s[10:11]
.LBB16_47:
	s_or_b64 exec, exec, s[8:9]
.LBB16_48:
	s_or_b64 exec, exec, s[6:7]
	v_mov_b32_e32 v31, 0
	ds_read_b32 v31, v31 offset:48
	s_waitcnt lgkmcnt(0)
	v_mul_f32_e32 v31, v86, v31
.LBB16_49:
	s_or_b64 exec, exec, s[4:5]
	v_cmp_lt_u32_e64 s[2:3], 11, v0
	ds_write_b32 v85, v30
	s_waitcnt lgkmcnt(0)
	; wave barrier
	s_and_saveexec_b64 s[4:5], s[2:3]
	s_cbranch_execz .LBB16_65
; %bb.50:
	s_andn2_b64 vcc, exec, s[38:39]
	s_cbranch_vccnz .LBB16_52
; %bb.51:
	v_cmp_eq_u32_e32 vcc, 1, v0
	v_cndmask_b32_e32 v86, v19, v20, vcc
	v_cmp_eq_u32_e32 vcc, 2, v0
	v_cndmask_b32_e32 v86, v86, v21, vcc
	;; [unrolled: 2-line block ×12, first 2 shown]
	v_cmp_eq_u32_e32 vcc, 13, v0
	ds_read_b32 v87, v85
	v_cndmask_b32_e32 v86, v86, v32, vcc
	v_cmp_eq_u32_e32 vcc, 14, v0
	v_cndmask_b32_e32 v86, v86, v33, vcc
	v_cmp_eq_u32_e32 vcc, 15, v0
	;; [unrolled: 2-line block ×3, first 2 shown]
	v_cndmask_b32_e32 v86, v86, v35, vcc
	s_waitcnt lgkmcnt(0)
	v_mul_f32_e32 v86, v86, v87
	s_cbranch_execz .LBB16_53
	s_branch .LBB16_54
.LBB16_52:
                                        ; implicit-def: $vgpr86
.LBB16_53:
	ds_read_b32 v86, v85
.LBB16_54:
	s_and_saveexec_b64 s[6:7], s[0:1]
	s_cbranch_execz .LBB16_64
; %bb.55:
	v_add_u32_e32 v87, -13, v0
	v_add_u32_e32 v88, -12, v0
	v_cmp_lt_u32_e32 vcc, 6, v87
	v_mov_b32_e32 v87, 12
	s_and_saveexec_b64 s[0:1], vcc
	s_cbranch_execz .LBB16_59
; %bb.56:
	v_and_b32_e32 v87, -8, v88
	v_sub_u32_e32 v89, 0, v87
	s_mov_b64 s[8:9], 19
	s_movk_i32 s12, 0x80
	s_mov_b64 s[10:11], 0
.LBB16_57:                              ; =>This Inner Loop Header: Depth=1
	s_add_i32 s13, s8, -7
	v_mov_b32_e32 v87, s12
	s_add_i32 s14, s8, -6
	s_set_gpr_idx_on s13, gpr_idx(SRC0)
	v_mov_b32_e32 v98, v19
	s_set_gpr_idx_off
	s_add_i32 s15, s8, -5
	ds_read_b128 v[90:93], v87
	ds_read_b128 v[94:97], v87 offset:16
	s_set_gpr_idx_on s14, gpr_idx(SRC0)
	v_mov_b32_e32 v87, v19
	s_set_gpr_idx_off
	s_add_i32 s16, s8, -4
	s_set_gpr_idx_on s15, gpr_idx(SRC0)
	v_mov_b32_e32 v99, v19
	s_set_gpr_idx_off
	s_add_i32 s17, s8, -3
	;; [unrolled: 4-line block ×4, first 2 shown]
	s_waitcnt lgkmcnt(1)
	v_fmac_f32_e32 v86, v98, v90
	s_set_gpr_idx_on s18, gpr_idx(SRC0)
	v_mov_b32_e32 v90, v19
	s_set_gpr_idx_off
	v_fmac_f32_e32 v86, v87, v91
	s_set_gpr_idx_on s19, gpr_idx(SRC0)
	v_mov_b32_e32 v91, v19
	s_set_gpr_idx_off
	;; [unrolled: 4-line block ×3, first 2 shown]
	v_fmac_f32_e32 v86, v100, v93
	s_add_u32 s8, s8, 8
	s_waitcnt lgkmcnt(0)
	v_fmac_f32_e32 v86, v101, v94
	v_add_u32_e32 v87, s8, v89
	v_fmac_f32_e32 v86, v90, v95
	s_addc_u32 s9, s9, 0
	s_add_i32 s12, s12, 32
	s_add_i32 s13, s8, -7
	v_cmp_eq_u32_e32 vcc, 19, v87
	v_fmac_f32_e32 v86, v91, v96
	v_mov_b32_e32 v87, s13
	s_or_b64 s[10:11], vcc, s[10:11]
	v_fmac_f32_e32 v86, v92, v97
	s_andn2_b64 exec, exec, s[10:11]
	s_cbranch_execnz .LBB16_57
; %bb.58:
	s_or_b64 exec, exec, s[10:11]
.LBB16_59:
	s_or_b64 exec, exec, s[0:1]
	v_and_b32_e32 v36, 7, v88
	v_cmp_ne_u32_e32 vcc, 0, v36
	s_and_saveexec_b64 s[8:9], vcc
	s_cbranch_execz .LBB16_63
; %bb.60:
	v_mov_b32_e32 v37, 0x50
	v_lshl_add_u32 v37, v87, 2, v37
	v_mov_b32_e32 v38, 0
	s_mov_b64 s[10:11], 0
.LBB16_61:                              ; =>This Inner Loop Header: Depth=1
	v_cmp_eq_u32_e32 vcc, 1, v87
	v_cndmask_b32_e32 v39, v19, v20, vcc
	v_add_u32_e32 v36, -1, v36
	v_cmp_eq_u32_e32 vcc, 2, v87
	v_cndmask_b32_e32 v39, v39, v21, vcc
	v_cmp_eq_u32_e32 vcc, 0, v36
	v_cmp_eq_u32_e64 s[0:1], 3, v87
	v_cndmask_b32_e64 v39, v39, v22, s[0:1]
	s_or_b64 s[10:11], vcc, s[10:11]
	v_cmp_eq_u32_e32 vcc, 4, v87
	v_cndmask_b32_e32 v39, v39, v23, vcc
	v_cmp_eq_u32_e32 vcc, 5, v87
	v_cndmask_b32_e32 v39, v39, v24, vcc
	;; [unrolled: 2-line block ×8, first 2 shown]
	v_cmp_eq_u32_e32 vcc, 12, v87
	ds_read_b32 v40, v37
	v_cndmask_b32_e32 v39, v39, v31, vcc
	v_cmp_eq_u32_e32 vcc, 13, v87
	v_cndmask_b32_e32 v39, v39, v32, vcc
	v_cmp_eq_u32_e32 vcc, 14, v87
	;; [unrolled: 2-line block ×4, first 2 shown]
	v_add_co_u32_e64 v87, s[0:1], 1, v87
	v_cndmask_b32_e32 v39, v39, v35, vcc
	v_add_u32_e32 v37, 4, v37
	v_addc_co_u32_e64 v38, s[0:1], 0, v38, s[0:1]
	s_waitcnt lgkmcnt(0)
	v_fmac_f32_e32 v86, v39, v40
	s_andn2_b64 exec, exec, s[10:11]
	s_cbranch_execnz .LBB16_61
; %bb.62:
	s_or_b64 exec, exec, s[10:11]
.LBB16_63:
	s_or_b64 exec, exec, s[8:9]
.LBB16_64:
	s_or_b64 exec, exec, s[6:7]
	v_mov_b32_e32 v30, 0
	ds_read_b32 v30, v30 offset:44
	s_waitcnt lgkmcnt(0)
	v_mul_f32_e32 v30, v86, v30
.LBB16_65:
	s_or_b64 exec, exec, s[4:5]
	v_cmp_lt_u32_e64 s[0:1], 10, v0
	ds_write_b32 v85, v29
	s_waitcnt lgkmcnt(0)
	; wave barrier
	s_and_saveexec_b64 s[4:5], s[0:1]
	s_cbranch_execz .LBB16_81
; %bb.66:
	s_andn2_b64 vcc, exec, s[38:39]
	s_cbranch_vccnz .LBB16_68
; %bb.67:
	v_cmp_eq_u32_e32 vcc, 1, v0
	v_cndmask_b32_e32 v86, v19, v20, vcc
	v_cmp_eq_u32_e32 vcc, 2, v0
	v_cndmask_b32_e32 v86, v86, v21, vcc
	;; [unrolled: 2-line block ×12, first 2 shown]
	v_cmp_eq_u32_e32 vcc, 13, v0
	ds_read_b32 v87, v85
	v_cndmask_b32_e32 v86, v86, v32, vcc
	v_cmp_eq_u32_e32 vcc, 14, v0
	v_cndmask_b32_e32 v86, v86, v33, vcc
	v_cmp_eq_u32_e32 vcc, 15, v0
	;; [unrolled: 2-line block ×3, first 2 shown]
	v_cndmask_b32_e32 v86, v86, v35, vcc
	s_waitcnt lgkmcnt(0)
	v_mul_f32_e32 v86, v86, v87
	s_cbranch_execz .LBB16_69
	s_branch .LBB16_70
.LBB16_68:
                                        ; implicit-def: $vgpr86
.LBB16_69:
	ds_read_b32 v86, v85
.LBB16_70:
	s_and_saveexec_b64 s[6:7], s[2:3]
	s_cbranch_execz .LBB16_80
; %bb.71:
	v_add_u32_e32 v87, -12, v0
	v_add_u32_e32 v88, -11, v0
	v_cmp_lt_u32_e32 vcc, 6, v87
	v_mov_b32_e32 v87, 11
	s_and_saveexec_b64 s[2:3], vcc
	s_cbranch_execz .LBB16_75
; %bb.72:
	v_and_b32_e32 v87, -8, v88
	v_sub_u32_e32 v89, 0, v87
	s_mov_b64 s[8:9], 18
	s_movk_i32 s12, 0x7c
	s_mov_b64 s[10:11], 0
.LBB16_73:                              ; =>This Inner Loop Header: Depth=1
	s_add_i32 s13, s8, -7
	v_mov_b32_e32 v87, s12
	s_add_i32 s14, s8, -6
	s_set_gpr_idx_on s13, gpr_idx(SRC0)
	v_mov_b32_e32 v96, v19
	s_set_gpr_idx_off
	ds_read2_b32 v[90:91], v87 offset1:1
	s_add_i32 s15, s8, -5
	s_set_gpr_idx_on s14, gpr_idx(SRC0)
	v_mov_b32_e32 v97, v19
	s_set_gpr_idx_off
	s_add_i32 s16, s8, -4
	s_set_gpr_idx_on s15, gpr_idx(SRC0)
	v_mov_b32_e32 v98, v19
	s_set_gpr_idx_off
	ds_read2_b32 v[92:93], v87 offset0:2 offset1:3
	s_add_i32 s17, s8, -3
	s_set_gpr_idx_on s16, gpr_idx(SRC0)
	v_mov_b32_e32 v99, v19
	s_set_gpr_idx_off
	s_add_i32 s18, s8, -2
	s_set_gpr_idx_on s17, gpr_idx(SRC0)
	v_mov_b32_e32 v100, v19
	s_set_gpr_idx_off
	ds_read2_b32 v[94:95], v87 offset0:4 offset1:5
	s_add_i32 s19, s8, -1
	s_waitcnt lgkmcnt(2)
	v_fmac_f32_e32 v86, v96, v90
	s_set_gpr_idx_on s18, gpr_idx(SRC0)
	v_mov_b32_e32 v96, v19
	s_set_gpr_idx_off
	v_fmac_f32_e32 v86, v97, v91
	s_set_gpr_idx_on s19, gpr_idx(SRC0)
	v_mov_b32_e32 v97, v19
	s_set_gpr_idx_off
	ds_read2_b32 v[90:91], v87 offset0:6 offset1:7
	s_waitcnt lgkmcnt(2)
	v_fmac_f32_e32 v86, v98, v92
	s_set_gpr_idx_on s8, gpr_idx(SRC0)
	v_mov_b32_e32 v92, v19
	s_set_gpr_idx_off
	v_fmac_f32_e32 v86, v99, v93
	s_add_u32 s8, s8, 8
	s_waitcnt lgkmcnt(1)
	v_fmac_f32_e32 v86, v100, v94
	v_add_u32_e32 v87, s8, v89
	v_fmac_f32_e32 v86, v96, v95
	s_addc_u32 s9, s9, 0
	s_add_i32 s12, s12, 32
	s_add_i32 s13, s8, -7
	v_cmp_eq_u32_e32 vcc, 18, v87
	s_waitcnt lgkmcnt(0)
	v_fmac_f32_e32 v86, v97, v90
	v_mov_b32_e32 v87, s13
	s_or_b64 s[10:11], vcc, s[10:11]
	v_fmac_f32_e32 v86, v92, v91
	s_andn2_b64 exec, exec, s[10:11]
	s_cbranch_execnz .LBB16_73
; %bb.74:
	s_or_b64 exec, exec, s[10:11]
.LBB16_75:
	s_or_b64 exec, exec, s[2:3]
	v_and_b32_e32 v36, 7, v88
	v_cmp_ne_u32_e32 vcc, 0, v36
	s_and_saveexec_b64 s[8:9], vcc
	s_cbranch_execz .LBB16_79
; %bb.76:
	v_mov_b32_e32 v37, 0x50
	v_lshl_add_u32 v37, v87, 2, v37
	v_mov_b32_e32 v38, 0
	s_mov_b64 s[10:11], 0
.LBB16_77:                              ; =>This Inner Loop Header: Depth=1
	v_cmp_eq_u32_e32 vcc, 1, v87
	v_cndmask_b32_e32 v39, v19, v20, vcc
	v_add_u32_e32 v36, -1, v36
	v_cmp_eq_u32_e32 vcc, 2, v87
	v_cndmask_b32_e32 v39, v39, v21, vcc
	v_cmp_eq_u32_e32 vcc, 0, v36
	v_cmp_eq_u32_e64 s[2:3], 3, v87
	v_cndmask_b32_e64 v39, v39, v22, s[2:3]
	s_or_b64 s[10:11], vcc, s[10:11]
	v_cmp_eq_u32_e32 vcc, 4, v87
	v_cndmask_b32_e32 v39, v39, v23, vcc
	v_cmp_eq_u32_e32 vcc, 5, v87
	v_cndmask_b32_e32 v39, v39, v24, vcc
	;; [unrolled: 2-line block ×8, first 2 shown]
	v_cmp_eq_u32_e32 vcc, 12, v87
	ds_read_b32 v40, v37
	v_cndmask_b32_e32 v39, v39, v31, vcc
	v_cmp_eq_u32_e32 vcc, 13, v87
	v_cndmask_b32_e32 v39, v39, v32, vcc
	v_cmp_eq_u32_e32 vcc, 14, v87
	;; [unrolled: 2-line block ×4, first 2 shown]
	v_add_co_u32_e64 v87, s[2:3], 1, v87
	v_cndmask_b32_e32 v39, v39, v35, vcc
	v_add_u32_e32 v37, 4, v37
	v_addc_co_u32_e64 v38, s[2:3], 0, v38, s[2:3]
	s_waitcnt lgkmcnt(0)
	v_fmac_f32_e32 v86, v39, v40
	s_andn2_b64 exec, exec, s[10:11]
	s_cbranch_execnz .LBB16_77
; %bb.78:
	s_or_b64 exec, exec, s[10:11]
.LBB16_79:
	s_or_b64 exec, exec, s[8:9]
.LBB16_80:
	s_or_b64 exec, exec, s[6:7]
	v_mov_b32_e32 v29, 0
	ds_read_b32 v29, v29 offset:40
	s_waitcnt lgkmcnt(0)
	v_mul_f32_e32 v29, v86, v29
.LBB16_81:
	s_or_b64 exec, exec, s[4:5]
	v_cmp_lt_u32_e64 s[2:3], 9, v0
	ds_write_b32 v85, v28
	s_waitcnt lgkmcnt(0)
	; wave barrier
	s_and_saveexec_b64 s[4:5], s[2:3]
	s_cbranch_execz .LBB16_97
; %bb.82:
	s_andn2_b64 vcc, exec, s[38:39]
	s_cbranch_vccnz .LBB16_84
; %bb.83:
	v_cmp_eq_u32_e32 vcc, 1, v0
	v_cndmask_b32_e32 v86, v19, v20, vcc
	v_cmp_eq_u32_e32 vcc, 2, v0
	v_cndmask_b32_e32 v86, v86, v21, vcc
	;; [unrolled: 2-line block ×12, first 2 shown]
	v_cmp_eq_u32_e32 vcc, 13, v0
	ds_read_b32 v87, v85
	v_cndmask_b32_e32 v86, v86, v32, vcc
	v_cmp_eq_u32_e32 vcc, 14, v0
	v_cndmask_b32_e32 v86, v86, v33, vcc
	v_cmp_eq_u32_e32 vcc, 15, v0
	;; [unrolled: 2-line block ×3, first 2 shown]
	v_cndmask_b32_e32 v86, v86, v35, vcc
	s_waitcnt lgkmcnt(0)
	v_mul_f32_e32 v86, v86, v87
	s_cbranch_execz .LBB16_85
	s_branch .LBB16_86
.LBB16_84:
                                        ; implicit-def: $vgpr86
.LBB16_85:
	ds_read_b32 v86, v85
.LBB16_86:
	s_and_saveexec_b64 s[6:7], s[0:1]
	s_cbranch_execz .LBB16_96
; %bb.87:
	v_add_u32_e32 v87, -11, v0
	v_add_u32_e32 v88, -10, v0
	v_cmp_lt_u32_e32 vcc, 6, v87
	v_mov_b32_e32 v87, 10
	s_and_saveexec_b64 s[0:1], vcc
	s_cbranch_execz .LBB16_91
; %bb.88:
	v_and_b32_e32 v87, -8, v88
	v_sub_u32_e32 v89, 0, v87
	s_mov_b64 s[8:9], 17
	s_movk_i32 s12, 0x78
	s_mov_b64 s[10:11], 0
.LBB16_89:                              ; =>This Inner Loop Header: Depth=1
	s_add_i32 s13, s8, -7
	v_mov_b32_e32 v87, s12
	s_add_i32 s14, s8, -6
	s_set_gpr_idx_on s13, gpr_idx(SRC0)
	v_mov_b32_e32 v98, v19
	s_set_gpr_idx_off
	ds_read2_b64 v[90:93], v87 offset1:1
	s_add_i32 s15, s8, -5
	s_set_gpr_idx_on s14, gpr_idx(SRC0)
	v_mov_b32_e32 v99, v19
	s_set_gpr_idx_off
	s_add_i32 s16, s8, -4
	s_set_gpr_idx_on s15, gpr_idx(SRC0)
	v_mov_b32_e32 v100, v19
	s_set_gpr_idx_off
	;; [unrolled: 4-line block ×4, first 2 shown]
	ds_read2_b64 v[94:97], v87 offset0:2 offset1:3
	s_add_i32 s19, s8, -1
	s_waitcnt lgkmcnt(1)
	v_fmac_f32_e32 v86, v98, v90
	s_set_gpr_idx_on s18, gpr_idx(SRC0)
	v_mov_b32_e32 v90, v19
	s_set_gpr_idx_off
	v_fmac_f32_e32 v86, v99, v91
	s_set_gpr_idx_on s19, gpr_idx(SRC0)
	v_mov_b32_e32 v91, v19
	s_set_gpr_idx_off
	;; [unrolled: 4-line block ×3, first 2 shown]
	v_fmac_f32_e32 v86, v101, v93
	s_add_u32 s8, s8, 8
	s_waitcnt lgkmcnt(0)
	v_fmac_f32_e32 v86, v102, v94
	v_add_u32_e32 v87, s8, v89
	v_fmac_f32_e32 v86, v90, v95
	s_addc_u32 s9, s9, 0
	s_add_i32 s12, s12, 32
	s_add_i32 s13, s8, -7
	v_cmp_eq_u32_e32 vcc, 17, v87
	v_fmac_f32_e32 v86, v91, v96
	v_mov_b32_e32 v87, s13
	s_or_b64 s[10:11], vcc, s[10:11]
	v_fmac_f32_e32 v86, v92, v97
	s_andn2_b64 exec, exec, s[10:11]
	s_cbranch_execnz .LBB16_89
; %bb.90:
	s_or_b64 exec, exec, s[10:11]
.LBB16_91:
	s_or_b64 exec, exec, s[0:1]
	v_and_b32_e32 v36, 7, v88
	v_cmp_ne_u32_e32 vcc, 0, v36
	s_and_saveexec_b64 s[8:9], vcc
	s_cbranch_execz .LBB16_95
; %bb.92:
	v_mov_b32_e32 v37, 0x50
	v_lshl_add_u32 v37, v87, 2, v37
	v_mov_b32_e32 v38, 0
	s_mov_b64 s[10:11], 0
.LBB16_93:                              ; =>This Inner Loop Header: Depth=1
	v_cmp_eq_u32_e32 vcc, 1, v87
	v_cndmask_b32_e32 v39, v19, v20, vcc
	v_add_u32_e32 v36, -1, v36
	v_cmp_eq_u32_e32 vcc, 2, v87
	v_cndmask_b32_e32 v39, v39, v21, vcc
	v_cmp_eq_u32_e32 vcc, 0, v36
	v_cmp_eq_u32_e64 s[0:1], 3, v87
	v_cndmask_b32_e64 v39, v39, v22, s[0:1]
	s_or_b64 s[10:11], vcc, s[10:11]
	v_cmp_eq_u32_e32 vcc, 4, v87
	v_cndmask_b32_e32 v39, v39, v23, vcc
	v_cmp_eq_u32_e32 vcc, 5, v87
	v_cndmask_b32_e32 v39, v39, v24, vcc
	;; [unrolled: 2-line block ×8, first 2 shown]
	v_cmp_eq_u32_e32 vcc, 12, v87
	ds_read_b32 v40, v37
	v_cndmask_b32_e32 v39, v39, v31, vcc
	v_cmp_eq_u32_e32 vcc, 13, v87
	v_cndmask_b32_e32 v39, v39, v32, vcc
	v_cmp_eq_u32_e32 vcc, 14, v87
	;; [unrolled: 2-line block ×4, first 2 shown]
	v_add_co_u32_e64 v87, s[0:1], 1, v87
	v_cndmask_b32_e32 v39, v39, v35, vcc
	v_add_u32_e32 v37, 4, v37
	v_addc_co_u32_e64 v38, s[0:1], 0, v38, s[0:1]
	s_waitcnt lgkmcnt(0)
	v_fmac_f32_e32 v86, v39, v40
	s_andn2_b64 exec, exec, s[10:11]
	s_cbranch_execnz .LBB16_93
; %bb.94:
	s_or_b64 exec, exec, s[10:11]
.LBB16_95:
	s_or_b64 exec, exec, s[8:9]
.LBB16_96:
	s_or_b64 exec, exec, s[6:7]
	v_mov_b32_e32 v28, 0
	ds_read_b32 v28, v28 offset:36
	s_waitcnt lgkmcnt(0)
	v_mul_f32_e32 v28, v86, v28
.LBB16_97:
	s_or_b64 exec, exec, s[4:5]
	v_cmp_lt_u32_e64 s[0:1], 8, v0
	ds_write_b32 v85, v27
	s_waitcnt lgkmcnt(0)
	; wave barrier
	s_and_saveexec_b64 s[4:5], s[0:1]
	s_cbranch_execz .LBB16_113
; %bb.98:
	s_andn2_b64 vcc, exec, s[38:39]
	s_cbranch_vccnz .LBB16_100
; %bb.99:
	v_cmp_eq_u32_e32 vcc, 1, v0
	v_cndmask_b32_e32 v86, v19, v20, vcc
	v_cmp_eq_u32_e32 vcc, 2, v0
	v_cndmask_b32_e32 v86, v86, v21, vcc
	;; [unrolled: 2-line block ×12, first 2 shown]
	v_cmp_eq_u32_e32 vcc, 13, v0
	ds_read_b32 v87, v85
	v_cndmask_b32_e32 v86, v86, v32, vcc
	v_cmp_eq_u32_e32 vcc, 14, v0
	v_cndmask_b32_e32 v86, v86, v33, vcc
	v_cmp_eq_u32_e32 vcc, 15, v0
	;; [unrolled: 2-line block ×3, first 2 shown]
	v_cndmask_b32_e32 v86, v86, v35, vcc
	s_waitcnt lgkmcnt(0)
	v_mul_f32_e32 v86, v86, v87
	s_cbranch_execz .LBB16_101
	s_branch .LBB16_102
.LBB16_100:
                                        ; implicit-def: $vgpr86
.LBB16_101:
	ds_read_b32 v86, v85
.LBB16_102:
	s_and_saveexec_b64 s[6:7], s[2:3]
	s_cbranch_execz .LBB16_112
; %bb.103:
	v_add_u32_e32 v87, -10, v0
	v_add_u32_e32 v88, -9, v0
	v_cmp_lt_u32_e32 vcc, 6, v87
	v_mov_b32_e32 v87, 9
	s_and_saveexec_b64 s[2:3], vcc
	s_cbranch_execz .LBB16_107
; %bb.104:
	v_and_b32_e32 v87, -8, v88
	v_sub_u32_e32 v89, 0, v87
	s_mov_b64 s[8:9], 16
	s_movk_i32 s12, 0x74
	s_mov_b64 s[10:11], 0
.LBB16_105:                             ; =>This Inner Loop Header: Depth=1
	s_add_i32 s13, s8, -7
	v_mov_b32_e32 v87, s12
	s_add_i32 s14, s8, -6
	s_set_gpr_idx_on s13, gpr_idx(SRC0)
	v_mov_b32_e32 v96, v19
	s_set_gpr_idx_off
	ds_read2_b32 v[90:91], v87 offset1:1
	s_add_i32 s15, s8, -5
	s_set_gpr_idx_on s14, gpr_idx(SRC0)
	v_mov_b32_e32 v97, v19
	s_set_gpr_idx_off
	s_add_i32 s16, s8, -4
	s_set_gpr_idx_on s15, gpr_idx(SRC0)
	v_mov_b32_e32 v98, v19
	s_set_gpr_idx_off
	ds_read2_b32 v[92:93], v87 offset0:2 offset1:3
	s_add_i32 s17, s8, -3
	s_set_gpr_idx_on s16, gpr_idx(SRC0)
	v_mov_b32_e32 v99, v19
	s_set_gpr_idx_off
	s_add_i32 s18, s8, -2
	s_set_gpr_idx_on s17, gpr_idx(SRC0)
	v_mov_b32_e32 v100, v19
	s_set_gpr_idx_off
	ds_read2_b32 v[94:95], v87 offset0:4 offset1:5
	s_add_i32 s19, s8, -1
	s_waitcnt lgkmcnt(2)
	v_fmac_f32_e32 v86, v96, v90
	s_set_gpr_idx_on s18, gpr_idx(SRC0)
	v_mov_b32_e32 v96, v19
	s_set_gpr_idx_off
	v_fmac_f32_e32 v86, v97, v91
	s_set_gpr_idx_on s19, gpr_idx(SRC0)
	v_mov_b32_e32 v97, v19
	s_set_gpr_idx_off
	ds_read2_b32 v[90:91], v87 offset0:6 offset1:7
	s_waitcnt lgkmcnt(2)
	v_fmac_f32_e32 v86, v98, v92
	s_set_gpr_idx_on s8, gpr_idx(SRC0)
	v_mov_b32_e32 v92, v19
	s_set_gpr_idx_off
	v_fmac_f32_e32 v86, v99, v93
	s_add_u32 s8, s8, 8
	s_waitcnt lgkmcnt(1)
	v_fmac_f32_e32 v86, v100, v94
	v_add_u32_e32 v87, s8, v89
	v_fmac_f32_e32 v86, v96, v95
	s_addc_u32 s9, s9, 0
	s_add_i32 s12, s12, 32
	s_add_i32 s13, s8, -7
	v_cmp_eq_u32_e32 vcc, 16, v87
	s_waitcnt lgkmcnt(0)
	v_fmac_f32_e32 v86, v97, v90
	v_mov_b32_e32 v87, s13
	s_or_b64 s[10:11], vcc, s[10:11]
	v_fmac_f32_e32 v86, v92, v91
	s_andn2_b64 exec, exec, s[10:11]
	s_cbranch_execnz .LBB16_105
; %bb.106:
	s_or_b64 exec, exec, s[10:11]
.LBB16_107:
	s_or_b64 exec, exec, s[2:3]
	v_and_b32_e32 v36, 7, v88
	v_cmp_ne_u32_e32 vcc, 0, v36
	s_and_saveexec_b64 s[8:9], vcc
	s_cbranch_execz .LBB16_111
; %bb.108:
	v_mov_b32_e32 v37, 0x50
	v_lshl_add_u32 v37, v87, 2, v37
	v_mov_b32_e32 v38, 0
	s_mov_b64 s[10:11], 0
.LBB16_109:                             ; =>This Inner Loop Header: Depth=1
	v_cmp_eq_u32_e32 vcc, 1, v87
	v_cndmask_b32_e32 v39, v19, v20, vcc
	v_add_u32_e32 v36, -1, v36
	v_cmp_eq_u32_e32 vcc, 2, v87
	v_cndmask_b32_e32 v39, v39, v21, vcc
	v_cmp_eq_u32_e32 vcc, 0, v36
	v_cmp_eq_u32_e64 s[2:3], 3, v87
	v_cndmask_b32_e64 v39, v39, v22, s[2:3]
	s_or_b64 s[10:11], vcc, s[10:11]
	v_cmp_eq_u32_e32 vcc, 4, v87
	v_cndmask_b32_e32 v39, v39, v23, vcc
	v_cmp_eq_u32_e32 vcc, 5, v87
	v_cndmask_b32_e32 v39, v39, v24, vcc
	;; [unrolled: 2-line block ×8, first 2 shown]
	v_cmp_eq_u32_e32 vcc, 12, v87
	ds_read_b32 v40, v37
	v_cndmask_b32_e32 v39, v39, v31, vcc
	v_cmp_eq_u32_e32 vcc, 13, v87
	v_cndmask_b32_e32 v39, v39, v32, vcc
	v_cmp_eq_u32_e32 vcc, 14, v87
	;; [unrolled: 2-line block ×4, first 2 shown]
	v_add_co_u32_e64 v87, s[2:3], 1, v87
	v_cndmask_b32_e32 v39, v39, v35, vcc
	v_add_u32_e32 v37, 4, v37
	v_addc_co_u32_e64 v38, s[2:3], 0, v38, s[2:3]
	s_waitcnt lgkmcnt(0)
	v_fmac_f32_e32 v86, v39, v40
	s_andn2_b64 exec, exec, s[10:11]
	s_cbranch_execnz .LBB16_109
; %bb.110:
	s_or_b64 exec, exec, s[10:11]
.LBB16_111:
	s_or_b64 exec, exec, s[8:9]
.LBB16_112:
	s_or_b64 exec, exec, s[6:7]
	v_mov_b32_e32 v27, 0
	ds_read_b32 v27, v27 offset:32
	s_waitcnt lgkmcnt(0)
	v_mul_f32_e32 v27, v86, v27
.LBB16_113:
	s_or_b64 exec, exec, s[4:5]
	v_cmp_lt_u32_e64 s[2:3], 7, v0
	ds_write_b32 v85, v26
	s_waitcnt lgkmcnt(0)
	; wave barrier
	s_and_saveexec_b64 s[4:5], s[2:3]
	s_cbranch_execz .LBB16_129
; %bb.114:
	s_andn2_b64 vcc, exec, s[38:39]
	s_cbranch_vccnz .LBB16_116
; %bb.115:
	v_cmp_eq_u32_e32 vcc, 1, v0
	v_cndmask_b32_e32 v86, v19, v20, vcc
	v_cmp_eq_u32_e32 vcc, 2, v0
	v_cndmask_b32_e32 v86, v86, v21, vcc
	;; [unrolled: 2-line block ×12, first 2 shown]
	v_cmp_eq_u32_e32 vcc, 13, v0
	ds_read_b32 v87, v85
	v_cndmask_b32_e32 v86, v86, v32, vcc
	v_cmp_eq_u32_e32 vcc, 14, v0
	v_cndmask_b32_e32 v86, v86, v33, vcc
	v_cmp_eq_u32_e32 vcc, 15, v0
	v_cndmask_b32_e32 v86, v86, v34, vcc
	v_cmp_eq_u32_e32 vcc, 16, v0
	v_cndmask_b32_e32 v86, v86, v35, vcc
	s_waitcnt lgkmcnt(0)
	v_mul_f32_e32 v86, v86, v87
	s_cbranch_execz .LBB16_117
	s_branch .LBB16_118
.LBB16_116:
                                        ; implicit-def: $vgpr86
.LBB16_117:
	ds_read_b32 v86, v85
.LBB16_118:
	s_and_saveexec_b64 s[6:7], s[0:1]
	s_cbranch_execz .LBB16_128
; %bb.119:
	v_add_u32_e32 v87, -9, v0
	v_cmp_lt_u32_e32 vcc, 6, v87
	v_mov_b32_e32 v87, 8
	s_and_saveexec_b64 s[0:1], vcc
	s_cbranch_execz .LBB16_123
; %bb.120:
	v_and_b32_e32 v87, 24, v0
	v_sub_u32_e32 v88, 0, v87
	s_mov_b64 s[8:9], 15
	s_movk_i32 s12, 0x70
	s_mov_b64 s[10:11], 0
.LBB16_121:                             ; =>This Inner Loop Header: Depth=1
	s_add_i32 s13, s8, -7
	v_mov_b32_e32 v87, s12
	s_add_i32 s14, s8, -6
	s_set_gpr_idx_on s13, gpr_idx(SRC0)
	v_mov_b32_e32 v97, v19
	s_set_gpr_idx_off
	s_add_i32 s15, s8, -5
	ds_read_b128 v[89:92], v87
	ds_read_b128 v[93:96], v87 offset:16
	s_set_gpr_idx_on s14, gpr_idx(SRC0)
	v_mov_b32_e32 v87, v19
	s_set_gpr_idx_off
	s_add_i32 s16, s8, -4
	s_set_gpr_idx_on s15, gpr_idx(SRC0)
	v_mov_b32_e32 v98, v19
	s_set_gpr_idx_off
	s_add_i32 s17, s8, -3
	;; [unrolled: 4-line block ×4, first 2 shown]
	s_waitcnt lgkmcnt(1)
	v_fmac_f32_e32 v86, v97, v89
	s_set_gpr_idx_on s18, gpr_idx(SRC0)
	v_mov_b32_e32 v89, v19
	s_set_gpr_idx_off
	v_fmac_f32_e32 v86, v87, v90
	s_set_gpr_idx_on s19, gpr_idx(SRC0)
	v_mov_b32_e32 v90, v19
	s_set_gpr_idx_off
	;; [unrolled: 4-line block ×3, first 2 shown]
	v_fmac_f32_e32 v86, v99, v92
	s_add_u32 s8, s8, 8
	s_waitcnt lgkmcnt(0)
	v_fmac_f32_e32 v86, v100, v93
	v_add_u32_e32 v87, s8, v88
	v_fmac_f32_e32 v86, v89, v94
	s_addc_u32 s9, s9, 0
	s_add_i32 s12, s12, 32
	s_add_i32 s13, s8, -7
	v_cmp_eq_u32_e32 vcc, 7, v87
	v_fmac_f32_e32 v86, v90, v95
	v_mov_b32_e32 v87, s13
	s_or_b64 s[10:11], vcc, s[10:11]
	v_fmac_f32_e32 v86, v91, v96
	s_andn2_b64 exec, exec, s[10:11]
	s_cbranch_execnz .LBB16_121
; %bb.122:
	s_or_b64 exec, exec, s[10:11]
.LBB16_123:
	s_or_b64 exec, exec, s[0:1]
	v_and_b32_e32 v36, 7, v0
	v_cmp_ne_u32_e32 vcc, 0, v36
	s_and_saveexec_b64 s[8:9], vcc
	s_cbranch_execz .LBB16_127
; %bb.124:
	v_mov_b32_e32 v37, 0x50
	v_lshl_add_u32 v37, v87, 2, v37
	v_mov_b32_e32 v38, 0
	s_mov_b64 s[10:11], 0
.LBB16_125:                             ; =>This Inner Loop Header: Depth=1
	v_cmp_eq_u32_e32 vcc, 1, v87
	v_cndmask_b32_e32 v39, v19, v20, vcc
	v_add_u32_e32 v36, -1, v36
	v_cmp_eq_u32_e32 vcc, 2, v87
	v_cndmask_b32_e32 v39, v39, v21, vcc
	v_cmp_eq_u32_e32 vcc, 0, v36
	v_cmp_eq_u32_e64 s[0:1], 3, v87
	v_cndmask_b32_e64 v39, v39, v22, s[0:1]
	s_or_b64 s[10:11], vcc, s[10:11]
	v_cmp_eq_u32_e32 vcc, 4, v87
	v_cndmask_b32_e32 v39, v39, v23, vcc
	v_cmp_eq_u32_e32 vcc, 5, v87
	v_cndmask_b32_e32 v39, v39, v24, vcc
	;; [unrolled: 2-line block ×8, first 2 shown]
	v_cmp_eq_u32_e32 vcc, 12, v87
	ds_read_b32 v40, v37
	v_cndmask_b32_e32 v39, v39, v31, vcc
	v_cmp_eq_u32_e32 vcc, 13, v87
	v_cndmask_b32_e32 v39, v39, v32, vcc
	v_cmp_eq_u32_e32 vcc, 14, v87
	;; [unrolled: 2-line block ×4, first 2 shown]
	v_add_co_u32_e64 v87, s[0:1], 1, v87
	v_cndmask_b32_e32 v39, v39, v35, vcc
	v_add_u32_e32 v37, 4, v37
	v_addc_co_u32_e64 v38, s[0:1], 0, v38, s[0:1]
	s_waitcnt lgkmcnt(0)
	v_fmac_f32_e32 v86, v39, v40
	s_andn2_b64 exec, exec, s[10:11]
	s_cbranch_execnz .LBB16_125
; %bb.126:
	s_or_b64 exec, exec, s[10:11]
.LBB16_127:
	s_or_b64 exec, exec, s[8:9]
.LBB16_128:
	s_or_b64 exec, exec, s[6:7]
	v_mov_b32_e32 v26, 0
	ds_read_b32 v26, v26 offset:28
	s_waitcnt lgkmcnt(0)
	v_mul_f32_e32 v26, v86, v26
.LBB16_129:
	s_or_b64 exec, exec, s[4:5]
	v_cmp_lt_u32_e64 s[0:1], 6, v0
	ds_write_b32 v85, v25
	s_waitcnt lgkmcnt(0)
	; wave barrier
	s_and_saveexec_b64 s[4:5], s[0:1]
	s_cbranch_execz .LBB16_145
; %bb.130:
	s_andn2_b64 vcc, exec, s[38:39]
	s_cbranch_vccnz .LBB16_132
; %bb.131:
	v_cmp_eq_u32_e32 vcc, 1, v0
	v_cndmask_b32_e32 v86, v19, v20, vcc
	v_cmp_eq_u32_e32 vcc, 2, v0
	v_cndmask_b32_e32 v86, v86, v21, vcc
	;; [unrolled: 2-line block ×12, first 2 shown]
	v_cmp_eq_u32_e32 vcc, 13, v0
	ds_read_b32 v87, v85
	v_cndmask_b32_e32 v86, v86, v32, vcc
	v_cmp_eq_u32_e32 vcc, 14, v0
	v_cndmask_b32_e32 v86, v86, v33, vcc
	v_cmp_eq_u32_e32 vcc, 15, v0
	;; [unrolled: 2-line block ×3, first 2 shown]
	v_cndmask_b32_e32 v86, v86, v35, vcc
	s_waitcnt lgkmcnt(0)
	v_mul_f32_e32 v86, v86, v87
	s_cbranch_execz .LBB16_133
	s_branch .LBB16_134
.LBB16_132:
                                        ; implicit-def: $vgpr86
.LBB16_133:
	ds_read_b32 v86, v85
.LBB16_134:
	s_and_saveexec_b64 s[6:7], s[2:3]
	s_cbranch_execz .LBB16_144
; %bb.135:
	v_add_u32_e32 v87, -8, v0
	v_add_u32_e32 v88, -7, v0
	v_cmp_lt_u32_e32 vcc, 6, v87
	v_mov_b32_e32 v87, 7
	s_and_saveexec_b64 s[2:3], vcc
	s_cbranch_execz .LBB16_139
; %bb.136:
	v_and_b32_e32 v87, -8, v88
	v_sub_u32_e32 v89, 0, v87
	s_mov_b64 s[8:9], 14
	s_movk_i32 s12, 0x6c
	s_mov_b64 s[10:11], 0
.LBB16_137:                             ; =>This Inner Loop Header: Depth=1
	s_add_i32 s13, s8, -7
	v_mov_b32_e32 v87, s12
	s_add_i32 s14, s8, -6
	s_set_gpr_idx_on s13, gpr_idx(SRC0)
	v_mov_b32_e32 v96, v19
	s_set_gpr_idx_off
	ds_read2_b32 v[90:91], v87 offset1:1
	s_add_i32 s15, s8, -5
	s_set_gpr_idx_on s14, gpr_idx(SRC0)
	v_mov_b32_e32 v97, v19
	s_set_gpr_idx_off
	s_add_i32 s16, s8, -4
	s_set_gpr_idx_on s15, gpr_idx(SRC0)
	v_mov_b32_e32 v98, v19
	s_set_gpr_idx_off
	ds_read2_b32 v[92:93], v87 offset0:2 offset1:3
	s_add_i32 s17, s8, -3
	s_set_gpr_idx_on s16, gpr_idx(SRC0)
	v_mov_b32_e32 v99, v19
	s_set_gpr_idx_off
	s_add_i32 s18, s8, -2
	s_set_gpr_idx_on s17, gpr_idx(SRC0)
	v_mov_b32_e32 v100, v19
	s_set_gpr_idx_off
	ds_read2_b32 v[94:95], v87 offset0:4 offset1:5
	s_add_i32 s19, s8, -1
	s_waitcnt lgkmcnt(2)
	v_fmac_f32_e32 v86, v96, v90
	s_set_gpr_idx_on s18, gpr_idx(SRC0)
	v_mov_b32_e32 v96, v19
	s_set_gpr_idx_off
	v_fmac_f32_e32 v86, v97, v91
	s_set_gpr_idx_on s19, gpr_idx(SRC0)
	v_mov_b32_e32 v97, v19
	s_set_gpr_idx_off
	ds_read2_b32 v[90:91], v87 offset0:6 offset1:7
	s_waitcnt lgkmcnt(2)
	v_fmac_f32_e32 v86, v98, v92
	s_set_gpr_idx_on s8, gpr_idx(SRC0)
	v_mov_b32_e32 v92, v19
	s_set_gpr_idx_off
	v_fmac_f32_e32 v86, v99, v93
	s_add_u32 s8, s8, 8
	s_waitcnt lgkmcnt(1)
	v_fmac_f32_e32 v86, v100, v94
	v_add_u32_e32 v87, s8, v89
	v_fmac_f32_e32 v86, v96, v95
	s_addc_u32 s9, s9, 0
	s_add_i32 s12, s12, 32
	s_add_i32 s13, s8, -7
	v_cmp_eq_u32_e32 vcc, 14, v87
	s_waitcnt lgkmcnt(0)
	v_fmac_f32_e32 v86, v97, v90
	v_mov_b32_e32 v87, s13
	s_or_b64 s[10:11], vcc, s[10:11]
	v_fmac_f32_e32 v86, v92, v91
	s_andn2_b64 exec, exec, s[10:11]
	s_cbranch_execnz .LBB16_137
; %bb.138:
	s_or_b64 exec, exec, s[10:11]
.LBB16_139:
	s_or_b64 exec, exec, s[2:3]
	v_and_b32_e32 v36, 7, v88
	v_cmp_ne_u32_e32 vcc, 0, v36
	s_and_saveexec_b64 s[8:9], vcc
	s_cbranch_execz .LBB16_143
; %bb.140:
	v_mov_b32_e32 v37, 0x50
	v_lshl_add_u32 v37, v87, 2, v37
	v_mov_b32_e32 v38, 0
	s_mov_b64 s[10:11], 0
.LBB16_141:                             ; =>This Inner Loop Header: Depth=1
	v_cmp_eq_u32_e32 vcc, 1, v87
	v_cndmask_b32_e32 v39, v19, v20, vcc
	v_add_u32_e32 v36, -1, v36
	v_cmp_eq_u32_e32 vcc, 2, v87
	v_cndmask_b32_e32 v39, v39, v21, vcc
	v_cmp_eq_u32_e32 vcc, 0, v36
	v_cmp_eq_u32_e64 s[2:3], 3, v87
	v_cndmask_b32_e64 v39, v39, v22, s[2:3]
	s_or_b64 s[10:11], vcc, s[10:11]
	v_cmp_eq_u32_e32 vcc, 4, v87
	v_cndmask_b32_e32 v39, v39, v23, vcc
	v_cmp_eq_u32_e32 vcc, 5, v87
	v_cndmask_b32_e32 v39, v39, v24, vcc
	;; [unrolled: 2-line block ×8, first 2 shown]
	v_cmp_eq_u32_e32 vcc, 12, v87
	ds_read_b32 v40, v37
	v_cndmask_b32_e32 v39, v39, v31, vcc
	v_cmp_eq_u32_e32 vcc, 13, v87
	v_cndmask_b32_e32 v39, v39, v32, vcc
	v_cmp_eq_u32_e32 vcc, 14, v87
	;; [unrolled: 2-line block ×4, first 2 shown]
	v_add_co_u32_e64 v87, s[2:3], 1, v87
	v_cndmask_b32_e32 v39, v39, v35, vcc
	v_add_u32_e32 v37, 4, v37
	v_addc_co_u32_e64 v38, s[2:3], 0, v38, s[2:3]
	s_waitcnt lgkmcnt(0)
	v_fmac_f32_e32 v86, v39, v40
	s_andn2_b64 exec, exec, s[10:11]
	s_cbranch_execnz .LBB16_141
; %bb.142:
	s_or_b64 exec, exec, s[10:11]
.LBB16_143:
	s_or_b64 exec, exec, s[8:9]
.LBB16_144:
	s_or_b64 exec, exec, s[6:7]
	v_mov_b32_e32 v25, 0
	ds_read_b32 v25, v25 offset:24
	s_waitcnt lgkmcnt(0)
	v_mul_f32_e32 v25, v86, v25
.LBB16_145:
	s_or_b64 exec, exec, s[4:5]
	v_cmp_lt_u32_e64 s[2:3], 5, v0
	ds_write_b32 v85, v24
	s_waitcnt lgkmcnt(0)
	; wave barrier
	s_and_saveexec_b64 s[4:5], s[2:3]
	s_cbranch_execz .LBB16_161
; %bb.146:
	s_andn2_b64 vcc, exec, s[38:39]
	s_cbranch_vccnz .LBB16_148
; %bb.147:
	v_cmp_eq_u32_e32 vcc, 1, v0
	v_cndmask_b32_e32 v86, v19, v20, vcc
	v_cmp_eq_u32_e32 vcc, 2, v0
	v_cndmask_b32_e32 v86, v86, v21, vcc
	;; [unrolled: 2-line block ×12, first 2 shown]
	v_cmp_eq_u32_e32 vcc, 13, v0
	ds_read_b32 v87, v85
	v_cndmask_b32_e32 v86, v86, v32, vcc
	v_cmp_eq_u32_e32 vcc, 14, v0
	v_cndmask_b32_e32 v86, v86, v33, vcc
	v_cmp_eq_u32_e32 vcc, 15, v0
	;; [unrolled: 2-line block ×3, first 2 shown]
	v_cndmask_b32_e32 v86, v86, v35, vcc
	s_waitcnt lgkmcnt(0)
	v_mul_f32_e32 v86, v86, v87
	s_cbranch_execz .LBB16_149
	s_branch .LBB16_150
.LBB16_148:
                                        ; implicit-def: $vgpr86
.LBB16_149:
	ds_read_b32 v86, v85
.LBB16_150:
	s_and_saveexec_b64 s[6:7], s[0:1]
	s_cbranch_execz .LBB16_160
; %bb.151:
	v_add_u32_e32 v89, -7, v0
	v_add_u32_e32 v88, -6, v0
	v_mov_b32_e32 v87, 6
	v_cmp_lt_u32_e32 vcc, 6, v89
	s_and_saveexec_b64 s[0:1], vcc
	s_cbranch_execz .LBB16_155
; %bb.152:
	v_and_b32_e32 v87, -8, v88
	v_sub_u32_e32 v89, 0, v87
	s_mov_b64 s[8:9], 13
	s_movk_i32 s12, 0x68
	s_mov_b64 s[10:11], 0
.LBB16_153:                             ; =>This Inner Loop Header: Depth=1
	s_add_i32 s13, s8, -7
	v_mov_b32_e32 v87, s12
	s_add_i32 s14, s8, -6
	s_set_gpr_idx_on s13, gpr_idx(SRC0)
	v_mov_b32_e32 v98, v19
	s_set_gpr_idx_off
	ds_read2_b64 v[90:93], v87 offset1:1
	s_add_i32 s15, s8, -5
	s_set_gpr_idx_on s14, gpr_idx(SRC0)
	v_mov_b32_e32 v99, v19
	s_set_gpr_idx_off
	s_add_i32 s16, s8, -4
	s_set_gpr_idx_on s15, gpr_idx(SRC0)
	v_mov_b32_e32 v100, v19
	s_set_gpr_idx_off
	;; [unrolled: 4-line block ×4, first 2 shown]
	ds_read2_b64 v[94:97], v87 offset0:2 offset1:3
	s_add_i32 s19, s8, -1
	s_waitcnt lgkmcnt(1)
	v_fmac_f32_e32 v86, v98, v90
	s_set_gpr_idx_on s18, gpr_idx(SRC0)
	v_mov_b32_e32 v90, v19
	s_set_gpr_idx_off
	v_fmac_f32_e32 v86, v99, v91
	s_set_gpr_idx_on s19, gpr_idx(SRC0)
	v_mov_b32_e32 v91, v19
	s_set_gpr_idx_off
	;; [unrolled: 4-line block ×3, first 2 shown]
	v_fmac_f32_e32 v86, v101, v93
	s_add_u32 s8, s8, 8
	s_waitcnt lgkmcnt(0)
	v_fmac_f32_e32 v86, v102, v94
	v_add_u32_e32 v87, s8, v89
	v_fmac_f32_e32 v86, v90, v95
	s_addc_u32 s9, s9, 0
	s_add_i32 s12, s12, 32
	s_add_i32 s13, s8, -7
	v_cmp_eq_u32_e32 vcc, 13, v87
	v_fmac_f32_e32 v86, v91, v96
	v_mov_b32_e32 v87, s13
	s_or_b64 s[10:11], vcc, s[10:11]
	v_fmac_f32_e32 v86, v92, v97
	s_andn2_b64 exec, exec, s[10:11]
	s_cbranch_execnz .LBB16_153
; %bb.154:
	s_or_b64 exec, exec, s[10:11]
.LBB16_155:
	s_or_b64 exec, exec, s[0:1]
	v_and_b32_e32 v36, 7, v88
	v_cmp_ne_u32_e32 vcc, 0, v36
	s_and_saveexec_b64 s[8:9], vcc
	s_cbranch_execz .LBB16_159
; %bb.156:
	v_mov_b32_e32 v37, 0x50
	v_lshl_add_u32 v37, v87, 2, v37
	v_mov_b32_e32 v38, 0
	s_mov_b64 s[10:11], 0
.LBB16_157:                             ; =>This Inner Loop Header: Depth=1
	v_cmp_eq_u32_e32 vcc, 1, v87
	v_cndmask_b32_e32 v39, v19, v20, vcc
	v_add_u32_e32 v36, -1, v36
	v_cmp_eq_u32_e32 vcc, 2, v87
	v_cndmask_b32_e32 v39, v39, v21, vcc
	v_cmp_eq_u32_e32 vcc, 0, v36
	v_cmp_eq_u32_e64 s[0:1], 3, v87
	v_cndmask_b32_e64 v39, v39, v22, s[0:1]
	s_or_b64 s[10:11], vcc, s[10:11]
	v_cmp_eq_u32_e32 vcc, 4, v87
	v_cndmask_b32_e32 v39, v39, v23, vcc
	v_cmp_eq_u32_e32 vcc, 5, v87
	v_cndmask_b32_e32 v39, v39, v24, vcc
	;; [unrolled: 2-line block ×8, first 2 shown]
	v_cmp_eq_u32_e32 vcc, 12, v87
	ds_read_b32 v40, v37
	v_cndmask_b32_e32 v39, v39, v31, vcc
	v_cmp_eq_u32_e32 vcc, 13, v87
	v_cndmask_b32_e32 v39, v39, v32, vcc
	v_cmp_eq_u32_e32 vcc, 14, v87
	;; [unrolled: 2-line block ×4, first 2 shown]
	v_add_co_u32_e64 v87, s[0:1], 1, v87
	v_cndmask_b32_e32 v39, v39, v35, vcc
	v_add_u32_e32 v37, 4, v37
	v_addc_co_u32_e64 v38, s[0:1], 0, v38, s[0:1]
	s_waitcnt lgkmcnt(0)
	v_fmac_f32_e32 v86, v39, v40
	s_andn2_b64 exec, exec, s[10:11]
	s_cbranch_execnz .LBB16_157
; %bb.158:
	s_or_b64 exec, exec, s[10:11]
.LBB16_159:
	s_or_b64 exec, exec, s[8:9]
.LBB16_160:
	s_or_b64 exec, exec, s[6:7]
	v_mov_b32_e32 v24, 0
	ds_read_b32 v24, v24 offset:20
	s_waitcnt lgkmcnt(0)
	v_mul_f32_e32 v24, v86, v24
.LBB16_161:
	s_or_b64 exec, exec, s[4:5]
	v_cmp_lt_u32_e64 s[0:1], 4, v0
	ds_write_b32 v85, v23
	s_waitcnt lgkmcnt(0)
	; wave barrier
	s_and_saveexec_b64 s[4:5], s[0:1]
	s_cbranch_execz .LBB16_177
; %bb.162:
	s_andn2_b64 vcc, exec, s[38:39]
	s_cbranch_vccnz .LBB16_164
; %bb.163:
	v_cmp_eq_u32_e32 vcc, 1, v0
	v_cndmask_b32_e32 v86, v19, v20, vcc
	v_cmp_eq_u32_e32 vcc, 2, v0
	v_cndmask_b32_e32 v86, v86, v21, vcc
	;; [unrolled: 2-line block ×12, first 2 shown]
	v_cmp_eq_u32_e32 vcc, 13, v0
	ds_read_b32 v87, v85
	v_cndmask_b32_e32 v86, v86, v32, vcc
	v_cmp_eq_u32_e32 vcc, 14, v0
	v_cndmask_b32_e32 v86, v86, v33, vcc
	v_cmp_eq_u32_e32 vcc, 15, v0
	;; [unrolled: 2-line block ×3, first 2 shown]
	v_cndmask_b32_e32 v86, v86, v35, vcc
	s_waitcnt lgkmcnt(0)
	v_mul_f32_e32 v86, v86, v87
	s_cbranch_execz .LBB16_165
	s_branch .LBB16_166
.LBB16_164:
                                        ; implicit-def: $vgpr86
.LBB16_165:
	ds_read_b32 v86, v85
.LBB16_166:
	s_and_saveexec_b64 s[6:7], s[2:3]
	s_cbranch_execz .LBB16_176
; %bb.167:
	v_add_u32_e32 v87, -6, v0
	v_add_u32_e32 v88, -5, v0
	v_cmp_lt_u32_e32 vcc, 6, v87
	v_mov_b32_e32 v87, 5
	s_and_saveexec_b64 s[2:3], vcc
	s_cbranch_execz .LBB16_171
; %bb.168:
	v_and_b32_e32 v87, -8, v88
	v_sub_u32_e32 v89, 0, v87
	s_mov_b64 s[8:9], 12
	s_movk_i32 s12, 0x64
	s_mov_b64 s[10:11], 0
.LBB16_169:                             ; =>This Inner Loop Header: Depth=1
	s_add_i32 s13, s8, -7
	v_mov_b32_e32 v87, s12
	s_add_i32 s14, s8, -6
	s_set_gpr_idx_on s13, gpr_idx(SRC0)
	v_mov_b32_e32 v96, v19
	s_set_gpr_idx_off
	ds_read2_b32 v[90:91], v87 offset1:1
	s_add_i32 s15, s8, -5
	s_set_gpr_idx_on s14, gpr_idx(SRC0)
	v_mov_b32_e32 v97, v19
	s_set_gpr_idx_off
	s_add_i32 s16, s8, -4
	s_set_gpr_idx_on s15, gpr_idx(SRC0)
	v_mov_b32_e32 v98, v19
	s_set_gpr_idx_off
	ds_read2_b32 v[92:93], v87 offset0:2 offset1:3
	s_add_i32 s17, s8, -3
	s_set_gpr_idx_on s16, gpr_idx(SRC0)
	v_mov_b32_e32 v99, v19
	s_set_gpr_idx_off
	s_add_i32 s18, s8, -2
	s_set_gpr_idx_on s17, gpr_idx(SRC0)
	v_mov_b32_e32 v100, v19
	s_set_gpr_idx_off
	ds_read2_b32 v[94:95], v87 offset0:4 offset1:5
	s_add_i32 s19, s8, -1
	s_waitcnt lgkmcnt(2)
	v_fmac_f32_e32 v86, v96, v90
	s_set_gpr_idx_on s18, gpr_idx(SRC0)
	v_mov_b32_e32 v96, v19
	s_set_gpr_idx_off
	v_fmac_f32_e32 v86, v97, v91
	s_set_gpr_idx_on s19, gpr_idx(SRC0)
	v_mov_b32_e32 v97, v19
	s_set_gpr_idx_off
	ds_read2_b32 v[90:91], v87 offset0:6 offset1:7
	s_waitcnt lgkmcnt(2)
	v_fmac_f32_e32 v86, v98, v92
	s_set_gpr_idx_on s8, gpr_idx(SRC0)
	v_mov_b32_e32 v92, v19
	s_set_gpr_idx_off
	v_fmac_f32_e32 v86, v99, v93
	s_add_u32 s8, s8, 8
	s_waitcnt lgkmcnt(1)
	v_fmac_f32_e32 v86, v100, v94
	v_add_u32_e32 v87, s8, v89
	v_fmac_f32_e32 v86, v96, v95
	s_addc_u32 s9, s9, 0
	s_add_i32 s12, s12, 32
	s_add_i32 s13, s8, -7
	v_cmp_eq_u32_e32 vcc, 12, v87
	s_waitcnt lgkmcnt(0)
	v_fmac_f32_e32 v86, v97, v90
	v_mov_b32_e32 v87, s13
	s_or_b64 s[10:11], vcc, s[10:11]
	v_fmac_f32_e32 v86, v92, v91
	s_andn2_b64 exec, exec, s[10:11]
	s_cbranch_execnz .LBB16_169
; %bb.170:
	s_or_b64 exec, exec, s[10:11]
.LBB16_171:
	s_or_b64 exec, exec, s[2:3]
	v_and_b32_e32 v36, 7, v88
	v_cmp_ne_u32_e32 vcc, 0, v36
	s_and_saveexec_b64 s[8:9], vcc
	s_cbranch_execz .LBB16_175
; %bb.172:
	v_mov_b32_e32 v37, 0x50
	v_lshl_add_u32 v37, v87, 2, v37
	v_mov_b32_e32 v38, 0
	s_mov_b64 s[10:11], 0
.LBB16_173:                             ; =>This Inner Loop Header: Depth=1
	v_cmp_eq_u32_e32 vcc, 1, v87
	v_cndmask_b32_e32 v39, v19, v20, vcc
	v_add_u32_e32 v36, -1, v36
	v_cmp_eq_u32_e32 vcc, 2, v87
	v_cndmask_b32_e32 v39, v39, v21, vcc
	v_cmp_eq_u32_e32 vcc, 0, v36
	v_cmp_eq_u32_e64 s[2:3], 3, v87
	v_cndmask_b32_e64 v39, v39, v22, s[2:3]
	s_or_b64 s[10:11], vcc, s[10:11]
	v_cmp_eq_u32_e32 vcc, 4, v87
	v_cndmask_b32_e32 v39, v39, v23, vcc
	v_cmp_eq_u32_e32 vcc, 5, v87
	v_cndmask_b32_e32 v39, v39, v24, vcc
	;; [unrolled: 2-line block ×8, first 2 shown]
	v_cmp_eq_u32_e32 vcc, 12, v87
	ds_read_b32 v40, v37
	v_cndmask_b32_e32 v39, v39, v31, vcc
	v_cmp_eq_u32_e32 vcc, 13, v87
	v_cndmask_b32_e32 v39, v39, v32, vcc
	v_cmp_eq_u32_e32 vcc, 14, v87
	;; [unrolled: 2-line block ×4, first 2 shown]
	v_add_co_u32_e64 v87, s[2:3], 1, v87
	v_cndmask_b32_e32 v39, v39, v35, vcc
	v_add_u32_e32 v37, 4, v37
	v_addc_co_u32_e64 v38, s[2:3], 0, v38, s[2:3]
	s_waitcnt lgkmcnt(0)
	v_fmac_f32_e32 v86, v39, v40
	s_andn2_b64 exec, exec, s[10:11]
	s_cbranch_execnz .LBB16_173
; %bb.174:
	s_or_b64 exec, exec, s[10:11]
.LBB16_175:
	s_or_b64 exec, exec, s[8:9]
.LBB16_176:
	s_or_b64 exec, exec, s[6:7]
	v_mov_b32_e32 v23, 0
	ds_read_b32 v23, v23 offset:16
	s_waitcnt lgkmcnt(0)
	v_mul_f32_e32 v23, v86, v23
.LBB16_177:
	s_or_b64 exec, exec, s[4:5]
	v_cmp_lt_u32_e64 s[2:3], 3, v0
	ds_write_b32 v85, v22
	s_waitcnt lgkmcnt(0)
	; wave barrier
	s_and_saveexec_b64 s[4:5], s[2:3]
	s_cbranch_execz .LBB16_193
; %bb.178:
	s_andn2_b64 vcc, exec, s[38:39]
	s_cbranch_vccnz .LBB16_180
; %bb.179:
	v_cmp_eq_u32_e32 vcc, 1, v0
	v_cndmask_b32_e32 v86, v19, v20, vcc
	v_cmp_eq_u32_e32 vcc, 2, v0
	v_cndmask_b32_e32 v86, v86, v21, vcc
	;; [unrolled: 2-line block ×12, first 2 shown]
	v_cmp_eq_u32_e32 vcc, 13, v0
	ds_read_b32 v87, v85
	v_cndmask_b32_e32 v86, v86, v32, vcc
	v_cmp_eq_u32_e32 vcc, 14, v0
	v_cndmask_b32_e32 v86, v86, v33, vcc
	v_cmp_eq_u32_e32 vcc, 15, v0
	;; [unrolled: 2-line block ×3, first 2 shown]
	v_cndmask_b32_e32 v86, v86, v35, vcc
	s_waitcnt lgkmcnt(0)
	v_mul_f32_e32 v86, v86, v87
	s_cbranch_execz .LBB16_181
	s_branch .LBB16_182
.LBB16_180:
                                        ; implicit-def: $vgpr86
.LBB16_181:
	ds_read_b32 v86, v85
.LBB16_182:
	s_and_saveexec_b64 s[6:7], s[0:1]
	s_cbranch_execz .LBB16_192
; %bb.183:
	v_add_u32_e32 v87, -5, v0
	v_add_u32_e32 v88, -4, v0
	v_cmp_lt_u32_e32 vcc, 6, v87
	v_mov_b32_e32 v87, 4
	s_and_saveexec_b64 s[0:1], vcc
	s_cbranch_execz .LBB16_187
; %bb.184:
	v_and_b32_e32 v87, -8, v88
	v_sub_u32_e32 v89, 0, v87
	s_mov_b64 s[8:9], 5
	s_movk_i32 s12, 0x60
	s_mov_b64 s[10:11], 0
.LBB16_185:                             ; =>This Inner Loop Header: Depth=1
	s_add_i32 s13, s8, -1
	v_mov_b32_e32 v87, s12
	s_set_gpr_idx_on s13, gpr_idx(SRC0)
	v_mov_b32_e32 v98, v19
	s_set_gpr_idx_off
	s_add_i32 s14, s8, 1
	ds_read_b128 v[90:93], v87
	ds_read_b128 v[94:97], v87 offset:16
	s_set_gpr_idx_on s8, gpr_idx(SRC0)
	v_mov_b32_e32 v99, v19
	s_set_gpr_idx_off
	s_add_i32 s15, s8, 2
	s_set_gpr_idx_on s14, gpr_idx(SRC0)
	v_mov_b32_e32 v100, v19
	s_set_gpr_idx_off
	s_add_i32 s16, s8, 3
	;; [unrolled: 4-line block ×4, first 2 shown]
	s_waitcnt lgkmcnt(1)
	v_fmac_f32_e32 v86, v98, v90
	s_set_gpr_idx_on s17, gpr_idx(SRC0)
	v_mov_b32_e32 v90, v19
	s_set_gpr_idx_off
	s_add_i32 s19, s8, 6
	v_fmac_f32_e32 v86, v99, v91
	s_set_gpr_idx_on s18, gpr_idx(SRC0)
	v_mov_b32_e32 v91, v19
	s_set_gpr_idx_off
	v_fmac_f32_e32 v86, v100, v92
	s_set_gpr_idx_on s19, gpr_idx(SRC0)
	v_mov_b32_e32 v92, v19
	s_set_gpr_idx_off
	v_fmac_f32_e32 v86, v101, v93
	s_add_u32 s8, s8, 8
	s_waitcnt lgkmcnt(0)
	v_fmac_f32_e32 v86, v102, v94
	v_add_u32_e32 v87, s8, v89
	v_fmac_f32_e32 v86, v90, v95
	s_addc_u32 s9, s9, 0
	s_add_i32 s12, s12, 32
	s_add_i32 s13, s8, -1
	v_cmp_eq_u32_e32 vcc, 5, v87
	v_fmac_f32_e32 v86, v91, v96
	v_mov_b32_e32 v87, s13
	s_or_b64 s[10:11], vcc, s[10:11]
	v_fmac_f32_e32 v86, v92, v97
	s_andn2_b64 exec, exec, s[10:11]
	s_cbranch_execnz .LBB16_185
; %bb.186:
	s_or_b64 exec, exec, s[10:11]
.LBB16_187:
	s_or_b64 exec, exec, s[0:1]
	v_and_b32_e32 v36, 7, v88
	v_cmp_ne_u32_e32 vcc, 0, v36
	s_and_saveexec_b64 s[8:9], vcc
	s_cbranch_execz .LBB16_191
; %bb.188:
	v_mov_b32_e32 v37, 0x50
	v_lshl_add_u32 v37, v87, 2, v37
	v_mov_b32_e32 v38, 0
	s_mov_b64 s[10:11], 0
.LBB16_189:                             ; =>This Inner Loop Header: Depth=1
	v_cmp_eq_u32_e32 vcc, 1, v87
	v_cndmask_b32_e32 v39, v19, v20, vcc
	v_add_u32_e32 v36, -1, v36
	v_cmp_eq_u32_e32 vcc, 2, v87
	v_cndmask_b32_e32 v39, v39, v21, vcc
	v_cmp_eq_u32_e32 vcc, 0, v36
	v_cmp_eq_u32_e64 s[0:1], 3, v87
	v_cndmask_b32_e64 v39, v39, v22, s[0:1]
	s_or_b64 s[10:11], vcc, s[10:11]
	v_cmp_eq_u32_e32 vcc, 4, v87
	v_cndmask_b32_e32 v39, v39, v23, vcc
	v_cmp_eq_u32_e32 vcc, 5, v87
	v_cndmask_b32_e32 v39, v39, v24, vcc
	v_cmp_eq_u32_e32 vcc, 6, v87
	v_cndmask_b32_e32 v39, v39, v25, vcc
	v_cmp_eq_u32_e32 vcc, 7, v87
	v_cndmask_b32_e32 v39, v39, v26, vcc
	v_cmp_eq_u32_e32 vcc, 8, v87
	v_cndmask_b32_e32 v39, v39, v27, vcc
	v_cmp_eq_u32_e32 vcc, 9, v87
	v_cndmask_b32_e32 v39, v39, v28, vcc
	v_cmp_eq_u32_e32 vcc, 10, v87
	v_cndmask_b32_e32 v39, v39, v29, vcc
	v_cmp_eq_u32_e32 vcc, 11, v87
	v_cndmask_b32_e32 v39, v39, v30, vcc
	v_cmp_eq_u32_e32 vcc, 12, v87
	ds_read_b32 v40, v37
	v_cndmask_b32_e32 v39, v39, v31, vcc
	v_cmp_eq_u32_e32 vcc, 13, v87
	v_cndmask_b32_e32 v39, v39, v32, vcc
	v_cmp_eq_u32_e32 vcc, 14, v87
	;; [unrolled: 2-line block ×4, first 2 shown]
	v_add_co_u32_e64 v87, s[0:1], 1, v87
	v_cndmask_b32_e32 v39, v39, v35, vcc
	v_add_u32_e32 v37, 4, v37
	v_addc_co_u32_e64 v38, s[0:1], 0, v38, s[0:1]
	s_waitcnt lgkmcnt(0)
	v_fmac_f32_e32 v86, v39, v40
	s_andn2_b64 exec, exec, s[10:11]
	s_cbranch_execnz .LBB16_189
; %bb.190:
	s_or_b64 exec, exec, s[10:11]
.LBB16_191:
	s_or_b64 exec, exec, s[8:9]
.LBB16_192:
	s_or_b64 exec, exec, s[6:7]
	v_mov_b32_e32 v22, 0
	ds_read_b32 v22, v22 offset:12
	s_waitcnt lgkmcnt(0)
	v_mul_f32_e32 v22, v86, v22
.LBB16_193:
	s_or_b64 exec, exec, s[4:5]
	v_cmp_lt_u32_e64 s[0:1], 2, v0
	ds_write_b32 v85, v21
	s_waitcnt lgkmcnt(0)
	; wave barrier
	s_and_saveexec_b64 s[4:5], s[0:1]
	s_cbranch_execz .LBB16_209
; %bb.194:
	s_andn2_b64 vcc, exec, s[38:39]
	s_cbranch_vccnz .LBB16_196
; %bb.195:
	v_cmp_eq_u32_e32 vcc, 1, v0
	v_cndmask_b32_e32 v86, v19, v20, vcc
	v_cmp_eq_u32_e32 vcc, 2, v0
	v_cndmask_b32_e32 v86, v86, v21, vcc
	;; [unrolled: 2-line block ×12, first 2 shown]
	v_cmp_eq_u32_e32 vcc, 13, v0
	ds_read_b32 v87, v85
	v_cndmask_b32_e32 v86, v86, v32, vcc
	v_cmp_eq_u32_e32 vcc, 14, v0
	v_cndmask_b32_e32 v86, v86, v33, vcc
	v_cmp_eq_u32_e32 vcc, 15, v0
	;; [unrolled: 2-line block ×3, first 2 shown]
	v_cndmask_b32_e32 v86, v86, v35, vcc
	s_waitcnt lgkmcnt(0)
	v_mul_f32_e32 v86, v86, v87
	s_cbranch_execz .LBB16_197
	s_branch .LBB16_198
.LBB16_196:
                                        ; implicit-def: $vgpr86
.LBB16_197:
	ds_read_b32 v86, v85
.LBB16_198:
	s_and_saveexec_b64 s[6:7], s[2:3]
	s_cbranch_execz .LBB16_208
; %bb.199:
	v_add_u32_e32 v87, -4, v0
	v_add_u32_e32 v88, -3, v0
	v_cmp_lt_u32_e32 vcc, 6, v87
	v_mov_b32_e32 v87, 3
	s_and_saveexec_b64 s[2:3], vcc
	s_cbranch_execz .LBB16_203
; %bb.200:
	v_and_b32_e32 v87, -8, v88
	v_sub_u32_e32 v89, 0, v87
	s_mov_b64 s[8:9], 10
	s_movk_i32 s12, 0x5c
	s_mov_b64 s[10:11], 0
.LBB16_201:                             ; =>This Inner Loop Header: Depth=1
	s_add_i32 s13, s8, -7
	v_mov_b32_e32 v87, s12
	s_add_i32 s14, s8, -6
	s_set_gpr_idx_on s13, gpr_idx(SRC0)
	v_mov_b32_e32 v96, v19
	s_set_gpr_idx_off
	ds_read2_b32 v[90:91], v87 offset1:1
	s_add_i32 s15, s8, -5
	s_set_gpr_idx_on s14, gpr_idx(SRC0)
	v_mov_b32_e32 v97, v19
	s_set_gpr_idx_off
	s_add_i32 s16, s8, -4
	s_set_gpr_idx_on s15, gpr_idx(SRC0)
	v_mov_b32_e32 v98, v19
	s_set_gpr_idx_off
	ds_read2_b32 v[92:93], v87 offset0:2 offset1:3
	s_add_i32 s17, s8, -3
	s_set_gpr_idx_on s16, gpr_idx(SRC0)
	v_mov_b32_e32 v99, v19
	s_set_gpr_idx_off
	s_add_i32 s18, s8, -2
	s_set_gpr_idx_on s17, gpr_idx(SRC0)
	v_mov_b32_e32 v100, v19
	s_set_gpr_idx_off
	ds_read2_b32 v[94:95], v87 offset0:4 offset1:5
	s_add_i32 s19, s8, -1
	s_waitcnt lgkmcnt(2)
	v_fmac_f32_e32 v86, v96, v90
	s_set_gpr_idx_on s18, gpr_idx(SRC0)
	v_mov_b32_e32 v96, v19
	s_set_gpr_idx_off
	v_fmac_f32_e32 v86, v97, v91
	s_set_gpr_idx_on s19, gpr_idx(SRC0)
	v_mov_b32_e32 v97, v19
	s_set_gpr_idx_off
	ds_read2_b32 v[90:91], v87 offset0:6 offset1:7
	s_waitcnt lgkmcnt(2)
	v_fmac_f32_e32 v86, v98, v92
	s_set_gpr_idx_on s8, gpr_idx(SRC0)
	v_mov_b32_e32 v92, v19
	s_set_gpr_idx_off
	v_fmac_f32_e32 v86, v99, v93
	s_add_u32 s8, s8, 8
	s_waitcnt lgkmcnt(1)
	v_fmac_f32_e32 v86, v100, v94
	v_add_u32_e32 v87, s8, v89
	v_fmac_f32_e32 v86, v96, v95
	s_addc_u32 s9, s9, 0
	s_add_i32 s12, s12, 32
	s_add_i32 s13, s8, -7
	v_cmp_eq_u32_e32 vcc, 10, v87
	s_waitcnt lgkmcnt(0)
	v_fmac_f32_e32 v86, v97, v90
	v_mov_b32_e32 v87, s13
	s_or_b64 s[10:11], vcc, s[10:11]
	v_fmac_f32_e32 v86, v92, v91
	s_andn2_b64 exec, exec, s[10:11]
	s_cbranch_execnz .LBB16_201
; %bb.202:
	s_or_b64 exec, exec, s[10:11]
.LBB16_203:
	s_or_b64 exec, exec, s[2:3]
	v_and_b32_e32 v36, 7, v88
	v_cmp_ne_u32_e32 vcc, 0, v36
	s_and_saveexec_b64 s[8:9], vcc
	s_cbranch_execz .LBB16_207
; %bb.204:
	v_mov_b32_e32 v37, 0x50
	v_lshl_add_u32 v37, v87, 2, v37
	v_mov_b32_e32 v38, 0
	s_mov_b64 s[10:11], 0
.LBB16_205:                             ; =>This Inner Loop Header: Depth=1
	v_cmp_eq_u32_e32 vcc, 1, v87
	v_cndmask_b32_e32 v39, v19, v20, vcc
	v_add_u32_e32 v36, -1, v36
	v_cmp_eq_u32_e32 vcc, 2, v87
	v_cndmask_b32_e32 v39, v39, v21, vcc
	v_cmp_eq_u32_e32 vcc, 0, v36
	v_cmp_eq_u32_e64 s[2:3], 3, v87
	v_cndmask_b32_e64 v39, v39, v22, s[2:3]
	s_or_b64 s[10:11], vcc, s[10:11]
	v_cmp_eq_u32_e32 vcc, 4, v87
	v_cndmask_b32_e32 v39, v39, v23, vcc
	v_cmp_eq_u32_e32 vcc, 5, v87
	v_cndmask_b32_e32 v39, v39, v24, vcc
	;; [unrolled: 2-line block ×8, first 2 shown]
	v_cmp_eq_u32_e32 vcc, 12, v87
	ds_read_b32 v40, v37
	v_cndmask_b32_e32 v39, v39, v31, vcc
	v_cmp_eq_u32_e32 vcc, 13, v87
	v_cndmask_b32_e32 v39, v39, v32, vcc
	v_cmp_eq_u32_e32 vcc, 14, v87
	;; [unrolled: 2-line block ×4, first 2 shown]
	v_add_co_u32_e64 v87, s[2:3], 1, v87
	v_cndmask_b32_e32 v39, v39, v35, vcc
	v_add_u32_e32 v37, 4, v37
	v_addc_co_u32_e64 v38, s[2:3], 0, v38, s[2:3]
	s_waitcnt lgkmcnt(0)
	v_fmac_f32_e32 v86, v39, v40
	s_andn2_b64 exec, exec, s[10:11]
	s_cbranch_execnz .LBB16_205
; %bb.206:
	s_or_b64 exec, exec, s[10:11]
.LBB16_207:
	s_or_b64 exec, exec, s[8:9]
.LBB16_208:
	s_or_b64 exec, exec, s[6:7]
	v_mov_b32_e32 v21, 0
	ds_read_b32 v21, v21 offset:8
	s_waitcnt lgkmcnt(0)
	v_mul_f32_e32 v21, v86, v21
.LBB16_209:
	s_or_b64 exec, exec, s[4:5]
	v_cmp_lt_u32_e64 s[2:3], 1, v0
	ds_write_b32 v85, v20
	s_waitcnt lgkmcnt(0)
	; wave barrier
	s_and_saveexec_b64 s[4:5], s[2:3]
	s_cbranch_execz .LBB16_225
; %bb.210:
	s_andn2_b64 vcc, exec, s[38:39]
	s_cbranch_vccnz .LBB16_212
; %bb.211:
	v_cmp_eq_u32_e32 vcc, 1, v0
	v_cndmask_b32_e32 v86, v19, v20, vcc
	v_cmp_eq_u32_e32 vcc, 2, v0
	v_cndmask_b32_e32 v86, v86, v21, vcc
	;; [unrolled: 2-line block ×12, first 2 shown]
	v_cmp_eq_u32_e32 vcc, 13, v0
	ds_read_b32 v87, v85
	v_cndmask_b32_e32 v86, v86, v32, vcc
	v_cmp_eq_u32_e32 vcc, 14, v0
	v_cndmask_b32_e32 v86, v86, v33, vcc
	v_cmp_eq_u32_e32 vcc, 15, v0
	;; [unrolled: 2-line block ×3, first 2 shown]
	v_cndmask_b32_e32 v86, v86, v35, vcc
	s_waitcnt lgkmcnt(0)
	v_mul_f32_e32 v86, v86, v87
	s_cbranch_execz .LBB16_213
	s_branch .LBB16_214
.LBB16_212:
                                        ; implicit-def: $vgpr86
.LBB16_213:
	ds_read_b32 v86, v85
.LBB16_214:
	s_and_saveexec_b64 s[6:7], s[0:1]
	s_cbranch_execz .LBB16_224
; %bb.215:
	v_add_u32_e32 v87, -3, v0
	v_add_u32_e32 v88, -2, v0
	v_cmp_lt_u32_e32 vcc, 6, v87
	v_mov_b32_e32 v87, 2
	s_and_saveexec_b64 s[0:1], vcc
	s_cbranch_execz .LBB16_219
; %bb.216:
	v_and_b32_e32 v87, -8, v88
	v_sub_u32_e32 v89, 0, v87
	s_mov_b64 s[8:9], 9
	s_movk_i32 s12, 0x58
	s_mov_b64 s[10:11], 0
.LBB16_217:                             ; =>This Inner Loop Header: Depth=1
	s_add_i32 s13, s8, -7
	v_mov_b32_e32 v87, s12
	s_add_i32 s14, s8, -6
	s_set_gpr_idx_on s13, gpr_idx(SRC0)
	v_mov_b32_e32 v98, v19
	s_set_gpr_idx_off
	ds_read2_b64 v[90:93], v87 offset1:1
	s_add_i32 s15, s8, -5
	s_set_gpr_idx_on s14, gpr_idx(SRC0)
	v_mov_b32_e32 v99, v19
	s_set_gpr_idx_off
	s_add_i32 s16, s8, -4
	s_set_gpr_idx_on s15, gpr_idx(SRC0)
	v_mov_b32_e32 v100, v19
	s_set_gpr_idx_off
	;; [unrolled: 4-line block ×4, first 2 shown]
	ds_read2_b64 v[94:97], v87 offset0:2 offset1:3
	s_add_i32 s19, s8, -1
	s_waitcnt lgkmcnt(1)
	v_fmac_f32_e32 v86, v98, v90
	s_set_gpr_idx_on s18, gpr_idx(SRC0)
	v_mov_b32_e32 v90, v19
	s_set_gpr_idx_off
	v_fmac_f32_e32 v86, v99, v91
	s_set_gpr_idx_on s19, gpr_idx(SRC0)
	v_mov_b32_e32 v91, v19
	s_set_gpr_idx_off
	;; [unrolled: 4-line block ×3, first 2 shown]
	v_fmac_f32_e32 v86, v101, v93
	s_add_u32 s8, s8, 8
	s_waitcnt lgkmcnt(0)
	v_fmac_f32_e32 v86, v102, v94
	v_add_u32_e32 v87, s8, v89
	v_fmac_f32_e32 v86, v90, v95
	s_addc_u32 s9, s9, 0
	s_add_i32 s12, s12, 32
	s_add_i32 s13, s8, -7
	v_cmp_eq_u32_e32 vcc, 9, v87
	v_fmac_f32_e32 v86, v91, v96
	v_mov_b32_e32 v87, s13
	s_or_b64 s[10:11], vcc, s[10:11]
	v_fmac_f32_e32 v86, v92, v97
	s_andn2_b64 exec, exec, s[10:11]
	s_cbranch_execnz .LBB16_217
; %bb.218:
	s_or_b64 exec, exec, s[10:11]
.LBB16_219:
	s_or_b64 exec, exec, s[0:1]
	v_and_b32_e32 v36, 7, v88
	v_cmp_ne_u32_e32 vcc, 0, v36
	s_and_saveexec_b64 s[8:9], vcc
	s_cbranch_execz .LBB16_223
; %bb.220:
	v_mov_b32_e32 v37, 0x50
	v_lshl_add_u32 v37, v87, 2, v37
	v_mov_b32_e32 v38, 0
	s_mov_b64 s[10:11], 0
.LBB16_221:                             ; =>This Inner Loop Header: Depth=1
	v_cmp_eq_u32_e32 vcc, 1, v87
	v_cndmask_b32_e32 v39, v19, v20, vcc
	v_add_u32_e32 v36, -1, v36
	v_cmp_eq_u32_e32 vcc, 2, v87
	v_cndmask_b32_e32 v39, v39, v21, vcc
	v_cmp_eq_u32_e32 vcc, 0, v36
	v_cmp_eq_u32_e64 s[0:1], 3, v87
	v_cndmask_b32_e64 v39, v39, v22, s[0:1]
	s_or_b64 s[10:11], vcc, s[10:11]
	v_cmp_eq_u32_e32 vcc, 4, v87
	v_cndmask_b32_e32 v39, v39, v23, vcc
	v_cmp_eq_u32_e32 vcc, 5, v87
	v_cndmask_b32_e32 v39, v39, v24, vcc
	;; [unrolled: 2-line block ×8, first 2 shown]
	v_cmp_eq_u32_e32 vcc, 12, v87
	ds_read_b32 v40, v37
	v_cndmask_b32_e32 v39, v39, v31, vcc
	v_cmp_eq_u32_e32 vcc, 13, v87
	v_cndmask_b32_e32 v39, v39, v32, vcc
	v_cmp_eq_u32_e32 vcc, 14, v87
	;; [unrolled: 2-line block ×4, first 2 shown]
	v_add_co_u32_e64 v87, s[0:1], 1, v87
	v_cndmask_b32_e32 v39, v39, v35, vcc
	v_add_u32_e32 v37, 4, v37
	v_addc_co_u32_e64 v38, s[0:1], 0, v38, s[0:1]
	s_waitcnt lgkmcnt(0)
	v_fmac_f32_e32 v86, v39, v40
	s_andn2_b64 exec, exec, s[10:11]
	s_cbranch_execnz .LBB16_221
; %bb.222:
	s_or_b64 exec, exec, s[10:11]
.LBB16_223:
	s_or_b64 exec, exec, s[8:9]
.LBB16_224:
	s_or_b64 exec, exec, s[6:7]
	v_mov_b32_e32 v20, 0
	ds_read_b32 v20, v20 offset:4
	s_waitcnt lgkmcnt(0)
	v_mul_f32_e32 v20, v86, v20
.LBB16_225:
	s_or_b64 exec, exec, s[4:5]
	v_cmp_ne_u32_e32 vcc, 0, v0
	ds_write_b32 v85, v19
	s_waitcnt lgkmcnt(0)
	; wave barrier
	s_and_saveexec_b64 s[4:5], vcc
	s_cbranch_execz .LBB16_241
; %bb.226:
	s_andn2_b64 vcc, exec, s[38:39]
	s_cbranch_vccnz .LBB16_228
; %bb.227:
	v_cmp_eq_u32_e32 vcc, 1, v0
	v_cndmask_b32_e32 v86, v19, v20, vcc
	v_cmp_eq_u32_e32 vcc, 2, v0
	v_cndmask_b32_e32 v86, v86, v21, vcc
	;; [unrolled: 2-line block ×12, first 2 shown]
	v_cmp_eq_u32_e32 vcc, 13, v0
	ds_read_b32 v87, v85
	v_cndmask_b32_e32 v86, v86, v32, vcc
	v_cmp_eq_u32_e32 vcc, 14, v0
	v_cndmask_b32_e32 v86, v86, v33, vcc
	v_cmp_eq_u32_e32 vcc, 15, v0
	v_cndmask_b32_e32 v86, v86, v34, vcc
	v_cmp_eq_u32_e32 vcc, 16, v0
	v_cndmask_b32_e32 v86, v86, v35, vcc
	s_waitcnt lgkmcnt(0)
	v_mul_f32_e32 v86, v86, v87
	s_cbranch_execz .LBB16_229
	s_branch .LBB16_230
.LBB16_228:
                                        ; implicit-def: $vgpr86
.LBB16_229:
	ds_read_b32 v86, v85
.LBB16_230:
	s_and_saveexec_b64 s[6:7], s[2:3]
	s_cbranch_execz .LBB16_240
; %bb.231:
	v_add_u32_e32 v87, -2, v0
	v_add_u32_e32 v88, -1, v0
	v_cmp_lt_u32_e32 vcc, 6, v87
	v_mov_b32_e32 v87, 1
	s_and_saveexec_b64 s[0:1], vcc
	s_cbranch_execz .LBB16_235
; %bb.232:
	v_and_b32_e32 v87, -8, v88
	v_sub_u32_e32 v89, 0, v87
	s_mov_b64 s[2:3], 8
	s_movk_i32 s10, 0x54
	s_mov_b64 s[8:9], 0
.LBB16_233:                             ; =>This Inner Loop Header: Depth=1
	s_add_i32 s11, s2, -7
	v_mov_b32_e32 v87, s10
	s_add_i32 s12, s2, -6
	s_set_gpr_idx_on s11, gpr_idx(SRC0)
	v_mov_b32_e32 v96, v19
	s_set_gpr_idx_off
	ds_read2_b32 v[90:91], v87 offset1:1
	s_add_i32 s13, s2, -5
	s_set_gpr_idx_on s12, gpr_idx(SRC0)
	v_mov_b32_e32 v97, v19
	s_set_gpr_idx_off
	s_add_i32 s14, s2, -4
	s_set_gpr_idx_on s13, gpr_idx(SRC0)
	v_mov_b32_e32 v98, v19
	s_set_gpr_idx_off
	ds_read2_b32 v[92:93], v87 offset0:2 offset1:3
	s_add_i32 s15, s2, -3
	s_set_gpr_idx_on s14, gpr_idx(SRC0)
	v_mov_b32_e32 v99, v19
	s_set_gpr_idx_off
	s_add_i32 s16, s2, -2
	s_set_gpr_idx_on s15, gpr_idx(SRC0)
	v_mov_b32_e32 v100, v19
	s_set_gpr_idx_off
	ds_read2_b32 v[94:95], v87 offset0:4 offset1:5
	s_add_i32 s17, s2, -1
	s_waitcnt lgkmcnt(2)
	v_fmac_f32_e32 v86, v96, v90
	s_set_gpr_idx_on s16, gpr_idx(SRC0)
	v_mov_b32_e32 v96, v19
	s_set_gpr_idx_off
	v_fmac_f32_e32 v86, v97, v91
	s_set_gpr_idx_on s17, gpr_idx(SRC0)
	v_mov_b32_e32 v97, v19
	s_set_gpr_idx_off
	ds_read2_b32 v[90:91], v87 offset0:6 offset1:7
	s_waitcnt lgkmcnt(2)
	v_fmac_f32_e32 v86, v98, v92
	s_set_gpr_idx_on s2, gpr_idx(SRC0)
	v_mov_b32_e32 v92, v19
	s_set_gpr_idx_off
	v_fmac_f32_e32 v86, v99, v93
	s_add_u32 s2, s2, 8
	s_waitcnt lgkmcnt(1)
	v_fmac_f32_e32 v86, v100, v94
	v_add_u32_e32 v87, s2, v89
	v_fmac_f32_e32 v86, v96, v95
	s_addc_u32 s3, s3, 0
	s_add_i32 s10, s10, 32
	s_add_i32 s11, s2, -7
	v_cmp_eq_u32_e32 vcc, 8, v87
	s_waitcnt lgkmcnt(0)
	v_fmac_f32_e32 v86, v97, v90
	v_mov_b32_e32 v87, s11
	s_or_b64 s[8:9], vcc, s[8:9]
	v_fmac_f32_e32 v86, v92, v91
	s_andn2_b64 exec, exec, s[8:9]
	s_cbranch_execnz .LBB16_233
; %bb.234:
	s_or_b64 exec, exec, s[8:9]
.LBB16_235:
	s_or_b64 exec, exec, s[0:1]
	v_and_b32_e32 v36, 7, v88
	v_cmp_ne_u32_e32 vcc, 0, v36
	s_and_saveexec_b64 s[2:3], vcc
	s_cbranch_execz .LBB16_239
; %bb.236:
	v_mov_b32_e32 v37, 0x50
	v_lshl_add_u32 v37, v87, 2, v37
	v_mov_b32_e32 v38, 0
	s_mov_b64 s[8:9], 0
.LBB16_237:                             ; =>This Inner Loop Header: Depth=1
	v_cmp_eq_u32_e32 vcc, 1, v87
	v_cndmask_b32_e32 v39, v19, v20, vcc
	v_add_u32_e32 v36, -1, v36
	v_cmp_eq_u32_e32 vcc, 2, v87
	v_cndmask_b32_e32 v39, v39, v21, vcc
	v_cmp_eq_u32_e32 vcc, 0, v36
	v_cmp_eq_u32_e64 s[0:1], 3, v87
	v_cndmask_b32_e64 v39, v39, v22, s[0:1]
	s_or_b64 s[8:9], vcc, s[8:9]
	v_cmp_eq_u32_e32 vcc, 4, v87
	v_cndmask_b32_e32 v39, v39, v23, vcc
	v_cmp_eq_u32_e32 vcc, 5, v87
	v_cndmask_b32_e32 v39, v39, v24, vcc
	;; [unrolled: 2-line block ×8, first 2 shown]
	v_cmp_eq_u32_e32 vcc, 12, v87
	ds_read_b32 v40, v37
	v_cndmask_b32_e32 v39, v39, v31, vcc
	v_cmp_eq_u32_e32 vcc, 13, v87
	v_cndmask_b32_e32 v39, v39, v32, vcc
	v_cmp_eq_u32_e32 vcc, 14, v87
	;; [unrolled: 2-line block ×4, first 2 shown]
	v_add_co_u32_e64 v87, s[0:1], 1, v87
	v_cndmask_b32_e32 v39, v39, v35, vcc
	v_add_u32_e32 v37, 4, v37
	v_addc_co_u32_e64 v38, s[0:1], 0, v38, s[0:1]
	s_waitcnt lgkmcnt(0)
	v_fmac_f32_e32 v86, v39, v40
	s_andn2_b64 exec, exec, s[8:9]
	s_cbranch_execnz .LBB16_237
; %bb.238:
	s_or_b64 exec, exec, s[8:9]
.LBB16_239:
	s_or_b64 exec, exec, s[2:3]
.LBB16_240:
	s_or_b64 exec, exec, s[6:7]
	v_mov_b32_e32 v19, 0
	ds_read_b32 v19, v19
	s_waitcnt lgkmcnt(0)
	v_mul_f32_e32 v19, v86, v19
.LBB16_241:
	s_or_b64 exec, exec, s[4:5]
	s_branch .LBB16_405
.LBB16_242:
	v_cmp_eq_u32_e64 s[2:3], 0, v0
	s_waitcnt vmcnt(15)
	ds_write_b32 v85, v3
	s_waitcnt lgkmcnt(0)
	; wave barrier
	s_and_saveexec_b64 s[0:1], s[2:3]
	s_cbranch_execz .LBB16_248
; %bb.243:
	s_and_b64 vcc, exec, s[38:39]
	s_cbranch_vccz .LBB16_245
; %bb.244:
	v_cmp_eq_u32_e32 vcc, 1, v0
	v_cndmask_b32_e32 v3, v2, v3, vcc
	v_cmp_eq_u32_e32 vcc, 2, v0
	s_waitcnt vmcnt(14)
	v_cndmask_b32_e32 v3, v3, v4, vcc
	v_cmp_eq_u32_e32 vcc, 3, v0
	s_waitcnt vmcnt(13)
	;; [unrolled: 3-line block ×11, first 2 shown]
	v_cndmask_b32_e32 v3, v3, v14, vcc
	v_cmp_eq_u32_e32 vcc, 13, v0
	ds_read_b32 v19, v85
	s_waitcnt vmcnt(3)
	v_cndmask_b32_e32 v3, v3, v15, vcc
	v_cmp_eq_u32_e32 vcc, 14, v0
	s_waitcnt vmcnt(2)
	v_cndmask_b32_e32 v3, v3, v16, vcc
	v_cmp_eq_u32_e32 vcc, 15, v0
	;; [unrolled: 3-line block ×3, first 2 shown]
	s_waitcnt vmcnt(0)
	v_cndmask_b32_e32 v3, v3, v18, vcc
	s_waitcnt lgkmcnt(0)
	v_mul_f32_e32 v3, v3, v19
	s_cbranch_execz .LBB16_246
	s_branch .LBB16_247
.LBB16_245:
                                        ; implicit-def: $vgpr3
.LBB16_246:
	ds_read_b32 v3, v85
.LBB16_247:
	v_mov_b32_e32 v19, 0
	ds_read_b32 v19, v19 offset:4
	s_waitcnt lgkmcnt(0)
	v_mul_f32_e32 v3, v3, v19
.LBB16_248:
	s_or_b64 exec, exec, s[0:1]
	v_cndmask_b32_e64 v19, 0, 1, s[38:39]
	v_cmp_gt_u32_e32 vcc, 2, v0
	v_cmp_ne_u32_e64 s[0:1], 1, v19
	s_waitcnt vmcnt(14)
	ds_write_b32 v85, v4
	s_waitcnt lgkmcnt(0)
	; wave barrier
	s_and_saveexec_b64 s[4:5], vcc
	s_cbranch_execz .LBB16_254
; %bb.249:
	s_and_b64 vcc, exec, s[0:1]
	s_cbranch_vccnz .LBB16_251
; %bb.250:
	v_cmp_eq_u32_e32 vcc, 1, v0
	v_cndmask_b32_e32 v19, v2, v3, vcc
	v_cmp_eq_u32_e32 vcc, 2, v0
	v_cndmask_b32_e32 v4, v19, v4, vcc
	v_cmp_eq_u32_e32 vcc, 3, v0
	s_waitcnt vmcnt(13)
	v_cndmask_b32_e32 v4, v4, v5, vcc
	v_cmp_eq_u32_e32 vcc, 4, v0
	s_waitcnt vmcnt(12)
	;; [unrolled: 3-line block ×10, first 2 shown]
	v_cndmask_b32_e32 v4, v4, v14, vcc
	v_cmp_eq_u32_e32 vcc, 13, v0
	ds_read_b32 v19, v85
	s_waitcnt vmcnt(3)
	v_cndmask_b32_e32 v4, v4, v15, vcc
	v_cmp_eq_u32_e32 vcc, 14, v0
	s_waitcnt vmcnt(2)
	v_cndmask_b32_e32 v4, v4, v16, vcc
	v_cmp_eq_u32_e32 vcc, 15, v0
	;; [unrolled: 3-line block ×3, first 2 shown]
	s_waitcnt vmcnt(0)
	v_cndmask_b32_e32 v4, v4, v18, vcc
	s_waitcnt lgkmcnt(0)
	v_mul_f32_e32 v4, v4, v19
	s_cbranch_execz .LBB16_252
	s_branch .LBB16_253
.LBB16_251:
                                        ; implicit-def: $vgpr4
.LBB16_252:
	ds_read_b32 v4, v85
.LBB16_253:
	v_mov_b32_e32 v19, 0
	ds_read2_b32 v[19:20], v19 offset0:2 offset1:21
	s_waitcnt lgkmcnt(0)
	v_fma_f32 v20, v3, v20, v4
	v_cndmask_b32_e64 v4, v4, v20, s[2:3]
	v_mul_f32_e32 v4, v4, v19
.LBB16_254:
	s_or_b64 exec, exec, s[4:5]
	v_add_u32_e32 v21, 1, v0
	v_cmp_gt_u32_e64 s[4:5], 3, v0
	s_waitcnt vmcnt(13)
	ds_write_b32 v85, v5
	s_waitcnt lgkmcnt(0)
	; wave barrier
	s_and_saveexec_b64 s[6:7], s[4:5]
	s_cbranch_execz .LBB16_262
; %bb.255:
	s_and_b64 vcc, exec, s[0:1]
	s_cbranch_vccnz .LBB16_257
; %bb.256:
	v_cmp_eq_u32_e32 vcc, 1, v0
	v_cndmask_b32_e32 v19, v2, v3, vcc
	v_cmp_eq_u32_e32 vcc, 2, v0
	v_cndmask_b32_e32 v19, v19, v4, vcc
	;; [unrolled: 2-line block ×3, first 2 shown]
	v_cmp_eq_u32_e32 vcc, 4, v0
	s_waitcnt vmcnt(12)
	v_cndmask_b32_e32 v19, v19, v6, vcc
	v_cmp_eq_u32_e32 vcc, 5, v0
	s_waitcnt vmcnt(11)
	v_cndmask_b32_e32 v19, v19, v7, vcc
	;; [unrolled: 3-line block ×9, first 2 shown]
	v_cmp_eq_u32_e32 vcc, 13, v0
	ds_read_b32 v20, v85
	s_waitcnt vmcnt(3)
	v_cndmask_b32_e32 v19, v19, v15, vcc
	v_cmp_eq_u32_e32 vcc, 14, v0
	s_waitcnt vmcnt(2)
	v_cndmask_b32_e32 v19, v19, v16, vcc
	v_cmp_eq_u32_e32 vcc, 15, v0
	;; [unrolled: 3-line block ×3, first 2 shown]
	s_waitcnt vmcnt(0)
	v_cndmask_b32_e32 v19, v19, v18, vcc
	s_waitcnt lgkmcnt(0)
	v_mul_f32_e32 v19, v19, v20
	s_cbranch_execz .LBB16_258
	s_branch .LBB16_259
.LBB16_257:
                                        ; implicit-def: $vgpr19
.LBB16_258:
	ds_read_b32 v19, v85
.LBB16_259:
	v_cmp_ne_u32_e32 vcc, 2, v0
	s_and_saveexec_b64 s[8:9], vcc
	s_cbranch_execz .LBB16_261
; %bb.260:
	v_cmp_eq_u32_e32 vcc, 1, v21
	v_cndmask_b32_e32 v20, v2, v3, vcc
	v_cmp_eq_u32_e32 vcc, 2, v21
	v_cndmask_b32_e32 v20, v20, v4, vcc
	;; [unrolled: 2-line block ×3, first 2 shown]
	v_cmp_eq_u32_e32 vcc, 4, v21
	s_waitcnt vmcnt(12)
	v_cndmask_b32_e32 v5, v5, v6, vcc
	v_cmp_eq_u32_e32 vcc, 5, v21
	s_waitcnt vmcnt(11)
	v_cndmask_b32_e32 v5, v5, v7, vcc
	;; [unrolled: 3-line block ×9, first 2 shown]
	v_cmp_eq_u32_e32 vcc, 13, v21
	v_mov_b32_e32 v20, 0
	s_waitcnt vmcnt(3)
	v_cndmask_b32_e32 v5, v5, v15, vcc
	v_cmp_eq_u32_e32 vcc, 14, v21
	ds_read_b32 v22, v85 offset:4
	ds_read_b32 v20, v20 offset:88
	s_waitcnt vmcnt(2)
	v_cndmask_b32_e32 v5, v5, v16, vcc
	v_cmp_eq_u32_e32 vcc, 15, v21
	s_waitcnt vmcnt(1)
	v_cndmask_b32_e32 v5, v5, v17, vcc
	v_cmp_eq_u32_e32 vcc, 16, v21
	s_waitcnt vmcnt(0)
	v_cndmask_b32_e32 v5, v5, v18, vcc
	s_waitcnt lgkmcnt(1)
	v_fmac_f32_e32 v19, v5, v22
	s_waitcnt lgkmcnt(0)
	v_fma_f32 v5, v4, v20, v19
	v_cndmask_b32_e64 v19, v19, v5, s[2:3]
.LBB16_261:
	s_or_b64 exec, exec, s[8:9]
	v_mov_b32_e32 v5, 0
	ds_read_b32 v5, v5 offset:12
	s_waitcnt lgkmcnt(0)
	v_mul_f32_e32 v5, v19, v5
.LBB16_262:
	s_or_b64 exec, exec, s[6:7]
	v_cmp_gt_u32_e32 vcc, 4, v0
	s_waitcnt vmcnt(12)
	ds_write_b32 v85, v6
	s_waitcnt lgkmcnt(0)
	; wave barrier
	s_and_saveexec_b64 s[8:9], vcc
	s_cbranch_execz .LBB16_272
; %bb.263:
	s_and_b64 vcc, exec, s[0:1]
	s_cbranch_vccnz .LBB16_265
; %bb.264:
	v_cmp_eq_u32_e32 vcc, 1, v0
	v_cndmask_b32_e32 v19, v2, v3, vcc
	v_cmp_eq_u32_e32 vcc, 2, v0
	v_cndmask_b32_e32 v19, v19, v4, vcc
	;; [unrolled: 2-line block ×4, first 2 shown]
	v_cmp_eq_u32_e32 vcc, 5, v0
	s_waitcnt vmcnt(11)
	v_cndmask_b32_e32 v19, v19, v7, vcc
	v_cmp_eq_u32_e32 vcc, 6, v0
	s_waitcnt vmcnt(10)
	v_cndmask_b32_e32 v19, v19, v8, vcc
	;; [unrolled: 3-line block ×8, first 2 shown]
	v_cmp_eq_u32_e32 vcc, 13, v0
	ds_read_b32 v20, v85
	s_waitcnt vmcnt(3)
	v_cndmask_b32_e32 v19, v19, v15, vcc
	v_cmp_eq_u32_e32 vcc, 14, v0
	s_waitcnt vmcnt(2)
	v_cndmask_b32_e32 v19, v19, v16, vcc
	v_cmp_eq_u32_e32 vcc, 15, v0
	;; [unrolled: 3-line block ×3, first 2 shown]
	s_waitcnt vmcnt(0)
	v_cndmask_b32_e32 v19, v19, v18, vcc
	s_waitcnt lgkmcnt(0)
	v_mul_f32_e32 v22, v19, v20
	s_cbranch_execz .LBB16_266
	s_branch .LBB16_267
.LBB16_265:
                                        ; implicit-def: $vgpr22
.LBB16_266:
	ds_read_b32 v22, v85
.LBB16_267:
	v_cmp_ne_u32_e32 vcc, 3, v0
	s_and_saveexec_b64 s[10:11], vcc
	s_cbranch_execz .LBB16_271
; %bb.268:
	v_mov_b32_e32 v19, 0x54
	v_lshl_add_u32 v23, v0, 2, v19
	v_mov_b32_e32 v20, v1
	s_mov_b64 s[12:13], 0
	v_mov_b32_e32 v19, v0
.LBB16_269:                             ; =>This Inner Loop Header: Depth=1
	v_add_co_u32_e32 v19, vcc, 1, v19
	v_addc_co_u32_e32 v20, vcc, 0, v20, vcc
	v_cmp_eq_u32_e32 vcc, 1, v19
	v_cndmask_b32_e32 v25, v2, v3, vcc
	v_cmp_lt_u32_e32 vcc, 2, v19
	v_cmp_eq_u32_e64 s[6:7], 2, v19
	v_cndmask_b32_e64 v25, v25, v4, s[6:7]
	s_or_b64 s[12:13], vcc, s[12:13]
	v_cmp_eq_u32_e32 vcc, 3, v19
	v_cndmask_b32_e32 v25, v25, v5, vcc
	v_cmp_eq_u32_e32 vcc, 4, v19
	v_cndmask_b32_e32 v25, v25, v6, vcc
	v_cmp_eq_u32_e32 vcc, 5, v19
	s_waitcnt vmcnt(11)
	v_cndmask_b32_e32 v25, v25, v7, vcc
	v_cmp_eq_u32_e32 vcc, 6, v19
	s_waitcnt vmcnt(10)
	;; [unrolled: 3-line block ×7, first 2 shown]
	v_cndmask_b32_e32 v25, v25, v13, vcc
	v_cmp_eq_u32_e32 vcc, 12, v19
	ds_read_b32 v24, v23
	s_waitcnt vmcnt(4)
	v_cndmask_b32_e32 v25, v25, v14, vcc
	v_cmp_eq_u32_e32 vcc, 13, v19
	s_waitcnt vmcnt(3)
	v_cndmask_b32_e32 v25, v25, v15, vcc
	v_cmp_eq_u32_e32 vcc, 14, v19
	;; [unrolled: 3-line block ×4, first 2 shown]
	s_waitcnt vmcnt(0)
	v_cndmask_b32_e32 v25, v25, v18, vcc
	v_add_u32_e32 v23, 4, v23
	s_waitcnt lgkmcnt(0)
	v_fmac_f32_e32 v22, v25, v24
	s_andn2_b64 exec, exec, s[12:13]
	s_cbranch_execnz .LBB16_269
; %bb.270:
	s_or_b64 exec, exec, s[12:13]
.LBB16_271:
	s_or_b64 exec, exec, s[10:11]
	v_mov_b32_e32 v6, 0
	ds_read_b32 v6, v6 offset:16
	s_waitcnt lgkmcnt(0)
	v_mul_f32_e32 v6, v22, v6
.LBB16_272:
	s_or_b64 exec, exec, s[8:9]
	v_cmp_gt_u32_e64 s[6:7], 5, v0
	s_waitcnt vmcnt(11)
	ds_write_b32 v85, v7
	s_waitcnt lgkmcnt(0)
	; wave barrier
	s_and_saveexec_b64 s[10:11], s[6:7]
	s_cbranch_execz .LBB16_282
; %bb.273:
	s_and_b64 vcc, exec, s[0:1]
	s_cbranch_vccnz .LBB16_275
; %bb.274:
	v_cmp_eq_u32_e32 vcc, 1, v0
	v_cndmask_b32_e32 v19, v2, v3, vcc
	v_cmp_eq_u32_e32 vcc, 2, v0
	v_cndmask_b32_e32 v19, v19, v4, vcc
	;; [unrolled: 2-line block ×5, first 2 shown]
	v_cmp_eq_u32_e32 vcc, 6, v0
	s_waitcnt vmcnt(10)
	v_cndmask_b32_e32 v19, v19, v8, vcc
	v_cmp_eq_u32_e32 vcc, 7, v0
	s_waitcnt vmcnt(9)
	v_cndmask_b32_e32 v19, v19, v9, vcc
	;; [unrolled: 3-line block ×7, first 2 shown]
	v_cmp_eq_u32_e32 vcc, 13, v0
	ds_read_b32 v20, v85
	s_waitcnt vmcnt(3)
	v_cndmask_b32_e32 v19, v19, v15, vcc
	v_cmp_eq_u32_e32 vcc, 14, v0
	s_waitcnt vmcnt(2)
	v_cndmask_b32_e32 v19, v19, v16, vcc
	v_cmp_eq_u32_e32 vcc, 15, v0
	;; [unrolled: 3-line block ×3, first 2 shown]
	s_waitcnt vmcnt(0)
	v_cndmask_b32_e32 v19, v19, v18, vcc
	s_waitcnt lgkmcnt(0)
	v_mul_f32_e32 v22, v19, v20
	s_cbranch_execz .LBB16_276
	s_branch .LBB16_277
.LBB16_275:
                                        ; implicit-def: $vgpr22
.LBB16_276:
	ds_read_b32 v22, v85
.LBB16_277:
	v_cmp_ne_u32_e32 vcc, 4, v0
	s_and_saveexec_b64 s[12:13], vcc
	s_cbranch_execz .LBB16_281
; %bb.278:
	v_mov_b32_e32 v19, 0x54
	v_lshl_add_u32 v23, v0, 2, v19
	v_mov_b32_e32 v20, v1
	s_mov_b64 s[14:15], 0
	v_mov_b32_e32 v19, v0
.LBB16_279:                             ; =>This Inner Loop Header: Depth=1
	v_add_co_u32_e32 v19, vcc, 1, v19
	v_addc_co_u32_e32 v20, vcc, 0, v20, vcc
	v_cmp_eq_u32_e32 vcc, 1, v19
	v_cndmask_b32_e32 v25, v2, v3, vcc
	v_cmp_lt_u32_e32 vcc, 3, v19
	v_cmp_eq_u32_e64 s[8:9], 2, v19
	v_cndmask_b32_e64 v25, v25, v4, s[8:9]
	s_or_b64 s[14:15], vcc, s[14:15]
	v_cmp_eq_u32_e32 vcc, 3, v19
	v_cndmask_b32_e32 v25, v25, v5, vcc
	v_cmp_eq_u32_e32 vcc, 4, v19
	v_cndmask_b32_e32 v25, v25, v6, vcc
	v_cmp_eq_u32_e32 vcc, 5, v19
	v_cndmask_b32_e32 v25, v25, v7, vcc
	v_cmp_eq_u32_e32 vcc, 6, v19
	s_waitcnt vmcnt(10)
	v_cndmask_b32_e32 v25, v25, v8, vcc
	v_cmp_eq_u32_e32 vcc, 7, v19
	s_waitcnt vmcnt(9)
	v_cndmask_b32_e32 v25, v25, v9, vcc
	;; [unrolled: 3-line block ×6, first 2 shown]
	v_cmp_eq_u32_e32 vcc, 12, v19
	ds_read_b32 v24, v23
	s_waitcnt vmcnt(4)
	v_cndmask_b32_e32 v25, v25, v14, vcc
	v_cmp_eq_u32_e32 vcc, 13, v19
	s_waitcnt vmcnt(3)
	v_cndmask_b32_e32 v25, v25, v15, vcc
	v_cmp_eq_u32_e32 vcc, 14, v19
	;; [unrolled: 3-line block ×4, first 2 shown]
	s_waitcnt vmcnt(0)
	v_cndmask_b32_e32 v25, v25, v18, vcc
	v_add_u32_e32 v23, 4, v23
	s_waitcnt lgkmcnt(0)
	v_fmac_f32_e32 v22, v25, v24
	s_andn2_b64 exec, exec, s[14:15]
	s_cbranch_execnz .LBB16_279
; %bb.280:
	s_or_b64 exec, exec, s[14:15]
.LBB16_281:
	s_or_b64 exec, exec, s[12:13]
	v_mov_b32_e32 v7, 0
	ds_read_b32 v7, v7 offset:20
	s_waitcnt lgkmcnt(0)
	v_mul_f32_e32 v7, v22, v7
.LBB16_282:
	s_or_b64 exec, exec, s[10:11]
	v_cmp_gt_u32_e32 vcc, 6, v0
	s_waitcnt vmcnt(10)
	ds_write_b32 v85, v8
	s_waitcnt lgkmcnt(0)
	; wave barrier
	s_and_saveexec_b64 s[10:11], vcc
	s_cbranch_execz .LBB16_292
; %bb.283:
	s_and_b64 vcc, exec, s[0:1]
	s_cbranch_vccnz .LBB16_285
; %bb.284:
	v_cmp_eq_u32_e32 vcc, 1, v0
	v_cndmask_b32_e32 v19, v2, v3, vcc
	v_cmp_eq_u32_e32 vcc, 2, v0
	v_cndmask_b32_e32 v19, v19, v4, vcc
	;; [unrolled: 2-line block ×6, first 2 shown]
	v_cmp_eq_u32_e32 vcc, 7, v0
	s_waitcnt vmcnt(9)
	v_cndmask_b32_e32 v19, v19, v9, vcc
	v_cmp_eq_u32_e32 vcc, 8, v0
	s_waitcnt vmcnt(8)
	v_cndmask_b32_e32 v19, v19, v10, vcc
	;; [unrolled: 3-line block ×6, first 2 shown]
	v_cmp_eq_u32_e32 vcc, 13, v0
	ds_read_b32 v20, v85
	s_waitcnt vmcnt(3)
	v_cndmask_b32_e32 v19, v19, v15, vcc
	v_cmp_eq_u32_e32 vcc, 14, v0
	s_waitcnt vmcnt(2)
	v_cndmask_b32_e32 v19, v19, v16, vcc
	v_cmp_eq_u32_e32 vcc, 15, v0
	;; [unrolled: 3-line block ×3, first 2 shown]
	s_waitcnt vmcnt(0)
	v_cndmask_b32_e32 v19, v19, v18, vcc
	s_waitcnt lgkmcnt(0)
	v_mul_f32_e32 v22, v19, v20
	s_cbranch_execz .LBB16_286
	s_branch .LBB16_287
.LBB16_285:
                                        ; implicit-def: $vgpr22
.LBB16_286:
	ds_read_b32 v22, v85
.LBB16_287:
	v_cmp_ne_u32_e32 vcc, 5, v0
	s_and_saveexec_b64 s[12:13], vcc
	s_cbranch_execz .LBB16_291
; %bb.288:
	v_mov_b32_e32 v19, 0x54
	v_lshl_add_u32 v23, v0, 2, v19
	v_mov_b32_e32 v20, v1
	s_mov_b64 s[14:15], 0
	v_mov_b32_e32 v19, v0
.LBB16_289:                             ; =>This Inner Loop Header: Depth=1
	v_add_co_u32_e32 v19, vcc, 1, v19
	v_addc_co_u32_e32 v20, vcc, 0, v20, vcc
	v_cmp_eq_u32_e32 vcc, 1, v19
	v_cndmask_b32_e32 v25, v2, v3, vcc
	v_cmp_lt_u32_e32 vcc, 4, v19
	v_cmp_eq_u32_e64 s[8:9], 2, v19
	v_cndmask_b32_e64 v25, v25, v4, s[8:9]
	s_or_b64 s[14:15], vcc, s[14:15]
	v_cmp_eq_u32_e32 vcc, 3, v19
	v_cndmask_b32_e32 v25, v25, v5, vcc
	v_cmp_eq_u32_e32 vcc, 4, v19
	v_cndmask_b32_e32 v25, v25, v6, vcc
	;; [unrolled: 2-line block ×4, first 2 shown]
	v_cmp_eq_u32_e32 vcc, 7, v19
	s_waitcnt vmcnt(9)
	v_cndmask_b32_e32 v25, v25, v9, vcc
	v_cmp_eq_u32_e32 vcc, 8, v19
	s_waitcnt vmcnt(8)
	v_cndmask_b32_e32 v25, v25, v10, vcc
	;; [unrolled: 3-line block ×5, first 2 shown]
	v_cmp_eq_u32_e32 vcc, 12, v19
	ds_read_b32 v24, v23
	s_waitcnt vmcnt(4)
	v_cndmask_b32_e32 v25, v25, v14, vcc
	v_cmp_eq_u32_e32 vcc, 13, v19
	s_waitcnt vmcnt(3)
	v_cndmask_b32_e32 v25, v25, v15, vcc
	v_cmp_eq_u32_e32 vcc, 14, v19
	;; [unrolled: 3-line block ×4, first 2 shown]
	s_waitcnt vmcnt(0)
	v_cndmask_b32_e32 v25, v25, v18, vcc
	v_add_u32_e32 v23, 4, v23
	s_waitcnt lgkmcnt(0)
	v_fmac_f32_e32 v22, v25, v24
	s_andn2_b64 exec, exec, s[14:15]
	s_cbranch_execnz .LBB16_289
; %bb.290:
	s_or_b64 exec, exec, s[14:15]
.LBB16_291:
	s_or_b64 exec, exec, s[12:13]
	v_mov_b32_e32 v8, 0
	ds_read_b32 v8, v8 offset:24
	s_waitcnt lgkmcnt(0)
	v_mul_f32_e32 v8, v22, v8
.LBB16_292:
	s_or_b64 exec, exec, s[10:11]
	v_cmp_gt_u32_e64 s[8:9], 7, v0
	s_waitcnt vmcnt(9)
	ds_write_b32 v85, v9
	s_waitcnt lgkmcnt(0)
	; wave barrier
	s_and_saveexec_b64 s[12:13], s[8:9]
	s_cbranch_execz .LBB16_302
; %bb.293:
	s_and_b64 vcc, exec, s[0:1]
	s_cbranch_vccnz .LBB16_295
; %bb.294:
	v_cmp_eq_u32_e32 vcc, 1, v0
	v_cndmask_b32_e32 v19, v2, v3, vcc
	v_cmp_eq_u32_e32 vcc, 2, v0
	v_cndmask_b32_e32 v19, v19, v4, vcc
	;; [unrolled: 2-line block ×7, first 2 shown]
	v_cmp_eq_u32_e32 vcc, 8, v0
	s_waitcnt vmcnt(8)
	v_cndmask_b32_e32 v19, v19, v10, vcc
	v_cmp_eq_u32_e32 vcc, 9, v0
	s_waitcnt vmcnt(7)
	v_cndmask_b32_e32 v19, v19, v11, vcc
	;; [unrolled: 3-line block ×5, first 2 shown]
	v_cmp_eq_u32_e32 vcc, 13, v0
	ds_read_b32 v20, v85
	s_waitcnt vmcnt(3)
	v_cndmask_b32_e32 v19, v19, v15, vcc
	v_cmp_eq_u32_e32 vcc, 14, v0
	s_waitcnt vmcnt(2)
	v_cndmask_b32_e32 v19, v19, v16, vcc
	v_cmp_eq_u32_e32 vcc, 15, v0
	;; [unrolled: 3-line block ×3, first 2 shown]
	s_waitcnt vmcnt(0)
	v_cndmask_b32_e32 v19, v19, v18, vcc
	s_waitcnt lgkmcnt(0)
	v_mul_f32_e32 v22, v19, v20
	s_cbranch_execz .LBB16_296
	s_branch .LBB16_297
.LBB16_295:
                                        ; implicit-def: $vgpr22
.LBB16_296:
	ds_read_b32 v22, v85
.LBB16_297:
	v_cmp_ne_u32_e32 vcc, 6, v0
	s_and_saveexec_b64 s[14:15], vcc
	s_cbranch_execz .LBB16_301
; %bb.298:
	v_mov_b32_e32 v19, 0x54
	v_lshl_add_u32 v23, v0, 2, v19
	v_mov_b32_e32 v20, v1
	s_mov_b64 s[16:17], 0
	v_mov_b32_e32 v19, v0
.LBB16_299:                             ; =>This Inner Loop Header: Depth=1
	v_add_co_u32_e32 v19, vcc, 1, v19
	v_addc_co_u32_e32 v20, vcc, 0, v20, vcc
	v_cmp_eq_u32_e32 vcc, 1, v19
	v_cndmask_b32_e32 v25, v2, v3, vcc
	v_cmp_lt_u32_e32 vcc, 5, v19
	v_cmp_eq_u32_e64 s[10:11], 2, v19
	v_cndmask_b32_e64 v25, v25, v4, s[10:11]
	s_or_b64 s[16:17], vcc, s[16:17]
	v_cmp_eq_u32_e32 vcc, 3, v19
	v_cndmask_b32_e32 v25, v25, v5, vcc
	v_cmp_eq_u32_e32 vcc, 4, v19
	v_cndmask_b32_e32 v25, v25, v6, vcc
	;; [unrolled: 2-line block ×5, first 2 shown]
	v_cmp_eq_u32_e32 vcc, 8, v19
	s_waitcnt vmcnt(8)
	v_cndmask_b32_e32 v25, v25, v10, vcc
	v_cmp_eq_u32_e32 vcc, 9, v19
	s_waitcnt vmcnt(7)
	v_cndmask_b32_e32 v25, v25, v11, vcc
	;; [unrolled: 3-line block ×4, first 2 shown]
	v_cmp_eq_u32_e32 vcc, 12, v19
	ds_read_b32 v24, v23
	s_waitcnt vmcnt(4)
	v_cndmask_b32_e32 v25, v25, v14, vcc
	v_cmp_eq_u32_e32 vcc, 13, v19
	s_waitcnt vmcnt(3)
	v_cndmask_b32_e32 v25, v25, v15, vcc
	v_cmp_eq_u32_e32 vcc, 14, v19
	;; [unrolled: 3-line block ×4, first 2 shown]
	s_waitcnt vmcnt(0)
	v_cndmask_b32_e32 v25, v25, v18, vcc
	v_add_u32_e32 v23, 4, v23
	s_waitcnt lgkmcnt(0)
	v_fmac_f32_e32 v22, v25, v24
	s_andn2_b64 exec, exec, s[16:17]
	s_cbranch_execnz .LBB16_299
; %bb.300:
	s_or_b64 exec, exec, s[16:17]
.LBB16_301:
	s_or_b64 exec, exec, s[14:15]
	v_mov_b32_e32 v9, 0
	ds_read_b32 v9, v9 offset:28
	s_waitcnt lgkmcnt(0)
	v_mul_f32_e32 v9, v22, v9
.LBB16_302:
	s_or_b64 exec, exec, s[12:13]
	v_cmp_gt_u32_e32 vcc, 8, v0
	s_waitcnt vmcnt(8)
	ds_write_b32 v85, v10
	s_waitcnt lgkmcnt(0)
	; wave barrier
	s_and_saveexec_b64 s[12:13], vcc
	s_cbranch_execz .LBB16_312
; %bb.303:
	s_and_b64 vcc, exec, s[0:1]
	s_cbranch_vccnz .LBB16_305
; %bb.304:
	v_cmp_eq_u32_e32 vcc, 1, v0
	v_cndmask_b32_e32 v19, v2, v3, vcc
	v_cmp_eq_u32_e32 vcc, 2, v0
	v_cndmask_b32_e32 v19, v19, v4, vcc
	;; [unrolled: 2-line block ×8, first 2 shown]
	v_cmp_eq_u32_e32 vcc, 9, v0
	s_waitcnt vmcnt(7)
	v_cndmask_b32_e32 v19, v19, v11, vcc
	v_cmp_eq_u32_e32 vcc, 10, v0
	s_waitcnt vmcnt(6)
	v_cndmask_b32_e32 v19, v19, v12, vcc
	;; [unrolled: 3-line block ×4, first 2 shown]
	v_cmp_eq_u32_e32 vcc, 13, v0
	ds_read_b32 v20, v85
	s_waitcnt vmcnt(3)
	v_cndmask_b32_e32 v19, v19, v15, vcc
	v_cmp_eq_u32_e32 vcc, 14, v0
	s_waitcnt vmcnt(2)
	v_cndmask_b32_e32 v19, v19, v16, vcc
	v_cmp_eq_u32_e32 vcc, 15, v0
	;; [unrolled: 3-line block ×3, first 2 shown]
	s_waitcnt vmcnt(0)
	v_cndmask_b32_e32 v19, v19, v18, vcc
	s_waitcnt lgkmcnt(0)
	v_mul_f32_e32 v22, v19, v20
	s_cbranch_execz .LBB16_306
	s_branch .LBB16_307
.LBB16_305:
                                        ; implicit-def: $vgpr22
.LBB16_306:
	ds_read_b32 v22, v85
.LBB16_307:
	v_cmp_ne_u32_e32 vcc, 7, v0
	s_and_saveexec_b64 s[14:15], vcc
	s_cbranch_execz .LBB16_311
; %bb.308:
	v_mov_b32_e32 v19, 0x54
	v_lshl_add_u32 v23, v0, 2, v19
	v_mov_b32_e32 v20, v1
	s_mov_b64 s[16:17], 0
	v_mov_b32_e32 v19, v0
.LBB16_309:                             ; =>This Inner Loop Header: Depth=1
	v_add_co_u32_e32 v19, vcc, 1, v19
	v_addc_co_u32_e32 v20, vcc, 0, v20, vcc
	v_cmp_eq_u32_e32 vcc, 1, v19
	v_cndmask_b32_e32 v25, v2, v3, vcc
	v_cmp_lt_u32_e32 vcc, 6, v19
	v_cmp_eq_u32_e64 s[10:11], 2, v19
	v_cndmask_b32_e64 v25, v25, v4, s[10:11]
	s_or_b64 s[16:17], vcc, s[16:17]
	v_cmp_eq_u32_e32 vcc, 3, v19
	v_cndmask_b32_e32 v25, v25, v5, vcc
	v_cmp_eq_u32_e32 vcc, 4, v19
	v_cndmask_b32_e32 v25, v25, v6, vcc
	;; [unrolled: 2-line block ×6, first 2 shown]
	v_cmp_eq_u32_e32 vcc, 9, v19
	s_waitcnt vmcnt(7)
	v_cndmask_b32_e32 v25, v25, v11, vcc
	v_cmp_eq_u32_e32 vcc, 10, v19
	s_waitcnt vmcnt(6)
	v_cndmask_b32_e32 v25, v25, v12, vcc
	;; [unrolled: 3-line block ×3, first 2 shown]
	v_cmp_eq_u32_e32 vcc, 12, v19
	ds_read_b32 v24, v23
	s_waitcnt vmcnt(4)
	v_cndmask_b32_e32 v25, v25, v14, vcc
	v_cmp_eq_u32_e32 vcc, 13, v19
	s_waitcnt vmcnt(3)
	v_cndmask_b32_e32 v25, v25, v15, vcc
	v_cmp_eq_u32_e32 vcc, 14, v19
	;; [unrolled: 3-line block ×4, first 2 shown]
	s_waitcnt vmcnt(0)
	v_cndmask_b32_e32 v25, v25, v18, vcc
	v_add_u32_e32 v23, 4, v23
	s_waitcnt lgkmcnt(0)
	v_fmac_f32_e32 v22, v25, v24
	s_andn2_b64 exec, exec, s[16:17]
	s_cbranch_execnz .LBB16_309
; %bb.310:
	s_or_b64 exec, exec, s[16:17]
.LBB16_311:
	s_or_b64 exec, exec, s[14:15]
	v_mov_b32_e32 v10, 0
	ds_read_b32 v10, v10 offset:32
	s_waitcnt lgkmcnt(0)
	v_mul_f32_e32 v10, v22, v10
.LBB16_312:
	s_or_b64 exec, exec, s[12:13]
	v_cmp_gt_u32_e32 vcc, 9, v0
	s_waitcnt vmcnt(7)
	ds_write_b32 v85, v11
	s_waitcnt lgkmcnt(0)
	; wave barrier
	s_and_saveexec_b64 s[10:11], vcc
	s_cbranch_execz .LBB16_334
; %bb.313:
	s_and_b64 vcc, exec, s[0:1]
	s_cbranch_vccnz .LBB16_315
; %bb.314:
	v_cmp_eq_u32_e32 vcc, 1, v0
	v_cndmask_b32_e32 v19, v2, v3, vcc
	v_cmp_eq_u32_e32 vcc, 2, v0
	v_cndmask_b32_e32 v19, v19, v4, vcc
	;; [unrolled: 2-line block ×9, first 2 shown]
	v_cmp_eq_u32_e32 vcc, 10, v0
	s_waitcnt vmcnt(6)
	v_cndmask_b32_e32 v19, v19, v12, vcc
	v_cmp_eq_u32_e32 vcc, 11, v0
	s_waitcnt vmcnt(5)
	v_cndmask_b32_e32 v19, v19, v13, vcc
	;; [unrolled: 3-line block ×3, first 2 shown]
	v_cmp_eq_u32_e32 vcc, 13, v0
	ds_read_b32 v20, v85
	s_waitcnt vmcnt(3)
	v_cndmask_b32_e32 v19, v19, v15, vcc
	v_cmp_eq_u32_e32 vcc, 14, v0
	s_waitcnt vmcnt(2)
	v_cndmask_b32_e32 v19, v19, v16, vcc
	v_cmp_eq_u32_e32 vcc, 15, v0
	;; [unrolled: 3-line block ×3, first 2 shown]
	s_waitcnt vmcnt(0)
	v_cndmask_b32_e32 v19, v19, v18, vcc
	s_waitcnt lgkmcnt(0)
	v_mul_f32_e32 v19, v19, v20
	s_cbranch_execz .LBB16_316
	s_branch .LBB16_317
.LBB16_315:
                                        ; implicit-def: $vgpr19
.LBB16_316:
	ds_read_b32 v19, v85
.LBB16_317:
	v_cmp_ne_u32_e32 vcc, 8, v0
	s_and_saveexec_b64 s[12:13], vcc
	s_cbranch_execz .LBB16_333
; %bb.318:
	v_cmp_eq_u32_e32 vcc, 1, v21
	v_cndmask_b32_e32 v20, v2, v3, vcc
	v_cmp_eq_u32_e32 vcc, 2, v21
	v_cndmask_b32_e32 v20, v20, v4, vcc
	;; [unrolled: 2-line block ×9, first 2 shown]
	v_cmp_eq_u32_e32 vcc, 10, v21
	s_waitcnt vmcnt(6)
	v_cndmask_b32_e32 v20, v20, v12, vcc
	v_cmp_eq_u32_e32 vcc, 11, v21
	s_waitcnt vmcnt(5)
	v_cndmask_b32_e32 v20, v20, v13, vcc
	v_cmp_eq_u32_e32 vcc, 12, v21
	s_waitcnt vmcnt(4)
	v_cndmask_b32_e32 v20, v20, v14, vcc
	v_cmp_eq_u32_e32 vcc, 13, v21
	ds_read_b32 v22, v85 offset:4
	s_waitcnt vmcnt(3)
	v_cndmask_b32_e32 v20, v20, v15, vcc
	v_cmp_eq_u32_e32 vcc, 14, v21
	s_waitcnt vmcnt(2)
	v_cndmask_b32_e32 v20, v20, v16, vcc
	v_cmp_eq_u32_e32 vcc, 15, v21
	;; [unrolled: 3-line block ×3, first 2 shown]
	s_waitcnt vmcnt(0)
	v_cndmask_b32_e32 v20, v20, v18, vcc
	s_waitcnt lgkmcnt(0)
	v_fmac_f32_e32 v19, v20, v22
	s_and_saveexec_b64 s[14:15], s[8:9]
	s_cbranch_execz .LBB16_332
; %bb.319:
	v_add_u32_e32 v20, 2, v0
	v_cmp_eq_u32_e32 vcc, 1, v20
	v_cndmask_b32_e32 v21, v2, v3, vcc
	v_cmp_eq_u32_e32 vcc, 2, v20
	v_cndmask_b32_e32 v21, v21, v4, vcc
	;; [unrolled: 2-line block ×12, first 2 shown]
	v_cmp_eq_u32_e32 vcc, 13, v20
	ds_read_b32 v22, v85 offset:8
	v_cndmask_b32_e32 v21, v21, v15, vcc
	v_cmp_eq_u32_e32 vcc, 14, v20
	v_cndmask_b32_e32 v21, v21, v16, vcc
	v_cmp_eq_u32_e32 vcc, 15, v20
	;; [unrolled: 2-line block ×3, first 2 shown]
	v_cndmask_b32_e32 v20, v21, v18, vcc
	s_waitcnt lgkmcnt(0)
	v_fmac_f32_e32 v19, v20, v22
	v_cmp_ne_u32_e32 vcc, 6, v0
	s_and_saveexec_b64 s[8:9], vcc
	s_cbranch_execz .LBB16_331
; %bb.320:
	v_add_u32_e32 v20, 3, v0
	v_cmp_eq_u32_e32 vcc, 1, v20
	v_cndmask_b32_e32 v21, v2, v3, vcc
	v_cmp_eq_u32_e32 vcc, 2, v20
	v_cndmask_b32_e32 v21, v21, v4, vcc
	;; [unrolled: 2-line block ×12, first 2 shown]
	v_cmp_eq_u32_e32 vcc, 13, v20
	ds_read_b32 v22, v85 offset:12
	v_cndmask_b32_e32 v21, v21, v15, vcc
	v_cmp_eq_u32_e32 vcc, 14, v20
	v_cndmask_b32_e32 v21, v21, v16, vcc
	v_cmp_eq_u32_e32 vcc, 15, v20
	;; [unrolled: 2-line block ×3, first 2 shown]
	v_cndmask_b32_e32 v20, v21, v18, vcc
	s_waitcnt lgkmcnt(0)
	v_fmac_f32_e32 v19, v20, v22
	s_and_saveexec_b64 s[16:17], s[6:7]
	s_cbranch_execz .LBB16_330
; %bb.321:
	v_add_u32_e32 v20, 4, v0
	v_cmp_eq_u32_e32 vcc, 1, v20
	v_cndmask_b32_e32 v21, v2, v3, vcc
	v_cmp_eq_u32_e32 vcc, 2, v20
	v_cndmask_b32_e32 v21, v21, v4, vcc
	;; [unrolled: 2-line block ×12, first 2 shown]
	v_cmp_eq_u32_e32 vcc, 13, v20
	ds_read_b32 v22, v85 offset:16
	v_cndmask_b32_e32 v21, v21, v15, vcc
	v_cmp_eq_u32_e32 vcc, 14, v20
	v_cndmask_b32_e32 v21, v21, v16, vcc
	v_cmp_eq_u32_e32 vcc, 15, v20
	;; [unrolled: 2-line block ×3, first 2 shown]
	v_cndmask_b32_e32 v20, v21, v18, vcc
	s_waitcnt lgkmcnt(0)
	v_fmac_f32_e32 v19, v20, v22
	v_cmp_ne_u32_e32 vcc, 4, v0
	s_and_saveexec_b64 s[6:7], vcc
	s_cbranch_execz .LBB16_329
; %bb.322:
	v_add_u32_e32 v20, 5, v0
	v_cmp_eq_u32_e32 vcc, 1, v20
	v_cndmask_b32_e32 v21, v2, v3, vcc
	v_cmp_eq_u32_e32 vcc, 2, v20
	v_cndmask_b32_e32 v21, v21, v4, vcc
	;; [unrolled: 2-line block ×12, first 2 shown]
	v_cmp_eq_u32_e32 vcc, 13, v20
	ds_read_b32 v22, v85 offset:20
	v_cndmask_b32_e32 v21, v21, v15, vcc
	v_cmp_eq_u32_e32 vcc, 14, v20
	v_cndmask_b32_e32 v21, v21, v16, vcc
	v_cmp_eq_u32_e32 vcc, 15, v20
	;; [unrolled: 2-line block ×3, first 2 shown]
	v_cndmask_b32_e32 v20, v21, v18, vcc
	s_waitcnt lgkmcnt(0)
	v_fmac_f32_e32 v19, v20, v22
	s_and_saveexec_b64 s[18:19], s[4:5]
	s_cbranch_execz .LBB16_328
; %bb.323:
	v_add_u32_e32 v20, 6, v0
	v_cmp_eq_u32_e32 vcc, 1, v20
	v_cndmask_b32_e32 v21, v2, v3, vcc
	v_cmp_eq_u32_e32 vcc, 2, v20
	v_cndmask_b32_e32 v21, v21, v4, vcc
	;; [unrolled: 2-line block ×12, first 2 shown]
	v_cmp_eq_u32_e32 vcc, 13, v20
	ds_read_b32 v22, v85 offset:24
	v_cndmask_b32_e32 v21, v21, v15, vcc
	v_cmp_eq_u32_e32 vcc, 14, v20
	v_cndmask_b32_e32 v21, v21, v16, vcc
	v_cmp_eq_u32_e32 vcc, 15, v20
	;; [unrolled: 2-line block ×3, first 2 shown]
	v_cndmask_b32_e32 v20, v21, v18, vcc
	s_waitcnt lgkmcnt(0)
	v_fmac_f32_e32 v19, v20, v22
	v_cmp_ne_u32_e32 vcc, 2, v0
	s_and_saveexec_b64 s[4:5], vcc
	s_cbranch_execz .LBB16_327
; %bb.324:
	v_add_u32_e32 v20, 7, v0
	v_cmp_eq_u32_e32 vcc, 1, v20
	v_cndmask_b32_e32 v21, v2, v3, vcc
	v_cmp_eq_u32_e32 vcc, 2, v20
	v_cndmask_b32_e32 v21, v21, v4, vcc
	v_cmp_eq_u32_e32 vcc, 3, v20
	v_cndmask_b32_e32 v21, v21, v5, vcc
	v_cmp_eq_u32_e32 vcc, 4, v20
	v_cndmask_b32_e32 v21, v21, v6, vcc
	v_cmp_eq_u32_e32 vcc, 5, v20
	v_cndmask_b32_e32 v21, v21, v7, vcc
	v_cmp_eq_u32_e32 vcc, 6, v20
	v_cndmask_b32_e32 v21, v21, v8, vcc
	v_cmp_eq_u32_e32 vcc, 7, v20
	v_cndmask_b32_e32 v21, v21, v9, vcc
	v_cmp_eq_u32_e32 vcc, 8, v20
	v_cndmask_b32_e32 v21, v21, v10, vcc
	v_cmp_eq_u32_e32 vcc, 9, v20
	v_cndmask_b32_e32 v11, v21, v11, vcc
	v_cmp_eq_u32_e32 vcc, 10, v20
	v_cndmask_b32_e32 v11, v11, v12, vcc
	v_cmp_eq_u32_e32 vcc, 11, v20
	v_cndmask_b32_e32 v11, v11, v13, vcc
	v_cmp_eq_u32_e32 vcc, 12, v20
	v_cndmask_b32_e32 v11, v11, v14, vcc
	v_cmp_eq_u32_e32 vcc, 13, v20
	ds_read_b32 v21, v85 offset:28
	v_cndmask_b32_e32 v11, v11, v15, vcc
	v_cmp_eq_u32_e32 vcc, 14, v20
	v_cndmask_b32_e32 v11, v11, v16, vcc
	v_cmp_eq_u32_e32 vcc, 15, v20
	;; [unrolled: 2-line block ×3, first 2 shown]
	v_cndmask_b32_e32 v11, v11, v18, vcc
	s_waitcnt lgkmcnt(0)
	v_fmac_f32_e32 v19, v11, v21
	s_and_saveexec_b64 s[20:21], s[2:3]
	s_cbranch_execz .LBB16_326
; %bb.325:
	ds_read_b32 v11, v85 offset:32
	s_waitcnt lgkmcnt(0)
	v_fmac_f32_e32 v19, v10, v11
.LBB16_326:
	s_or_b64 exec, exec, s[20:21]
.LBB16_327:
	s_or_b64 exec, exec, s[4:5]
.LBB16_328:
	s_or_b64 exec, exec, s[18:19]
.LBB16_329:
	s_or_b64 exec, exec, s[6:7]
.LBB16_330:
	s_or_b64 exec, exec, s[16:17]
.LBB16_331:
	s_or_b64 exec, exec, s[8:9]
.LBB16_332:
	s_or_b64 exec, exec, s[14:15]
.LBB16_333:
	s_or_b64 exec, exec, s[12:13]
	v_mov_b32_e32 v11, 0
	ds_read_b32 v11, v11 offset:36
	s_waitcnt lgkmcnt(0)
	v_mul_f32_e32 v11, v19, v11
.LBB16_334:
	s_or_b64 exec, exec, s[10:11]
	v_cmp_gt_u32_e32 vcc, 10, v0
	s_waitcnt vmcnt(6)
	ds_write_b32 v85, v12
	s_waitcnt lgkmcnt(0)
	; wave barrier
	s_and_saveexec_b64 s[4:5], vcc
	s_cbranch_execz .LBB16_344
; %bb.335:
	s_and_b64 vcc, exec, s[0:1]
	s_cbranch_vccnz .LBB16_337
; %bb.336:
	v_cmp_eq_u32_e32 vcc, 1, v0
	v_cndmask_b32_e32 v19, v2, v3, vcc
	v_cmp_eq_u32_e32 vcc, 2, v0
	v_cndmask_b32_e32 v19, v19, v4, vcc
	;; [unrolled: 2-line block ×10, first 2 shown]
	v_cmp_eq_u32_e32 vcc, 11, v0
	s_waitcnt vmcnt(5)
	v_cndmask_b32_e32 v19, v19, v13, vcc
	v_cmp_eq_u32_e32 vcc, 12, v0
	s_waitcnt vmcnt(4)
	v_cndmask_b32_e32 v19, v19, v14, vcc
	v_cmp_eq_u32_e32 vcc, 13, v0
	ds_read_b32 v20, v85
	s_waitcnt vmcnt(3)
	v_cndmask_b32_e32 v19, v19, v15, vcc
	v_cmp_eq_u32_e32 vcc, 14, v0
	s_waitcnt vmcnt(2)
	v_cndmask_b32_e32 v19, v19, v16, vcc
	v_cmp_eq_u32_e32 vcc, 15, v0
	;; [unrolled: 3-line block ×3, first 2 shown]
	s_waitcnt vmcnt(0)
	v_cndmask_b32_e32 v19, v19, v18, vcc
	s_waitcnt lgkmcnt(0)
	v_mul_f32_e32 v21, v19, v20
	s_cbranch_execz .LBB16_338
	s_branch .LBB16_339
.LBB16_337:
                                        ; implicit-def: $vgpr21
.LBB16_338:
	ds_read_b32 v21, v85
.LBB16_339:
	v_cmp_ne_u32_e32 vcc, 9, v0
	s_and_saveexec_b64 s[6:7], vcc
	s_cbranch_execz .LBB16_343
; %bb.340:
	v_mov_b32_e32 v19, 0x54
	v_lshl_add_u32 v22, v0, 2, v19
	v_mov_b32_e32 v20, v1
	s_mov_b64 s[8:9], 0
	v_mov_b32_e32 v19, v0
.LBB16_341:                             ; =>This Inner Loop Header: Depth=1
	v_add_co_u32_e32 v19, vcc, 1, v19
	v_addc_co_u32_e32 v20, vcc, 0, v20, vcc
	v_cmp_eq_u32_e32 vcc, 1, v19
	v_cndmask_b32_e32 v24, v2, v3, vcc
	v_cmp_lt_u32_e32 vcc, 8, v19
	v_cmp_eq_u32_e64 s[2:3], 2, v19
	v_cndmask_b32_e64 v24, v24, v4, s[2:3]
	s_or_b64 s[8:9], vcc, s[8:9]
	v_cmp_eq_u32_e32 vcc, 3, v19
	v_cndmask_b32_e32 v24, v24, v5, vcc
	v_cmp_eq_u32_e32 vcc, 4, v19
	v_cndmask_b32_e32 v24, v24, v6, vcc
	;; [unrolled: 2-line block ×8, first 2 shown]
	v_cmp_eq_u32_e32 vcc, 11, v19
	s_waitcnt vmcnt(5)
	v_cndmask_b32_e32 v24, v24, v13, vcc
	v_cmp_eq_u32_e32 vcc, 12, v19
	ds_read_b32 v23, v22
	s_waitcnt vmcnt(4)
	v_cndmask_b32_e32 v24, v24, v14, vcc
	v_cmp_eq_u32_e32 vcc, 13, v19
	s_waitcnt vmcnt(3)
	v_cndmask_b32_e32 v24, v24, v15, vcc
	v_cmp_eq_u32_e32 vcc, 14, v19
	;; [unrolled: 3-line block ×4, first 2 shown]
	s_waitcnt vmcnt(0)
	v_cndmask_b32_e32 v24, v24, v18, vcc
	v_add_u32_e32 v22, 4, v22
	s_waitcnt lgkmcnt(0)
	v_fmac_f32_e32 v21, v24, v23
	s_andn2_b64 exec, exec, s[8:9]
	s_cbranch_execnz .LBB16_341
; %bb.342:
	s_or_b64 exec, exec, s[8:9]
.LBB16_343:
	s_or_b64 exec, exec, s[6:7]
	v_mov_b32_e32 v12, 0
	ds_read_b32 v12, v12 offset:40
	s_waitcnt lgkmcnt(0)
	v_mul_f32_e32 v12, v21, v12
.LBB16_344:
	s_or_b64 exec, exec, s[4:5]
	v_cmp_gt_u32_e32 vcc, 11, v0
	s_waitcnt vmcnt(5)
	ds_write_b32 v85, v13
	s_waitcnt lgkmcnt(0)
	; wave barrier
	s_and_saveexec_b64 s[4:5], vcc
	s_cbranch_execz .LBB16_354
; %bb.345:
	s_and_b64 vcc, exec, s[0:1]
	s_cbranch_vccnz .LBB16_347
; %bb.346:
	v_cmp_eq_u32_e32 vcc, 1, v0
	v_cndmask_b32_e32 v19, v2, v3, vcc
	v_cmp_eq_u32_e32 vcc, 2, v0
	v_cndmask_b32_e32 v19, v19, v4, vcc
	;; [unrolled: 2-line block ×11, first 2 shown]
	v_cmp_eq_u32_e32 vcc, 12, v0
	s_waitcnt vmcnt(4)
	v_cndmask_b32_e32 v19, v19, v14, vcc
	v_cmp_eq_u32_e32 vcc, 13, v0
	ds_read_b32 v20, v85
	s_waitcnt vmcnt(3)
	v_cndmask_b32_e32 v19, v19, v15, vcc
	v_cmp_eq_u32_e32 vcc, 14, v0
	s_waitcnt vmcnt(2)
	v_cndmask_b32_e32 v19, v19, v16, vcc
	v_cmp_eq_u32_e32 vcc, 15, v0
	;; [unrolled: 3-line block ×3, first 2 shown]
	s_waitcnt vmcnt(0)
	v_cndmask_b32_e32 v19, v19, v18, vcc
	s_waitcnt lgkmcnt(0)
	v_mul_f32_e32 v21, v19, v20
	s_cbranch_execz .LBB16_348
	s_branch .LBB16_349
.LBB16_347:
                                        ; implicit-def: $vgpr21
.LBB16_348:
	ds_read_b32 v21, v85
.LBB16_349:
	v_cmp_ne_u32_e32 vcc, 10, v0
	s_and_saveexec_b64 s[6:7], vcc
	s_cbranch_execz .LBB16_353
; %bb.350:
	v_mov_b32_e32 v19, 0x54
	v_lshl_add_u32 v22, v0, 2, v19
	v_mov_b32_e32 v20, v1
	s_mov_b64 s[8:9], 0
	v_mov_b32_e32 v19, v0
.LBB16_351:                             ; =>This Inner Loop Header: Depth=1
	v_add_co_u32_e32 v19, vcc, 1, v19
	v_addc_co_u32_e32 v20, vcc, 0, v20, vcc
	v_cmp_eq_u32_e32 vcc, 1, v19
	v_cndmask_b32_e32 v24, v2, v3, vcc
	v_cmp_lt_u32_e32 vcc, 9, v19
	v_cmp_eq_u32_e64 s[2:3], 2, v19
	v_cndmask_b32_e64 v24, v24, v4, s[2:3]
	s_or_b64 s[8:9], vcc, s[8:9]
	v_cmp_eq_u32_e32 vcc, 3, v19
	v_cndmask_b32_e32 v24, v24, v5, vcc
	v_cmp_eq_u32_e32 vcc, 4, v19
	v_cndmask_b32_e32 v24, v24, v6, vcc
	;; [unrolled: 2-line block ×9, first 2 shown]
	v_cmp_eq_u32_e32 vcc, 12, v19
	ds_read_b32 v23, v22
	s_waitcnt vmcnt(4)
	v_cndmask_b32_e32 v24, v24, v14, vcc
	v_cmp_eq_u32_e32 vcc, 13, v19
	s_waitcnt vmcnt(3)
	v_cndmask_b32_e32 v24, v24, v15, vcc
	v_cmp_eq_u32_e32 vcc, 14, v19
	;; [unrolled: 3-line block ×4, first 2 shown]
	s_waitcnt vmcnt(0)
	v_cndmask_b32_e32 v24, v24, v18, vcc
	v_add_u32_e32 v22, 4, v22
	s_waitcnt lgkmcnt(0)
	v_fmac_f32_e32 v21, v24, v23
	s_andn2_b64 exec, exec, s[8:9]
	s_cbranch_execnz .LBB16_351
; %bb.352:
	s_or_b64 exec, exec, s[8:9]
.LBB16_353:
	s_or_b64 exec, exec, s[6:7]
	v_mov_b32_e32 v13, 0
	ds_read_b32 v13, v13 offset:44
	s_waitcnt lgkmcnt(0)
	v_mul_f32_e32 v13, v21, v13
.LBB16_354:
	s_or_b64 exec, exec, s[4:5]
	v_cmp_gt_u32_e32 vcc, 12, v0
	s_waitcnt vmcnt(4)
	ds_write_b32 v85, v14
	s_waitcnt lgkmcnt(0)
	; wave barrier
	s_and_saveexec_b64 s[4:5], vcc
	s_cbranch_execz .LBB16_364
; %bb.355:
	s_and_b64 vcc, exec, s[0:1]
	s_cbranch_vccnz .LBB16_357
; %bb.356:
	v_cmp_eq_u32_e32 vcc, 1, v0
	v_cndmask_b32_e32 v19, v2, v3, vcc
	v_cmp_eq_u32_e32 vcc, 2, v0
	v_cndmask_b32_e32 v19, v19, v4, vcc
	;; [unrolled: 2-line block ×12, first 2 shown]
	v_cmp_eq_u32_e32 vcc, 13, v0
	ds_read_b32 v20, v85
	s_waitcnt vmcnt(3)
	v_cndmask_b32_e32 v19, v19, v15, vcc
	v_cmp_eq_u32_e32 vcc, 14, v0
	s_waitcnt vmcnt(2)
	v_cndmask_b32_e32 v19, v19, v16, vcc
	v_cmp_eq_u32_e32 vcc, 15, v0
	;; [unrolled: 3-line block ×3, first 2 shown]
	s_waitcnt vmcnt(0)
	v_cndmask_b32_e32 v19, v19, v18, vcc
	s_waitcnt lgkmcnt(0)
	v_mul_f32_e32 v21, v19, v20
	s_cbranch_execz .LBB16_358
	s_branch .LBB16_359
.LBB16_357:
                                        ; implicit-def: $vgpr21
.LBB16_358:
	ds_read_b32 v21, v85
.LBB16_359:
	v_cmp_ne_u32_e32 vcc, 11, v0
	s_and_saveexec_b64 s[6:7], vcc
	s_cbranch_execz .LBB16_363
; %bb.360:
	v_mov_b32_e32 v19, 0x54
	v_lshl_add_u32 v22, v0, 2, v19
	v_mov_b32_e32 v20, v1
	s_mov_b64 s[8:9], 0
	v_mov_b32_e32 v19, v0
.LBB16_361:                             ; =>This Inner Loop Header: Depth=1
	v_add_co_u32_e32 v19, vcc, 1, v19
	v_addc_co_u32_e32 v20, vcc, 0, v20, vcc
	v_cmp_eq_u32_e32 vcc, 1, v19
	v_cndmask_b32_e32 v24, v2, v3, vcc
	v_cmp_lt_u32_e32 vcc, 10, v19
	v_cmp_eq_u32_e64 s[2:3], 2, v19
	v_cndmask_b32_e64 v24, v24, v4, s[2:3]
	s_or_b64 s[8:9], vcc, s[8:9]
	v_cmp_eq_u32_e32 vcc, 3, v19
	v_cndmask_b32_e32 v24, v24, v5, vcc
	v_cmp_eq_u32_e32 vcc, 4, v19
	v_cndmask_b32_e32 v24, v24, v6, vcc
	;; [unrolled: 2-line block ×9, first 2 shown]
	v_cmp_eq_u32_e32 vcc, 12, v19
	ds_read_b32 v23, v22
	v_cndmask_b32_e32 v24, v24, v14, vcc
	v_cmp_eq_u32_e32 vcc, 13, v19
	s_waitcnt vmcnt(3)
	v_cndmask_b32_e32 v24, v24, v15, vcc
	v_cmp_eq_u32_e32 vcc, 14, v19
	s_waitcnt vmcnt(2)
	;; [unrolled: 3-line block ×4, first 2 shown]
	v_cndmask_b32_e32 v24, v24, v18, vcc
	v_add_u32_e32 v22, 4, v22
	s_waitcnt lgkmcnt(0)
	v_fmac_f32_e32 v21, v24, v23
	s_andn2_b64 exec, exec, s[8:9]
	s_cbranch_execnz .LBB16_361
; %bb.362:
	s_or_b64 exec, exec, s[8:9]
.LBB16_363:
	s_or_b64 exec, exec, s[6:7]
	v_mov_b32_e32 v14, 0
	ds_read_b32 v14, v14 offset:48
	s_waitcnt lgkmcnt(0)
	v_mul_f32_e32 v14, v21, v14
.LBB16_364:
	s_or_b64 exec, exec, s[4:5]
	v_cmp_gt_u32_e32 vcc, 13, v0
	s_waitcnt vmcnt(3)
	ds_write_b32 v85, v15
	s_waitcnt lgkmcnt(0)
	; wave barrier
	s_and_saveexec_b64 s[4:5], vcc
	s_cbranch_execz .LBB16_374
; %bb.365:
	s_and_b64 vcc, exec, s[0:1]
	s_cbranch_vccnz .LBB16_367
; %bb.366:
	v_cmp_eq_u32_e32 vcc, 1, v0
	v_cndmask_b32_e32 v19, v2, v3, vcc
	v_cmp_eq_u32_e32 vcc, 2, v0
	v_cndmask_b32_e32 v19, v19, v4, vcc
	;; [unrolled: 2-line block ×12, first 2 shown]
	v_cmp_eq_u32_e32 vcc, 13, v0
	ds_read_b32 v20, v85
	v_cndmask_b32_e32 v19, v19, v15, vcc
	v_cmp_eq_u32_e32 vcc, 14, v0
	s_waitcnt vmcnt(2)
	v_cndmask_b32_e32 v19, v19, v16, vcc
	v_cmp_eq_u32_e32 vcc, 15, v0
	s_waitcnt vmcnt(1)
	;; [unrolled: 3-line block ×3, first 2 shown]
	v_cndmask_b32_e32 v19, v19, v18, vcc
	s_waitcnt lgkmcnt(0)
	v_mul_f32_e32 v21, v19, v20
	s_cbranch_execz .LBB16_368
	s_branch .LBB16_369
.LBB16_367:
                                        ; implicit-def: $vgpr21
.LBB16_368:
	ds_read_b32 v21, v85
.LBB16_369:
	v_cmp_ne_u32_e32 vcc, 12, v0
	s_and_saveexec_b64 s[6:7], vcc
	s_cbranch_execz .LBB16_373
; %bb.370:
	v_mov_b32_e32 v19, 0x54
	v_lshl_add_u32 v22, v0, 2, v19
	v_mov_b32_e32 v20, v1
	s_mov_b64 s[8:9], 0
	v_mov_b32_e32 v19, v0
.LBB16_371:                             ; =>This Inner Loop Header: Depth=1
	v_add_co_u32_e32 v19, vcc, 1, v19
	v_addc_co_u32_e32 v20, vcc, 0, v20, vcc
	v_cmp_eq_u32_e32 vcc, 1, v19
	v_cndmask_b32_e32 v24, v2, v3, vcc
	v_cmp_lt_u32_e32 vcc, 11, v19
	v_cmp_eq_u32_e64 s[2:3], 2, v19
	v_cndmask_b32_e64 v24, v24, v4, s[2:3]
	s_or_b64 s[8:9], vcc, s[8:9]
	v_cmp_eq_u32_e32 vcc, 3, v19
	v_cndmask_b32_e32 v24, v24, v5, vcc
	v_cmp_eq_u32_e32 vcc, 4, v19
	v_cndmask_b32_e32 v24, v24, v6, vcc
	;; [unrolled: 2-line block ×9, first 2 shown]
	v_cmp_eq_u32_e32 vcc, 12, v19
	ds_read_b32 v23, v22
	v_cndmask_b32_e32 v24, v24, v14, vcc
	v_cmp_eq_u32_e32 vcc, 13, v19
	v_cndmask_b32_e32 v24, v24, v15, vcc
	v_cmp_eq_u32_e32 vcc, 14, v19
	s_waitcnt vmcnt(2)
	v_cndmask_b32_e32 v24, v24, v16, vcc
	v_cmp_eq_u32_e32 vcc, 15, v19
	s_waitcnt vmcnt(1)
	;; [unrolled: 3-line block ×3, first 2 shown]
	v_cndmask_b32_e32 v24, v24, v18, vcc
	v_add_u32_e32 v22, 4, v22
	s_waitcnt lgkmcnt(0)
	v_fmac_f32_e32 v21, v24, v23
	s_andn2_b64 exec, exec, s[8:9]
	s_cbranch_execnz .LBB16_371
; %bb.372:
	s_or_b64 exec, exec, s[8:9]
.LBB16_373:
	s_or_b64 exec, exec, s[6:7]
	v_mov_b32_e32 v15, 0
	ds_read_b32 v15, v15 offset:52
	s_waitcnt lgkmcnt(0)
	v_mul_f32_e32 v15, v21, v15
.LBB16_374:
	s_or_b64 exec, exec, s[4:5]
	v_cmp_gt_u32_e32 vcc, 14, v0
	s_waitcnt vmcnt(2)
	ds_write_b32 v85, v16
	s_waitcnt lgkmcnt(0)
	; wave barrier
	s_and_saveexec_b64 s[4:5], vcc
	s_cbranch_execz .LBB16_384
; %bb.375:
	s_and_b64 vcc, exec, s[0:1]
	s_cbranch_vccnz .LBB16_377
; %bb.376:
	v_cmp_eq_u32_e32 vcc, 1, v0
	v_cndmask_b32_e32 v19, v2, v3, vcc
	v_cmp_eq_u32_e32 vcc, 2, v0
	v_cndmask_b32_e32 v19, v19, v4, vcc
	;; [unrolled: 2-line block ×12, first 2 shown]
	v_cmp_eq_u32_e32 vcc, 13, v0
	ds_read_b32 v20, v85
	v_cndmask_b32_e32 v19, v19, v15, vcc
	v_cmp_eq_u32_e32 vcc, 14, v0
	v_cndmask_b32_e32 v19, v19, v16, vcc
	v_cmp_eq_u32_e32 vcc, 15, v0
	s_waitcnt vmcnt(1)
	v_cndmask_b32_e32 v19, v19, v17, vcc
	v_cmp_eq_u32_e32 vcc, 16, v0
	s_waitcnt vmcnt(0)
	v_cndmask_b32_e32 v19, v19, v18, vcc
	s_waitcnt lgkmcnt(0)
	v_mul_f32_e32 v21, v19, v20
	s_cbranch_execz .LBB16_378
	s_branch .LBB16_379
.LBB16_377:
                                        ; implicit-def: $vgpr21
.LBB16_378:
	ds_read_b32 v21, v85
.LBB16_379:
	v_cmp_ne_u32_e32 vcc, 13, v0
	s_and_saveexec_b64 s[6:7], vcc
	s_cbranch_execz .LBB16_383
; %bb.380:
	v_mov_b32_e32 v19, 0x54
	v_lshl_add_u32 v22, v0, 2, v19
	v_mov_b32_e32 v20, v1
	s_mov_b64 s[8:9], 0
	v_mov_b32_e32 v19, v0
.LBB16_381:                             ; =>This Inner Loop Header: Depth=1
	v_add_co_u32_e32 v19, vcc, 1, v19
	v_addc_co_u32_e32 v20, vcc, 0, v20, vcc
	v_cmp_eq_u32_e32 vcc, 1, v19
	v_cndmask_b32_e32 v24, v2, v3, vcc
	v_cmp_lt_u32_e32 vcc, 12, v19
	v_cmp_eq_u32_e64 s[2:3], 2, v19
	v_cndmask_b32_e64 v24, v24, v4, s[2:3]
	s_or_b64 s[8:9], vcc, s[8:9]
	v_cmp_eq_u32_e32 vcc, 3, v19
	v_cndmask_b32_e32 v24, v24, v5, vcc
	v_cmp_eq_u32_e32 vcc, 4, v19
	v_cndmask_b32_e32 v24, v24, v6, vcc
	;; [unrolled: 2-line block ×9, first 2 shown]
	v_cmp_eq_u32_e32 vcc, 12, v19
	ds_read_b32 v23, v22
	v_cndmask_b32_e32 v24, v24, v14, vcc
	v_cmp_eq_u32_e32 vcc, 13, v19
	v_cndmask_b32_e32 v24, v24, v15, vcc
	v_cmp_eq_u32_e32 vcc, 14, v19
	;; [unrolled: 2-line block ×3, first 2 shown]
	s_waitcnt vmcnt(1)
	v_cndmask_b32_e32 v24, v24, v17, vcc
	v_cmp_eq_u32_e32 vcc, 16, v19
	s_waitcnt vmcnt(0)
	v_cndmask_b32_e32 v24, v24, v18, vcc
	v_add_u32_e32 v22, 4, v22
	s_waitcnt lgkmcnt(0)
	v_fmac_f32_e32 v21, v24, v23
	s_andn2_b64 exec, exec, s[8:9]
	s_cbranch_execnz .LBB16_381
; %bb.382:
	s_or_b64 exec, exec, s[8:9]
.LBB16_383:
	s_or_b64 exec, exec, s[6:7]
	v_mov_b32_e32 v16, 0
	ds_read_b32 v16, v16 offset:56
	s_waitcnt lgkmcnt(0)
	v_mul_f32_e32 v16, v21, v16
.LBB16_384:
	s_or_b64 exec, exec, s[4:5]
	v_cmp_gt_u32_e64 s[2:3], 15, v0
	s_waitcnt vmcnt(1)
	ds_write_b32 v85, v17
	s_waitcnt lgkmcnt(0)
	; wave barrier
	s_and_saveexec_b64 s[6:7], s[2:3]
	s_cbranch_execz .LBB16_394
; %bb.385:
	s_and_b64 vcc, exec, s[0:1]
	s_cbranch_vccnz .LBB16_387
; %bb.386:
	v_cmp_eq_u32_e32 vcc, 1, v0
	v_cndmask_b32_e32 v19, v2, v3, vcc
	v_cmp_eq_u32_e32 vcc, 2, v0
	v_cndmask_b32_e32 v19, v19, v4, vcc
	;; [unrolled: 2-line block ×12, first 2 shown]
	v_cmp_eq_u32_e32 vcc, 13, v0
	ds_read_b32 v20, v85
	v_cndmask_b32_e32 v19, v19, v15, vcc
	v_cmp_eq_u32_e32 vcc, 14, v0
	v_cndmask_b32_e32 v19, v19, v16, vcc
	v_cmp_eq_u32_e32 vcc, 15, v0
	;; [unrolled: 2-line block ×3, first 2 shown]
	s_waitcnt vmcnt(0)
	v_cndmask_b32_e32 v19, v19, v18, vcc
	s_waitcnt lgkmcnt(0)
	v_mul_f32_e32 v21, v19, v20
	s_cbranch_execz .LBB16_388
	s_branch .LBB16_389
.LBB16_387:
                                        ; implicit-def: $vgpr21
.LBB16_388:
	ds_read_b32 v21, v85
.LBB16_389:
	v_cmp_ne_u32_e32 vcc, 14, v0
	s_and_saveexec_b64 s[8:9], vcc
	s_cbranch_execz .LBB16_393
; %bb.390:
	v_mov_b32_e32 v19, 0x54
	v_lshl_add_u32 v22, v0, 2, v19
	v_mov_b32_e32 v20, v1
	s_mov_b64 s[10:11], 0
	v_mov_b32_e32 v19, v0
.LBB16_391:                             ; =>This Inner Loop Header: Depth=1
	v_add_co_u32_e32 v19, vcc, 1, v19
	v_addc_co_u32_e32 v20, vcc, 0, v20, vcc
	v_cmp_eq_u32_e32 vcc, 1, v19
	v_cndmask_b32_e32 v24, v2, v3, vcc
	v_cmp_lt_u32_e32 vcc, 13, v19
	v_cmp_eq_u32_e64 s[4:5], 2, v19
	v_cndmask_b32_e64 v24, v24, v4, s[4:5]
	s_or_b64 s[10:11], vcc, s[10:11]
	v_cmp_eq_u32_e32 vcc, 3, v19
	v_cndmask_b32_e32 v24, v24, v5, vcc
	v_cmp_eq_u32_e32 vcc, 4, v19
	v_cndmask_b32_e32 v24, v24, v6, vcc
	;; [unrolled: 2-line block ×9, first 2 shown]
	v_cmp_eq_u32_e32 vcc, 12, v19
	ds_read_b32 v23, v22
	v_cndmask_b32_e32 v24, v24, v14, vcc
	v_cmp_eq_u32_e32 vcc, 13, v19
	v_cndmask_b32_e32 v24, v24, v15, vcc
	v_cmp_eq_u32_e32 vcc, 14, v19
	;; [unrolled: 2-line block ×4, first 2 shown]
	s_waitcnt vmcnt(0)
	v_cndmask_b32_e32 v24, v24, v18, vcc
	v_add_u32_e32 v22, 4, v22
	s_waitcnt lgkmcnt(0)
	v_fmac_f32_e32 v21, v24, v23
	s_andn2_b64 exec, exec, s[10:11]
	s_cbranch_execnz .LBB16_391
; %bb.392:
	s_or_b64 exec, exec, s[10:11]
.LBB16_393:
	s_or_b64 exec, exec, s[8:9]
	v_mov_b32_e32 v17, 0
	ds_read_b32 v17, v17 offset:60
	s_waitcnt lgkmcnt(0)
	v_mul_f32_e32 v17, v21, v17
.LBB16_394:
	s_or_b64 exec, exec, s[6:7]
	v_cmp_ne_u32_e32 vcc, 16, v0
	s_waitcnt vmcnt(0)
	ds_write_b32 v85, v18
	s_waitcnt lgkmcnt(0)
	; wave barrier
	s_and_saveexec_b64 s[4:5], vcc
	s_cbranch_execz .LBB16_404
; %bb.395:
	s_and_b64 vcc, exec, s[0:1]
	s_cbranch_vccnz .LBB16_397
; %bb.396:
	v_cmp_eq_u32_e32 vcc, 1, v0
	v_cndmask_b32_e32 v19, v2, v3, vcc
	v_cmp_eq_u32_e32 vcc, 2, v0
	v_cndmask_b32_e32 v19, v19, v4, vcc
	;; [unrolled: 2-line block ×12, first 2 shown]
	v_cmp_eq_u32_e32 vcc, 13, v0
	ds_read_b32 v20, v85
	v_cndmask_b32_e32 v19, v19, v15, vcc
	v_cmp_eq_u32_e32 vcc, 14, v0
	v_cndmask_b32_e32 v19, v19, v16, vcc
	v_cmp_eq_u32_e32 vcc, 15, v0
	;; [unrolled: 2-line block ×3, first 2 shown]
	v_cndmask_b32_e32 v19, v19, v18, vcc
	s_waitcnt lgkmcnt(0)
	v_mul_f32_e32 v19, v19, v20
	s_cbranch_execz .LBB16_398
	s_branch .LBB16_399
.LBB16_397:
                                        ; implicit-def: $vgpr19
.LBB16_398:
	ds_read_b32 v19, v85
.LBB16_399:
	s_and_saveexec_b64 s[6:7], s[2:3]
	s_cbranch_execz .LBB16_403
; %bb.400:
	v_mov_b32_e32 v20, 0x54
	v_lshl_add_u32 v20, v0, 2, v20
	s_mov_b64 s[2:3], 0
.LBB16_401:                             ; =>This Inner Loop Header: Depth=1
	v_add_co_u32_e32 v0, vcc, 1, v0
	v_addc_co_u32_e32 v1, vcc, 0, v1, vcc
	v_cmp_eq_u32_e32 vcc, 1, v0
	v_cndmask_b32_e32 v22, v2, v3, vcc
	v_cmp_lt_u32_e32 vcc, 14, v0
	v_cmp_eq_u32_e64 s[0:1], 2, v0
	v_cndmask_b32_e64 v22, v22, v4, s[0:1]
	s_or_b64 s[2:3], vcc, s[2:3]
	v_cmp_eq_u32_e32 vcc, 3, v0
	v_cndmask_b32_e32 v22, v22, v5, vcc
	v_cmp_eq_u32_e32 vcc, 4, v0
	v_cndmask_b32_e32 v22, v22, v6, vcc
	;; [unrolled: 2-line block ×9, first 2 shown]
	v_cmp_eq_u32_e32 vcc, 12, v0
	ds_read_b32 v21, v20
	v_cndmask_b32_e32 v22, v22, v14, vcc
	v_cmp_eq_u32_e32 vcc, 13, v0
	v_cndmask_b32_e32 v22, v22, v15, vcc
	v_cmp_eq_u32_e32 vcc, 14, v0
	;; [unrolled: 2-line block ×4, first 2 shown]
	v_cndmask_b32_e32 v22, v22, v18, vcc
	v_add_u32_e32 v20, 4, v20
	s_waitcnt lgkmcnt(0)
	v_fmac_f32_e32 v19, v22, v21
	s_andn2_b64 exec, exec, s[2:3]
	s_cbranch_execnz .LBB16_401
; %bb.402:
	s_or_b64 exec, exec, s[2:3]
.LBB16_403:
	s_or_b64 exec, exec, s[6:7]
	v_mov_b32_e32 v0, 0
	ds_read_b32 v0, v0 offset:64
	s_waitcnt lgkmcnt(0)
	v_mul_f32_e32 v18, v19, v0
.LBB16_404:
	s_or_b64 exec, exec, s[4:5]
	v_mov_b32_e32 v50, v33
	v_mov_b32_e32 v49, v32
	;; [unrolled: 1-line block ×32, first 2 shown]
.LBB16_405:
	global_store_dword v[81:82], v19, off
	global_store_dword v[83:84], v20, off
	;; [unrolled: 1-line block ×17, first 2 shown]
.LBB16_406:
	s_endpgm
	.section	.rodata,"a",@progbits
	.p2align	6, 0x0
	.amdhsa_kernel _ZN9rocsolver6v33100L18trti2_kernel_smallILi17EfPfEEv13rocblas_fill_17rocblas_diagonal_T1_iil
		.amdhsa_group_segment_fixed_size 148
		.amdhsa_private_segment_fixed_size 0
		.amdhsa_kernarg_size 32
		.amdhsa_user_sgpr_count 6
		.amdhsa_user_sgpr_private_segment_buffer 1
		.amdhsa_user_sgpr_dispatch_ptr 0
		.amdhsa_user_sgpr_queue_ptr 0
		.amdhsa_user_sgpr_kernarg_segment_ptr 1
		.amdhsa_user_sgpr_dispatch_id 0
		.amdhsa_user_sgpr_flat_scratch_init 0
		.amdhsa_user_sgpr_private_segment_size 0
		.amdhsa_uses_dynamic_stack 0
		.amdhsa_system_sgpr_private_segment_wavefront_offset 0
		.amdhsa_system_sgpr_workgroup_id_x 1
		.amdhsa_system_sgpr_workgroup_id_y 0
		.amdhsa_system_sgpr_workgroup_id_z 0
		.amdhsa_system_sgpr_workgroup_info 0
		.amdhsa_system_vgpr_workitem_id 0
		.amdhsa_next_free_vgpr 103
		.amdhsa_next_free_sgpr 44
		.amdhsa_reserve_vcc 1
		.amdhsa_reserve_flat_scratch 0
		.amdhsa_float_round_mode_32 0
		.amdhsa_float_round_mode_16_64 0
		.amdhsa_float_denorm_mode_32 3
		.amdhsa_float_denorm_mode_16_64 3
		.amdhsa_dx10_clamp 1
		.amdhsa_ieee_mode 1
		.amdhsa_fp16_overflow 0
		.amdhsa_exception_fp_ieee_invalid_op 0
		.amdhsa_exception_fp_denorm_src 0
		.amdhsa_exception_fp_ieee_div_zero 0
		.amdhsa_exception_fp_ieee_overflow 0
		.amdhsa_exception_fp_ieee_underflow 0
		.amdhsa_exception_fp_ieee_inexact 0
		.amdhsa_exception_int_div_zero 0
	.end_amdhsa_kernel
	.section	.text._ZN9rocsolver6v33100L18trti2_kernel_smallILi17EfPfEEv13rocblas_fill_17rocblas_diagonal_T1_iil,"axG",@progbits,_ZN9rocsolver6v33100L18trti2_kernel_smallILi17EfPfEEv13rocblas_fill_17rocblas_diagonal_T1_iil,comdat
.Lfunc_end16:
	.size	_ZN9rocsolver6v33100L18trti2_kernel_smallILi17EfPfEEv13rocblas_fill_17rocblas_diagonal_T1_iil, .Lfunc_end16-_ZN9rocsolver6v33100L18trti2_kernel_smallILi17EfPfEEv13rocblas_fill_17rocblas_diagonal_T1_iil
                                        ; -- End function
	.set _ZN9rocsolver6v33100L18trti2_kernel_smallILi17EfPfEEv13rocblas_fill_17rocblas_diagonal_T1_iil.num_vgpr, 103
	.set _ZN9rocsolver6v33100L18trti2_kernel_smallILi17EfPfEEv13rocblas_fill_17rocblas_diagonal_T1_iil.num_agpr, 0
	.set _ZN9rocsolver6v33100L18trti2_kernel_smallILi17EfPfEEv13rocblas_fill_17rocblas_diagonal_T1_iil.numbered_sgpr, 44
	.set _ZN9rocsolver6v33100L18trti2_kernel_smallILi17EfPfEEv13rocblas_fill_17rocblas_diagonal_T1_iil.num_named_barrier, 0
	.set _ZN9rocsolver6v33100L18trti2_kernel_smallILi17EfPfEEv13rocblas_fill_17rocblas_diagonal_T1_iil.private_seg_size, 0
	.set _ZN9rocsolver6v33100L18trti2_kernel_smallILi17EfPfEEv13rocblas_fill_17rocblas_diagonal_T1_iil.uses_vcc, 1
	.set _ZN9rocsolver6v33100L18trti2_kernel_smallILi17EfPfEEv13rocblas_fill_17rocblas_diagonal_T1_iil.uses_flat_scratch, 0
	.set _ZN9rocsolver6v33100L18trti2_kernel_smallILi17EfPfEEv13rocblas_fill_17rocblas_diagonal_T1_iil.has_dyn_sized_stack, 0
	.set _ZN9rocsolver6v33100L18trti2_kernel_smallILi17EfPfEEv13rocblas_fill_17rocblas_diagonal_T1_iil.has_recursion, 0
	.set _ZN9rocsolver6v33100L18trti2_kernel_smallILi17EfPfEEv13rocblas_fill_17rocblas_diagonal_T1_iil.has_indirect_call, 0
	.section	.AMDGPU.csdata,"",@progbits
; Kernel info:
; codeLenInByte = 21284
; TotalNumSgprs: 48
; NumVgprs: 103
; ScratchSize: 0
; MemoryBound: 0
; FloatMode: 240
; IeeeMode: 1
; LDSByteSize: 148 bytes/workgroup (compile time only)
; SGPRBlocks: 5
; VGPRBlocks: 25
; NumSGPRsForWavesPerEU: 48
; NumVGPRsForWavesPerEU: 103
; Occupancy: 2
; WaveLimiterHint : 0
; COMPUTE_PGM_RSRC2:SCRATCH_EN: 0
; COMPUTE_PGM_RSRC2:USER_SGPR: 6
; COMPUTE_PGM_RSRC2:TRAP_HANDLER: 0
; COMPUTE_PGM_RSRC2:TGID_X_EN: 1
; COMPUTE_PGM_RSRC2:TGID_Y_EN: 0
; COMPUTE_PGM_RSRC2:TGID_Z_EN: 0
; COMPUTE_PGM_RSRC2:TIDIG_COMP_CNT: 0
	.section	.text._ZN9rocsolver6v33100L18trti2_kernel_smallILi18EfPfEEv13rocblas_fill_17rocblas_diagonal_T1_iil,"axG",@progbits,_ZN9rocsolver6v33100L18trti2_kernel_smallILi18EfPfEEv13rocblas_fill_17rocblas_diagonal_T1_iil,comdat
	.globl	_ZN9rocsolver6v33100L18trti2_kernel_smallILi18EfPfEEv13rocblas_fill_17rocblas_diagonal_T1_iil ; -- Begin function _ZN9rocsolver6v33100L18trti2_kernel_smallILi18EfPfEEv13rocblas_fill_17rocblas_diagonal_T1_iil
	.p2align	8
	.type	_ZN9rocsolver6v33100L18trti2_kernel_smallILi18EfPfEEv13rocblas_fill_17rocblas_diagonal_T1_iil,@function
_ZN9rocsolver6v33100L18trti2_kernel_smallILi18EfPfEEv13rocblas_fill_17rocblas_diagonal_T1_iil: ; @_ZN9rocsolver6v33100L18trti2_kernel_smallILi18EfPfEEv13rocblas_fill_17rocblas_diagonal_T1_iil
; %bb.0:
	v_cmp_gt_u32_e32 vcc, 18, v0
	s_and_saveexec_b64 s[0:1], vcc
	s_cbranch_execz .LBB17_432
; %bb.1:
	s_load_dwordx8 s[40:47], s[4:5], 0x0
	s_ashr_i32 s2, s6, 31
	v_lshlrev_b32_e32 v20, 2, v0
	v_mov_b32_e32 v21, -1.0
	s_waitcnt lgkmcnt(0)
	s_mul_hi_u32 s3, s46, s6
	s_mul_i32 s2, s46, s2
	s_add_i32 s2, s3, s2
	s_mul_i32 s3, s47, s6
	s_add_i32 s3, s2, s3
	s_mul_i32 s2, s46, s6
	s_ashr_i32 s1, s44, 31
	s_lshl_b64 s[2:3], s[2:3], 2
	s_mov_b32 s0, s44
	s_add_u32 s2, s42, s2
	s_addc_u32 s3, s43, s3
	s_lshl_b64 s[0:1], s[0:1], 2
	s_add_u32 s0, s2, s0
	s_addc_u32 s1, s3, s1
	s_add_i32 s2, s45, s45
	v_add_u32_e32 v1, s2, v0
	v_ashrrev_i32_e32 v2, 31, v1
	v_lshlrev_b64 v[2:3], 2, v[1:2]
	v_add_u32_e32 v1, s45, v1
	v_mov_b32_e32 v4, s1
	v_add_co_u32_e32 v52, vcc, s0, v2
	v_ashrrev_i32_e32 v2, 31, v1
	v_addc_co_u32_e32 v53, vcc, v4, v3, vcc
	v_lshlrev_b64 v[2:3], 2, v[1:2]
	v_add_u32_e32 v1, s45, v1
	v_add_co_u32_e32 v54, vcc, s0, v2
	v_ashrrev_i32_e32 v2, 31, v1
	v_addc_co_u32_e32 v55, vcc, v4, v3, vcc
	v_lshlrev_b64 v[2:3], 2, v[1:2]
	v_add_u32_e32 v1, s45, v1
	;; [unrolled: 5-line block ×14, first 2 shown]
	v_add_co_u32_e32 v80, vcc, s0, v2
	v_ashrrev_i32_e32 v2, 31, v1
	v_lshlrev_b64 v[1:2], 2, v[1:2]
	v_addc_co_u32_e32 v81, vcc, v4, v3, vcc
	v_mov_b32_e32 v3, s1
	v_add_co_u32_e32 v82, vcc, s0, v1
	v_addc_co_u32_e32 v83, vcc, v3, v2, vcc
	v_mov_b32_e32 v1, s1
	v_add_co_u32_e32 v84, vcc, s0, v20
	s_ashr_i32 s3, s45, 31
	s_mov_b32 s2, s45
	v_addc_co_u32_e32 v85, vcc, 0, v1, vcc
	s_lshl_b64 s[2:3], s[2:3], 2
	v_mov_b32_e32 v1, s3
	v_add_co_u32_e32 v86, vcc, s2, v84
	v_addc_co_u32_e32 v87, vcc, v85, v1, vcc
	global_load_dword v3, v[86:87], off
	global_load_dword v4, v[52:53], off
	;; [unrolled: 1-line block ×16, first 2 shown]
	global_load_dword v2, v20, s[0:1]
	global_load_dword v19, v[82:83], off
	s_cmpk_lg_i32 s41, 0x84
	v_mov_b32_e32 v1, 0
	s_cselect_b64 s[38:39], -1, 0
	s_cmpk_eq_i32 s41, 0x84
	v_cmp_eq_u32_e64 s[0:1], 0, v0
	s_cbranch_scc1 .LBB17_3
; %bb.2:
	v_cmp_eq_u32_e64 s[2:3], 1, v0
	s_waitcnt vmcnt(1)
	v_cndmask_b32_e64 v21, v2, v3, s[2:3]
	v_cmp_eq_u32_e64 s[4:5], 2, v0
	v_cndmask_b32_e64 v21, v21, v4, s[4:5]
	v_cmp_eq_u32_e64 s[6:7], 3, v0
	;; [unrolled: 2-line block ×16, first 2 shown]
	s_waitcnt vmcnt(0)
	v_cndmask_b32_e64 v21, v21, v19, s[36:37]
	v_div_scale_f32 v22, s[42:43], v21, v21, 1.0
	v_div_scale_f32 v23, vcc, 1.0, v21, 1.0
	v_rcp_f32_e32 v24, v22
	v_fma_f32 v25, -v22, v24, 1.0
	v_fmac_f32_e32 v24, v25, v24
	v_mul_f32_e32 v25, v23, v24
	v_fma_f32 v26, -v22, v25, v23
	v_fmac_f32_e32 v25, v26, v24
	v_fma_f32 v22, -v22, v25, v23
	v_div_fmas_f32 v22, v22, v24, v25
	v_div_fixup_f32 v21, v22, v21, 1.0
	v_cndmask_b32_e64 v19, v19, v21, s[36:37]
	v_cndmask_b32_e64 v18, v18, v21, s[34:35]
	;; [unrolled: 1-line block ×18, first 2 shown]
	v_xor_b32_e32 v21, 0x80000000, v21
.LBB17_3:
	s_cmpk_eq_i32 s40, 0x79
	v_add_u32_e32 v88, 0x50, v20
	ds_write_b32 v20, v21
	s_cbranch_scc1 .LBB17_7
; %bb.4:
	s_waitcnt vmcnt(0)
	v_mov_b32_e32 v51, v33
	v_mov_b32_e32 v50, v32
	;; [unrolled: 1-line block ×32, first 2 shown]
	v_cmp_eq_u32_e64 s[0:1], 17, v0
	ds_write_b32 v88, v18
	s_waitcnt lgkmcnt(0)
	; wave barrier
	s_and_saveexec_b64 s[2:3], s[0:1]
	s_cbranch_execz .LBB17_11
; %bb.5:
	s_and_b64 vcc, exec, s[38:39]
	s_cbranch_vccz .LBB17_8
; %bb.6:
	v_cmp_eq_u32_e32 vcc, 1, v0
	v_cndmask_b32_e32 v20, v2, v3, vcc
	v_cmp_eq_u32_e32 vcc, 2, v0
	v_cndmask_b32_e32 v20, v20, v4, vcc
	;; [unrolled: 2-line block ×13, first 2 shown]
	v_cmp_eq_u32_e32 vcc, 14, v0
	ds_read_b32 v21, v88
	v_cndmask_b32_e32 v20, v20, v16, vcc
	v_cmp_eq_u32_e32 vcc, 15, v0
	v_cndmask_b32_e32 v20, v20, v17, vcc
	v_cmp_eq_u32_e32 vcc, 16, v0
	;; [unrolled: 2-line block ×3, first 2 shown]
	v_cndmask_b32_e32 v20, v20, v19, vcc
	s_waitcnt lgkmcnt(0)
	v_mul_f32_e32 v24, v20, v21
	s_cbranch_execz .LBB17_9
	s_branch .LBB17_10
.LBB17_7:
                                        ; implicit-def: $vgpr20_vgpr21_vgpr22_vgpr23_vgpr24_vgpr25_vgpr26_vgpr27_vgpr28_vgpr29_vgpr30_vgpr31_vgpr32_vgpr33_vgpr34_vgpr35_vgpr36_vgpr37_vgpr38_vgpr39_vgpr40_vgpr41_vgpr42_vgpr43_vgpr44_vgpr45_vgpr46_vgpr47_vgpr48_vgpr49_vgpr50_vgpr51
	s_cbranch_execnz .LBB17_258
	s_branch .LBB17_431
.LBB17_8:
                                        ; implicit-def: $vgpr24
.LBB17_9:
	ds_read_b32 v24, v88
.LBB17_10:
	v_mov_b32_e32 v20, 0
	ds_read_b32 v25, v20 offset:64
	v_mov_b32_e32 v20, v2
	v_mov_b32_e32 v21, v3
	;; [unrolled: 1-line block ×4, first 2 shown]
	s_waitcnt lgkmcnt(0)
	v_mul_f32_e32 v36, v24, v25
	v_mov_b32_e32 v24, v6
	v_mov_b32_e32 v25, v7
	;; [unrolled: 1-line block ×13, first 2 shown]
.LBB17_11:
	s_or_b64 exec, exec, s[2:3]
	v_cmp_lt_u32_e64 s[2:3], 15, v0
	ds_write_b32 v88, v35
	s_waitcnt lgkmcnt(0)
	; wave barrier
	s_and_saveexec_b64 s[4:5], s[2:3]
	s_cbranch_execz .LBB17_17
; %bb.12:
	s_andn2_b64 vcc, exec, s[38:39]
	s_cbranch_vccnz .LBB17_14
; %bb.13:
	v_cmp_eq_u32_e32 vcc, 1, v0
	v_cndmask_b32_e32 v38, v20, v21, vcc
	v_cmp_eq_u32_e32 vcc, 2, v0
	v_cndmask_b32_e32 v38, v38, v22, vcc
	;; [unrolled: 2-line block ×15, first 2 shown]
	ds_read_b32 v38, v88
	v_cmp_eq_u32_e32 vcc, 16, v0
	v_cndmask_b32_e32 v35, v35, v36, vcc
	v_cmp_eq_u32_e32 vcc, 17, v0
	v_cndmask_b32_e32 v35, v35, v37, vcc
	s_waitcnt lgkmcnt(0)
	v_mul_f32_e32 v35, v35, v38
	s_cbranch_execz .LBB17_15
	s_branch .LBB17_16
.LBB17_14:
                                        ; implicit-def: $vgpr35
.LBB17_15:
	ds_read_b32 v35, v88
.LBB17_16:
	v_mov_b32_e32 v38, 0
	ds_read2_b32 v[38:39], v38 offset0:15 offset1:36
	s_waitcnt lgkmcnt(0)
	v_fma_f32 v39, v36, v39, v35
	v_cndmask_b32_e64 v35, v35, v39, s[0:1]
	v_mul_f32_e32 v35, v35, v38
.LBB17_17:
	s_or_b64 exec, exec, s[4:5]
	v_cmp_lt_u32_e64 s[0:1], 14, v0
	ds_write_b32 v88, v34
	s_waitcnt lgkmcnt(0)
	; wave barrier
	s_and_saveexec_b64 s[4:5], s[0:1]
	s_cbranch_execz .LBB17_33
; %bb.18:
	s_andn2_b64 vcc, exec, s[38:39]
	s_cbranch_vccnz .LBB17_20
; %bb.19:
	v_cmp_eq_u32_e32 vcc, 1, v0
	v_cndmask_b32_e32 v89, v20, v21, vcc
	v_cmp_eq_u32_e32 vcc, 2, v0
	v_cndmask_b32_e32 v89, v89, v22, vcc
	;; [unrolled: 2-line block ×13, first 2 shown]
	v_cmp_eq_u32_e32 vcc, 14, v0
	ds_read_b32 v90, v88
	v_cndmask_b32_e32 v89, v89, v34, vcc
	v_cmp_eq_u32_e32 vcc, 15, v0
	v_cndmask_b32_e32 v89, v89, v35, vcc
	v_cmp_eq_u32_e32 vcc, 16, v0
	;; [unrolled: 2-line block ×3, first 2 shown]
	v_cndmask_b32_e32 v89, v89, v37, vcc
	s_waitcnt lgkmcnt(0)
	v_mul_f32_e32 v89, v89, v90
	s_cbranch_execz .LBB17_21
	s_branch .LBB17_22
.LBB17_20:
                                        ; implicit-def: $vgpr89
.LBB17_21:
	ds_read_b32 v89, v88
.LBB17_22:
	s_and_saveexec_b64 s[6:7], s[2:3]
	s_cbranch_execz .LBB17_32
; %bb.23:
	v_add_u32_e32 v90, -16, v0
	v_add_u32_e32 v91, -15, v0
	v_cmp_lt_u32_e32 vcc, 6, v90
	v_mov_b32_e32 v90, 15
	s_and_saveexec_b64 s[2:3], vcc
	s_cbranch_execz .LBB17_27
; %bb.24:
	v_and_b32_e32 v90, -8, v91
	v_sub_u32_e32 v92, 0, v90
	s_mov_b64 s[8:9], 22
	s_movk_i32 s12, 0x8c
	s_mov_b64 s[10:11], 0
.LBB17_25:                              ; =>This Inner Loop Header: Depth=1
	s_add_i32 s13, s8, -7
	v_mov_b32_e32 v90, s12
	s_add_i32 s14, s8, -6
	s_set_gpr_idx_on s13, gpr_idx(SRC0)
	v_mov_b32_e32 v99, v20
	s_set_gpr_idx_off
	ds_read2_b32 v[93:94], v90 offset1:1
	s_add_i32 s15, s8, -5
	s_set_gpr_idx_on s14, gpr_idx(SRC0)
	v_mov_b32_e32 v100, v20
	s_set_gpr_idx_off
	s_add_i32 s16, s8, -4
	s_set_gpr_idx_on s15, gpr_idx(SRC0)
	v_mov_b32_e32 v101, v20
	s_set_gpr_idx_off
	ds_read2_b32 v[95:96], v90 offset0:2 offset1:3
	s_add_i32 s17, s8, -3
	s_set_gpr_idx_on s16, gpr_idx(SRC0)
	v_mov_b32_e32 v102, v20
	s_set_gpr_idx_off
	s_add_i32 s18, s8, -2
	s_set_gpr_idx_on s17, gpr_idx(SRC0)
	v_mov_b32_e32 v103, v20
	s_set_gpr_idx_off
	ds_read2_b32 v[97:98], v90 offset0:4 offset1:5
	s_add_i32 s19, s8, -1
	s_waitcnt lgkmcnt(2)
	v_fmac_f32_e32 v89, v99, v93
	s_set_gpr_idx_on s18, gpr_idx(SRC0)
	v_mov_b32_e32 v99, v20
	s_set_gpr_idx_off
	v_fmac_f32_e32 v89, v100, v94
	s_set_gpr_idx_on s19, gpr_idx(SRC0)
	v_mov_b32_e32 v100, v20
	s_set_gpr_idx_off
	ds_read2_b32 v[93:94], v90 offset0:6 offset1:7
	s_waitcnt lgkmcnt(2)
	v_fmac_f32_e32 v89, v101, v95
	s_set_gpr_idx_on s8, gpr_idx(SRC0)
	v_mov_b32_e32 v95, v20
	s_set_gpr_idx_off
	v_fmac_f32_e32 v89, v102, v96
	s_add_u32 s8, s8, 8
	s_waitcnt lgkmcnt(1)
	v_fmac_f32_e32 v89, v103, v97
	v_add_u32_e32 v90, s8, v92
	v_fmac_f32_e32 v89, v99, v98
	s_addc_u32 s9, s9, 0
	s_add_i32 s12, s12, 32
	s_add_i32 s13, s8, -7
	v_cmp_eq_u32_e32 vcc, 22, v90
	s_waitcnt lgkmcnt(0)
	v_fmac_f32_e32 v89, v100, v93
	v_mov_b32_e32 v90, s13
	s_or_b64 s[10:11], vcc, s[10:11]
	v_fmac_f32_e32 v89, v95, v94
	s_andn2_b64 exec, exec, s[10:11]
	s_cbranch_execnz .LBB17_25
; %bb.26:
	s_or_b64 exec, exec, s[10:11]
.LBB17_27:
	s_or_b64 exec, exec, s[2:3]
	v_and_b32_e32 v38, 7, v91
	v_cmp_ne_u32_e32 vcc, 0, v38
	s_and_saveexec_b64 s[8:9], vcc
	s_cbranch_execz .LBB17_31
; %bb.28:
	v_mov_b32_e32 v39, 0x50
	v_lshl_add_u32 v39, v90, 2, v39
	v_mov_b32_e32 v40, 0
	s_mov_b64 s[10:11], 0
.LBB17_29:                              ; =>This Inner Loop Header: Depth=1
	v_cmp_eq_u32_e32 vcc, 1, v90
	v_cndmask_b32_e32 v41, v20, v21, vcc
	v_add_u32_e32 v38, -1, v38
	v_cmp_eq_u32_e32 vcc, 2, v90
	v_cndmask_b32_e32 v41, v41, v22, vcc
	v_cmp_eq_u32_e32 vcc, 0, v38
	v_cmp_eq_u32_e64 s[2:3], 3, v90
	v_cndmask_b32_e64 v41, v41, v23, s[2:3]
	s_or_b64 s[10:11], vcc, s[10:11]
	v_cmp_eq_u32_e32 vcc, 4, v90
	v_cndmask_b32_e32 v41, v41, v24, vcc
	v_cmp_eq_u32_e32 vcc, 5, v90
	v_cndmask_b32_e32 v41, v41, v25, vcc
	;; [unrolled: 2-line block ×9, first 2 shown]
	v_cmp_eq_u32_e32 vcc, 13, v90
	ds_read_b32 v42, v39
	v_cndmask_b32_e32 v41, v41, v33, vcc
	v_cmp_eq_u32_e32 vcc, 14, v90
	v_cndmask_b32_e32 v41, v41, v34, vcc
	v_cmp_eq_u32_e32 vcc, 15, v90
	;; [unrolled: 2-line block ×4, first 2 shown]
	v_add_co_u32_e64 v90, s[2:3], 1, v90
	v_cndmask_b32_e32 v41, v41, v37, vcc
	v_add_u32_e32 v39, 4, v39
	v_addc_co_u32_e64 v40, s[2:3], 0, v40, s[2:3]
	s_waitcnt lgkmcnt(0)
	v_fmac_f32_e32 v89, v41, v42
	s_andn2_b64 exec, exec, s[10:11]
	s_cbranch_execnz .LBB17_29
; %bb.30:
	s_or_b64 exec, exec, s[10:11]
.LBB17_31:
	s_or_b64 exec, exec, s[8:9]
.LBB17_32:
	s_or_b64 exec, exec, s[6:7]
	v_mov_b32_e32 v34, 0
	ds_read_b32 v34, v34 offset:56
	s_waitcnt lgkmcnt(0)
	v_mul_f32_e32 v34, v89, v34
.LBB17_33:
	s_or_b64 exec, exec, s[4:5]
	v_cmp_lt_u32_e64 s[2:3], 13, v0
	ds_write_b32 v88, v33
	s_waitcnt lgkmcnt(0)
	; wave barrier
	s_and_saveexec_b64 s[4:5], s[2:3]
	s_cbranch_execz .LBB17_49
; %bb.34:
	s_andn2_b64 vcc, exec, s[38:39]
	s_cbranch_vccnz .LBB17_36
; %bb.35:
	v_cmp_eq_u32_e32 vcc, 1, v0
	v_cndmask_b32_e32 v89, v20, v21, vcc
	v_cmp_eq_u32_e32 vcc, 2, v0
	v_cndmask_b32_e32 v89, v89, v22, vcc
	;; [unrolled: 2-line block ×13, first 2 shown]
	v_cmp_eq_u32_e32 vcc, 14, v0
	ds_read_b32 v90, v88
	v_cndmask_b32_e32 v89, v89, v34, vcc
	v_cmp_eq_u32_e32 vcc, 15, v0
	v_cndmask_b32_e32 v89, v89, v35, vcc
	v_cmp_eq_u32_e32 vcc, 16, v0
	;; [unrolled: 2-line block ×3, first 2 shown]
	v_cndmask_b32_e32 v89, v89, v37, vcc
	s_waitcnt lgkmcnt(0)
	v_mul_f32_e32 v89, v89, v90
	s_cbranch_execz .LBB17_37
	s_branch .LBB17_38
.LBB17_36:
                                        ; implicit-def: $vgpr89
.LBB17_37:
	ds_read_b32 v89, v88
.LBB17_38:
	s_and_saveexec_b64 s[6:7], s[0:1]
	s_cbranch_execz .LBB17_48
; %bb.39:
	v_add_u32_e32 v90, -15, v0
	v_add_u32_e32 v91, -14, v0
	v_cmp_lt_u32_e32 vcc, 6, v90
	v_mov_b32_e32 v90, 14
	s_and_saveexec_b64 s[0:1], vcc
	s_cbranch_execz .LBB17_43
; %bb.40:
	v_and_b32_e32 v90, -8, v91
	v_sub_u32_e32 v92, 0, v90
	s_mov_b64 s[8:9], 21
	s_movk_i32 s12, 0x88
	s_mov_b64 s[10:11], 0
.LBB17_41:                              ; =>This Inner Loop Header: Depth=1
	s_add_i32 s13, s8, -7
	v_mov_b32_e32 v90, s12
	s_add_i32 s14, s8, -6
	s_set_gpr_idx_on s13, gpr_idx(SRC0)
	v_mov_b32_e32 v101, v20
	s_set_gpr_idx_off
	ds_read2_b64 v[93:96], v90 offset1:1
	s_add_i32 s15, s8, -5
	s_set_gpr_idx_on s14, gpr_idx(SRC0)
	v_mov_b32_e32 v102, v20
	s_set_gpr_idx_off
	s_add_i32 s16, s8, -4
	s_set_gpr_idx_on s15, gpr_idx(SRC0)
	v_mov_b32_e32 v103, v20
	s_set_gpr_idx_off
	;; [unrolled: 4-line block ×4, first 2 shown]
	ds_read2_b64 v[97:100], v90 offset0:2 offset1:3
	s_add_i32 s19, s8, -1
	s_waitcnt lgkmcnt(1)
	v_fmac_f32_e32 v89, v101, v93
	s_set_gpr_idx_on s18, gpr_idx(SRC0)
	v_mov_b32_e32 v93, v20
	s_set_gpr_idx_off
	v_fmac_f32_e32 v89, v102, v94
	s_set_gpr_idx_on s19, gpr_idx(SRC0)
	v_mov_b32_e32 v94, v20
	s_set_gpr_idx_off
	;; [unrolled: 4-line block ×3, first 2 shown]
	v_fmac_f32_e32 v89, v104, v96
	s_add_u32 s8, s8, 8
	s_waitcnt lgkmcnt(0)
	v_fmac_f32_e32 v89, v105, v97
	v_add_u32_e32 v90, s8, v92
	v_fmac_f32_e32 v89, v93, v98
	s_addc_u32 s9, s9, 0
	s_add_i32 s12, s12, 32
	s_add_i32 s13, s8, -7
	v_cmp_eq_u32_e32 vcc, 21, v90
	v_fmac_f32_e32 v89, v94, v99
	v_mov_b32_e32 v90, s13
	s_or_b64 s[10:11], vcc, s[10:11]
	v_fmac_f32_e32 v89, v95, v100
	s_andn2_b64 exec, exec, s[10:11]
	s_cbranch_execnz .LBB17_41
; %bb.42:
	s_or_b64 exec, exec, s[10:11]
.LBB17_43:
	s_or_b64 exec, exec, s[0:1]
	v_and_b32_e32 v38, 7, v91
	v_cmp_ne_u32_e32 vcc, 0, v38
	s_and_saveexec_b64 s[8:9], vcc
	s_cbranch_execz .LBB17_47
; %bb.44:
	v_mov_b32_e32 v39, 0x50
	v_lshl_add_u32 v39, v90, 2, v39
	v_mov_b32_e32 v40, 0
	s_mov_b64 s[10:11], 0
.LBB17_45:                              ; =>This Inner Loop Header: Depth=1
	v_cmp_eq_u32_e32 vcc, 1, v90
	v_cndmask_b32_e32 v41, v20, v21, vcc
	v_add_u32_e32 v38, -1, v38
	v_cmp_eq_u32_e32 vcc, 2, v90
	v_cndmask_b32_e32 v41, v41, v22, vcc
	v_cmp_eq_u32_e32 vcc, 0, v38
	v_cmp_eq_u32_e64 s[0:1], 3, v90
	v_cndmask_b32_e64 v41, v41, v23, s[0:1]
	s_or_b64 s[10:11], vcc, s[10:11]
	v_cmp_eq_u32_e32 vcc, 4, v90
	v_cndmask_b32_e32 v41, v41, v24, vcc
	v_cmp_eq_u32_e32 vcc, 5, v90
	v_cndmask_b32_e32 v41, v41, v25, vcc
	;; [unrolled: 2-line block ×9, first 2 shown]
	v_cmp_eq_u32_e32 vcc, 13, v90
	ds_read_b32 v42, v39
	v_cndmask_b32_e32 v41, v41, v33, vcc
	v_cmp_eq_u32_e32 vcc, 14, v90
	v_cndmask_b32_e32 v41, v41, v34, vcc
	v_cmp_eq_u32_e32 vcc, 15, v90
	;; [unrolled: 2-line block ×4, first 2 shown]
	v_add_co_u32_e64 v90, s[0:1], 1, v90
	v_cndmask_b32_e32 v41, v41, v37, vcc
	v_add_u32_e32 v39, 4, v39
	v_addc_co_u32_e64 v40, s[0:1], 0, v40, s[0:1]
	s_waitcnt lgkmcnt(0)
	v_fmac_f32_e32 v89, v41, v42
	s_andn2_b64 exec, exec, s[10:11]
	s_cbranch_execnz .LBB17_45
; %bb.46:
	s_or_b64 exec, exec, s[10:11]
.LBB17_47:
	s_or_b64 exec, exec, s[8:9]
.LBB17_48:
	s_or_b64 exec, exec, s[6:7]
	v_mov_b32_e32 v33, 0
	ds_read_b32 v33, v33 offset:52
	s_waitcnt lgkmcnt(0)
	v_mul_f32_e32 v33, v89, v33
.LBB17_49:
	s_or_b64 exec, exec, s[4:5]
	v_cmp_lt_u32_e64 s[0:1], 12, v0
	ds_write_b32 v88, v32
	s_waitcnt lgkmcnt(0)
	; wave barrier
	s_and_saveexec_b64 s[4:5], s[0:1]
	s_cbranch_execz .LBB17_65
; %bb.50:
	s_andn2_b64 vcc, exec, s[38:39]
	s_cbranch_vccnz .LBB17_52
; %bb.51:
	v_cmp_eq_u32_e32 vcc, 1, v0
	v_cndmask_b32_e32 v89, v20, v21, vcc
	v_cmp_eq_u32_e32 vcc, 2, v0
	v_cndmask_b32_e32 v89, v89, v22, vcc
	;; [unrolled: 2-line block ×13, first 2 shown]
	v_cmp_eq_u32_e32 vcc, 14, v0
	ds_read_b32 v90, v88
	v_cndmask_b32_e32 v89, v89, v34, vcc
	v_cmp_eq_u32_e32 vcc, 15, v0
	v_cndmask_b32_e32 v89, v89, v35, vcc
	v_cmp_eq_u32_e32 vcc, 16, v0
	v_cndmask_b32_e32 v89, v89, v36, vcc
	v_cmp_eq_u32_e32 vcc, 17, v0
	v_cndmask_b32_e32 v89, v89, v37, vcc
	s_waitcnt lgkmcnt(0)
	v_mul_f32_e32 v89, v89, v90
	s_cbranch_execz .LBB17_53
	s_branch .LBB17_54
.LBB17_52:
                                        ; implicit-def: $vgpr89
.LBB17_53:
	ds_read_b32 v89, v88
.LBB17_54:
	s_and_saveexec_b64 s[6:7], s[2:3]
	s_cbranch_execz .LBB17_64
; %bb.55:
	v_add_u32_e32 v90, -14, v0
	v_add_u32_e32 v91, -13, v0
	v_cmp_lt_u32_e32 vcc, 6, v90
	v_mov_b32_e32 v90, 13
	s_and_saveexec_b64 s[2:3], vcc
	s_cbranch_execz .LBB17_59
; %bb.56:
	v_and_b32_e32 v90, -8, v91
	v_sub_u32_e32 v92, 0, v90
	s_mov_b64 s[8:9], 20
	s_movk_i32 s12, 0x84
	s_mov_b64 s[10:11], 0
.LBB17_57:                              ; =>This Inner Loop Header: Depth=1
	s_add_i32 s13, s8, -7
	v_mov_b32_e32 v90, s12
	s_add_i32 s14, s8, -6
	s_set_gpr_idx_on s13, gpr_idx(SRC0)
	v_mov_b32_e32 v99, v20
	s_set_gpr_idx_off
	ds_read2_b32 v[93:94], v90 offset1:1
	s_add_i32 s15, s8, -5
	s_set_gpr_idx_on s14, gpr_idx(SRC0)
	v_mov_b32_e32 v100, v20
	s_set_gpr_idx_off
	s_add_i32 s16, s8, -4
	s_set_gpr_idx_on s15, gpr_idx(SRC0)
	v_mov_b32_e32 v101, v20
	s_set_gpr_idx_off
	ds_read2_b32 v[95:96], v90 offset0:2 offset1:3
	s_add_i32 s17, s8, -3
	s_set_gpr_idx_on s16, gpr_idx(SRC0)
	v_mov_b32_e32 v102, v20
	s_set_gpr_idx_off
	s_add_i32 s18, s8, -2
	s_set_gpr_idx_on s17, gpr_idx(SRC0)
	v_mov_b32_e32 v103, v20
	s_set_gpr_idx_off
	ds_read2_b32 v[97:98], v90 offset0:4 offset1:5
	s_add_i32 s19, s8, -1
	s_waitcnt lgkmcnt(2)
	v_fmac_f32_e32 v89, v99, v93
	s_set_gpr_idx_on s18, gpr_idx(SRC0)
	v_mov_b32_e32 v99, v20
	s_set_gpr_idx_off
	v_fmac_f32_e32 v89, v100, v94
	s_set_gpr_idx_on s19, gpr_idx(SRC0)
	v_mov_b32_e32 v100, v20
	s_set_gpr_idx_off
	ds_read2_b32 v[93:94], v90 offset0:6 offset1:7
	s_waitcnt lgkmcnt(2)
	v_fmac_f32_e32 v89, v101, v95
	s_set_gpr_idx_on s8, gpr_idx(SRC0)
	v_mov_b32_e32 v95, v20
	s_set_gpr_idx_off
	v_fmac_f32_e32 v89, v102, v96
	s_add_u32 s8, s8, 8
	s_waitcnt lgkmcnt(1)
	v_fmac_f32_e32 v89, v103, v97
	v_add_u32_e32 v90, s8, v92
	v_fmac_f32_e32 v89, v99, v98
	s_addc_u32 s9, s9, 0
	s_add_i32 s12, s12, 32
	s_add_i32 s13, s8, -7
	v_cmp_eq_u32_e32 vcc, 20, v90
	s_waitcnt lgkmcnt(0)
	v_fmac_f32_e32 v89, v100, v93
	v_mov_b32_e32 v90, s13
	s_or_b64 s[10:11], vcc, s[10:11]
	v_fmac_f32_e32 v89, v95, v94
	s_andn2_b64 exec, exec, s[10:11]
	s_cbranch_execnz .LBB17_57
; %bb.58:
	s_or_b64 exec, exec, s[10:11]
.LBB17_59:
	s_or_b64 exec, exec, s[2:3]
	v_and_b32_e32 v38, 7, v91
	v_cmp_ne_u32_e32 vcc, 0, v38
	s_and_saveexec_b64 s[8:9], vcc
	s_cbranch_execz .LBB17_63
; %bb.60:
	v_mov_b32_e32 v39, 0x50
	v_lshl_add_u32 v39, v90, 2, v39
	v_mov_b32_e32 v40, 0
	s_mov_b64 s[10:11], 0
.LBB17_61:                              ; =>This Inner Loop Header: Depth=1
	v_cmp_eq_u32_e32 vcc, 1, v90
	v_cndmask_b32_e32 v41, v20, v21, vcc
	v_add_u32_e32 v38, -1, v38
	v_cmp_eq_u32_e32 vcc, 2, v90
	v_cndmask_b32_e32 v41, v41, v22, vcc
	v_cmp_eq_u32_e32 vcc, 0, v38
	v_cmp_eq_u32_e64 s[2:3], 3, v90
	v_cndmask_b32_e64 v41, v41, v23, s[2:3]
	s_or_b64 s[10:11], vcc, s[10:11]
	v_cmp_eq_u32_e32 vcc, 4, v90
	v_cndmask_b32_e32 v41, v41, v24, vcc
	v_cmp_eq_u32_e32 vcc, 5, v90
	v_cndmask_b32_e32 v41, v41, v25, vcc
	v_cmp_eq_u32_e32 vcc, 6, v90
	v_cndmask_b32_e32 v41, v41, v26, vcc
	v_cmp_eq_u32_e32 vcc, 7, v90
	v_cndmask_b32_e32 v41, v41, v27, vcc
	v_cmp_eq_u32_e32 vcc, 8, v90
	v_cndmask_b32_e32 v41, v41, v28, vcc
	v_cmp_eq_u32_e32 vcc, 9, v90
	v_cndmask_b32_e32 v41, v41, v29, vcc
	v_cmp_eq_u32_e32 vcc, 10, v90
	v_cndmask_b32_e32 v41, v41, v30, vcc
	v_cmp_eq_u32_e32 vcc, 11, v90
	v_cndmask_b32_e32 v41, v41, v31, vcc
	v_cmp_eq_u32_e32 vcc, 12, v90
	v_cndmask_b32_e32 v41, v41, v32, vcc
	v_cmp_eq_u32_e32 vcc, 13, v90
	ds_read_b32 v42, v39
	v_cndmask_b32_e32 v41, v41, v33, vcc
	v_cmp_eq_u32_e32 vcc, 14, v90
	v_cndmask_b32_e32 v41, v41, v34, vcc
	v_cmp_eq_u32_e32 vcc, 15, v90
	v_cndmask_b32_e32 v41, v41, v35, vcc
	v_cmp_eq_u32_e32 vcc, 16, v90
	v_cndmask_b32_e32 v41, v41, v36, vcc
	v_cmp_eq_u32_e32 vcc, 17, v90
	v_add_co_u32_e64 v90, s[2:3], 1, v90
	v_cndmask_b32_e32 v41, v41, v37, vcc
	v_add_u32_e32 v39, 4, v39
	v_addc_co_u32_e64 v40, s[2:3], 0, v40, s[2:3]
	s_waitcnt lgkmcnt(0)
	v_fmac_f32_e32 v89, v41, v42
	s_andn2_b64 exec, exec, s[10:11]
	s_cbranch_execnz .LBB17_61
; %bb.62:
	s_or_b64 exec, exec, s[10:11]
.LBB17_63:
	s_or_b64 exec, exec, s[8:9]
.LBB17_64:
	s_or_b64 exec, exec, s[6:7]
	v_mov_b32_e32 v32, 0
	ds_read_b32 v32, v32 offset:48
	s_waitcnt lgkmcnt(0)
	v_mul_f32_e32 v32, v89, v32
.LBB17_65:
	s_or_b64 exec, exec, s[4:5]
	v_cmp_lt_u32_e64 s[2:3], 11, v0
	ds_write_b32 v88, v31
	s_waitcnt lgkmcnt(0)
	; wave barrier
	s_and_saveexec_b64 s[4:5], s[2:3]
	s_cbranch_execz .LBB17_81
; %bb.66:
	s_andn2_b64 vcc, exec, s[38:39]
	s_cbranch_vccnz .LBB17_68
; %bb.67:
	v_cmp_eq_u32_e32 vcc, 1, v0
	v_cndmask_b32_e32 v89, v20, v21, vcc
	v_cmp_eq_u32_e32 vcc, 2, v0
	v_cndmask_b32_e32 v89, v89, v22, vcc
	;; [unrolled: 2-line block ×13, first 2 shown]
	v_cmp_eq_u32_e32 vcc, 14, v0
	ds_read_b32 v90, v88
	v_cndmask_b32_e32 v89, v89, v34, vcc
	v_cmp_eq_u32_e32 vcc, 15, v0
	v_cndmask_b32_e32 v89, v89, v35, vcc
	v_cmp_eq_u32_e32 vcc, 16, v0
	;; [unrolled: 2-line block ×3, first 2 shown]
	v_cndmask_b32_e32 v89, v89, v37, vcc
	s_waitcnt lgkmcnt(0)
	v_mul_f32_e32 v89, v89, v90
	s_cbranch_execz .LBB17_69
	s_branch .LBB17_70
.LBB17_68:
                                        ; implicit-def: $vgpr89
.LBB17_69:
	ds_read_b32 v89, v88
.LBB17_70:
	s_and_saveexec_b64 s[6:7], s[0:1]
	s_cbranch_execz .LBB17_80
; %bb.71:
	v_add_u32_e32 v90, -13, v0
	v_add_u32_e32 v91, -12, v0
	v_cmp_lt_u32_e32 vcc, 6, v90
	v_mov_b32_e32 v90, 12
	s_and_saveexec_b64 s[0:1], vcc
	s_cbranch_execz .LBB17_75
; %bb.72:
	v_and_b32_e32 v90, -8, v91
	v_sub_u32_e32 v92, 0, v90
	s_mov_b64 s[8:9], 19
	s_movk_i32 s12, 0x80
	s_mov_b64 s[10:11], 0
.LBB17_73:                              ; =>This Inner Loop Header: Depth=1
	s_add_i32 s13, s8, -7
	v_mov_b32_e32 v90, s12
	s_add_i32 s14, s8, -6
	s_set_gpr_idx_on s13, gpr_idx(SRC0)
	v_mov_b32_e32 v101, v20
	s_set_gpr_idx_off
	s_add_i32 s15, s8, -5
	ds_read_b128 v[93:96], v90
	ds_read_b128 v[97:100], v90 offset:16
	s_set_gpr_idx_on s14, gpr_idx(SRC0)
	v_mov_b32_e32 v90, v20
	s_set_gpr_idx_off
	s_add_i32 s16, s8, -4
	s_set_gpr_idx_on s15, gpr_idx(SRC0)
	v_mov_b32_e32 v102, v20
	s_set_gpr_idx_off
	s_add_i32 s17, s8, -3
	;; [unrolled: 4-line block ×4, first 2 shown]
	s_waitcnt lgkmcnt(1)
	v_fmac_f32_e32 v89, v101, v93
	s_set_gpr_idx_on s18, gpr_idx(SRC0)
	v_mov_b32_e32 v93, v20
	s_set_gpr_idx_off
	v_fmac_f32_e32 v89, v90, v94
	s_set_gpr_idx_on s19, gpr_idx(SRC0)
	v_mov_b32_e32 v94, v20
	s_set_gpr_idx_off
	;; [unrolled: 4-line block ×3, first 2 shown]
	v_fmac_f32_e32 v89, v103, v96
	s_add_u32 s8, s8, 8
	s_waitcnt lgkmcnt(0)
	v_fmac_f32_e32 v89, v104, v97
	v_add_u32_e32 v90, s8, v92
	v_fmac_f32_e32 v89, v93, v98
	s_addc_u32 s9, s9, 0
	s_add_i32 s12, s12, 32
	s_add_i32 s13, s8, -7
	v_cmp_eq_u32_e32 vcc, 19, v90
	v_fmac_f32_e32 v89, v94, v99
	v_mov_b32_e32 v90, s13
	s_or_b64 s[10:11], vcc, s[10:11]
	v_fmac_f32_e32 v89, v95, v100
	s_andn2_b64 exec, exec, s[10:11]
	s_cbranch_execnz .LBB17_73
; %bb.74:
	s_or_b64 exec, exec, s[10:11]
.LBB17_75:
	s_or_b64 exec, exec, s[0:1]
	v_and_b32_e32 v38, 7, v91
	v_cmp_ne_u32_e32 vcc, 0, v38
	s_and_saveexec_b64 s[8:9], vcc
	s_cbranch_execz .LBB17_79
; %bb.76:
	v_mov_b32_e32 v39, 0x50
	v_lshl_add_u32 v39, v90, 2, v39
	v_mov_b32_e32 v40, 0
	s_mov_b64 s[10:11], 0
.LBB17_77:                              ; =>This Inner Loop Header: Depth=1
	v_cmp_eq_u32_e32 vcc, 1, v90
	v_cndmask_b32_e32 v41, v20, v21, vcc
	v_add_u32_e32 v38, -1, v38
	v_cmp_eq_u32_e32 vcc, 2, v90
	v_cndmask_b32_e32 v41, v41, v22, vcc
	v_cmp_eq_u32_e32 vcc, 0, v38
	v_cmp_eq_u32_e64 s[0:1], 3, v90
	v_cndmask_b32_e64 v41, v41, v23, s[0:1]
	s_or_b64 s[10:11], vcc, s[10:11]
	v_cmp_eq_u32_e32 vcc, 4, v90
	v_cndmask_b32_e32 v41, v41, v24, vcc
	v_cmp_eq_u32_e32 vcc, 5, v90
	v_cndmask_b32_e32 v41, v41, v25, vcc
	;; [unrolled: 2-line block ×9, first 2 shown]
	v_cmp_eq_u32_e32 vcc, 13, v90
	ds_read_b32 v42, v39
	v_cndmask_b32_e32 v41, v41, v33, vcc
	v_cmp_eq_u32_e32 vcc, 14, v90
	v_cndmask_b32_e32 v41, v41, v34, vcc
	v_cmp_eq_u32_e32 vcc, 15, v90
	;; [unrolled: 2-line block ×4, first 2 shown]
	v_add_co_u32_e64 v90, s[0:1], 1, v90
	v_cndmask_b32_e32 v41, v41, v37, vcc
	v_add_u32_e32 v39, 4, v39
	v_addc_co_u32_e64 v40, s[0:1], 0, v40, s[0:1]
	s_waitcnt lgkmcnt(0)
	v_fmac_f32_e32 v89, v41, v42
	s_andn2_b64 exec, exec, s[10:11]
	s_cbranch_execnz .LBB17_77
; %bb.78:
	s_or_b64 exec, exec, s[10:11]
.LBB17_79:
	s_or_b64 exec, exec, s[8:9]
.LBB17_80:
	s_or_b64 exec, exec, s[6:7]
	v_mov_b32_e32 v31, 0
	ds_read_b32 v31, v31 offset:44
	s_waitcnt lgkmcnt(0)
	v_mul_f32_e32 v31, v89, v31
.LBB17_81:
	s_or_b64 exec, exec, s[4:5]
	v_cmp_lt_u32_e64 s[0:1], 10, v0
	ds_write_b32 v88, v30
	s_waitcnt lgkmcnt(0)
	; wave barrier
	s_and_saveexec_b64 s[4:5], s[0:1]
	s_cbranch_execz .LBB17_97
; %bb.82:
	s_andn2_b64 vcc, exec, s[38:39]
	s_cbranch_vccnz .LBB17_84
; %bb.83:
	v_cmp_eq_u32_e32 vcc, 1, v0
	v_cndmask_b32_e32 v89, v20, v21, vcc
	v_cmp_eq_u32_e32 vcc, 2, v0
	v_cndmask_b32_e32 v89, v89, v22, vcc
	;; [unrolled: 2-line block ×13, first 2 shown]
	v_cmp_eq_u32_e32 vcc, 14, v0
	ds_read_b32 v90, v88
	v_cndmask_b32_e32 v89, v89, v34, vcc
	v_cmp_eq_u32_e32 vcc, 15, v0
	v_cndmask_b32_e32 v89, v89, v35, vcc
	v_cmp_eq_u32_e32 vcc, 16, v0
	v_cndmask_b32_e32 v89, v89, v36, vcc
	v_cmp_eq_u32_e32 vcc, 17, v0
	v_cndmask_b32_e32 v89, v89, v37, vcc
	s_waitcnt lgkmcnt(0)
	v_mul_f32_e32 v89, v89, v90
	s_cbranch_execz .LBB17_85
	s_branch .LBB17_86
.LBB17_84:
                                        ; implicit-def: $vgpr89
.LBB17_85:
	ds_read_b32 v89, v88
.LBB17_86:
	s_and_saveexec_b64 s[6:7], s[2:3]
	s_cbranch_execz .LBB17_96
; %bb.87:
	v_add_u32_e32 v90, -12, v0
	v_add_u32_e32 v91, -11, v0
	v_cmp_lt_u32_e32 vcc, 6, v90
	v_mov_b32_e32 v90, 11
	s_and_saveexec_b64 s[2:3], vcc
	s_cbranch_execz .LBB17_91
; %bb.88:
	v_and_b32_e32 v90, -8, v91
	v_sub_u32_e32 v92, 0, v90
	s_mov_b64 s[8:9], 18
	s_movk_i32 s12, 0x7c
	s_mov_b64 s[10:11], 0
.LBB17_89:                              ; =>This Inner Loop Header: Depth=1
	s_add_i32 s13, s8, -7
	v_mov_b32_e32 v90, s12
	s_add_i32 s14, s8, -6
	s_set_gpr_idx_on s13, gpr_idx(SRC0)
	v_mov_b32_e32 v99, v20
	s_set_gpr_idx_off
	ds_read2_b32 v[93:94], v90 offset1:1
	s_add_i32 s15, s8, -5
	s_set_gpr_idx_on s14, gpr_idx(SRC0)
	v_mov_b32_e32 v100, v20
	s_set_gpr_idx_off
	s_add_i32 s16, s8, -4
	s_set_gpr_idx_on s15, gpr_idx(SRC0)
	v_mov_b32_e32 v101, v20
	s_set_gpr_idx_off
	ds_read2_b32 v[95:96], v90 offset0:2 offset1:3
	s_add_i32 s17, s8, -3
	s_set_gpr_idx_on s16, gpr_idx(SRC0)
	v_mov_b32_e32 v102, v20
	s_set_gpr_idx_off
	s_add_i32 s18, s8, -2
	s_set_gpr_idx_on s17, gpr_idx(SRC0)
	v_mov_b32_e32 v103, v20
	s_set_gpr_idx_off
	ds_read2_b32 v[97:98], v90 offset0:4 offset1:5
	s_add_i32 s19, s8, -1
	s_waitcnt lgkmcnt(2)
	v_fmac_f32_e32 v89, v99, v93
	s_set_gpr_idx_on s18, gpr_idx(SRC0)
	v_mov_b32_e32 v99, v20
	s_set_gpr_idx_off
	v_fmac_f32_e32 v89, v100, v94
	s_set_gpr_idx_on s19, gpr_idx(SRC0)
	v_mov_b32_e32 v100, v20
	s_set_gpr_idx_off
	ds_read2_b32 v[93:94], v90 offset0:6 offset1:7
	s_waitcnt lgkmcnt(2)
	v_fmac_f32_e32 v89, v101, v95
	s_set_gpr_idx_on s8, gpr_idx(SRC0)
	v_mov_b32_e32 v95, v20
	s_set_gpr_idx_off
	v_fmac_f32_e32 v89, v102, v96
	s_add_u32 s8, s8, 8
	s_waitcnt lgkmcnt(1)
	v_fmac_f32_e32 v89, v103, v97
	v_add_u32_e32 v90, s8, v92
	v_fmac_f32_e32 v89, v99, v98
	s_addc_u32 s9, s9, 0
	s_add_i32 s12, s12, 32
	s_add_i32 s13, s8, -7
	v_cmp_eq_u32_e32 vcc, 18, v90
	s_waitcnt lgkmcnt(0)
	v_fmac_f32_e32 v89, v100, v93
	v_mov_b32_e32 v90, s13
	s_or_b64 s[10:11], vcc, s[10:11]
	v_fmac_f32_e32 v89, v95, v94
	s_andn2_b64 exec, exec, s[10:11]
	s_cbranch_execnz .LBB17_89
; %bb.90:
	s_or_b64 exec, exec, s[10:11]
.LBB17_91:
	s_or_b64 exec, exec, s[2:3]
	v_and_b32_e32 v38, 7, v91
	v_cmp_ne_u32_e32 vcc, 0, v38
	s_and_saveexec_b64 s[8:9], vcc
	s_cbranch_execz .LBB17_95
; %bb.92:
	v_mov_b32_e32 v39, 0x50
	v_lshl_add_u32 v39, v90, 2, v39
	v_mov_b32_e32 v40, 0
	s_mov_b64 s[10:11], 0
.LBB17_93:                              ; =>This Inner Loop Header: Depth=1
	v_cmp_eq_u32_e32 vcc, 1, v90
	v_cndmask_b32_e32 v41, v20, v21, vcc
	v_add_u32_e32 v38, -1, v38
	v_cmp_eq_u32_e32 vcc, 2, v90
	v_cndmask_b32_e32 v41, v41, v22, vcc
	v_cmp_eq_u32_e32 vcc, 0, v38
	v_cmp_eq_u32_e64 s[2:3], 3, v90
	v_cndmask_b32_e64 v41, v41, v23, s[2:3]
	s_or_b64 s[10:11], vcc, s[10:11]
	v_cmp_eq_u32_e32 vcc, 4, v90
	v_cndmask_b32_e32 v41, v41, v24, vcc
	v_cmp_eq_u32_e32 vcc, 5, v90
	v_cndmask_b32_e32 v41, v41, v25, vcc
	v_cmp_eq_u32_e32 vcc, 6, v90
	v_cndmask_b32_e32 v41, v41, v26, vcc
	v_cmp_eq_u32_e32 vcc, 7, v90
	v_cndmask_b32_e32 v41, v41, v27, vcc
	v_cmp_eq_u32_e32 vcc, 8, v90
	v_cndmask_b32_e32 v41, v41, v28, vcc
	v_cmp_eq_u32_e32 vcc, 9, v90
	v_cndmask_b32_e32 v41, v41, v29, vcc
	v_cmp_eq_u32_e32 vcc, 10, v90
	v_cndmask_b32_e32 v41, v41, v30, vcc
	v_cmp_eq_u32_e32 vcc, 11, v90
	v_cndmask_b32_e32 v41, v41, v31, vcc
	v_cmp_eq_u32_e32 vcc, 12, v90
	v_cndmask_b32_e32 v41, v41, v32, vcc
	v_cmp_eq_u32_e32 vcc, 13, v90
	ds_read_b32 v42, v39
	v_cndmask_b32_e32 v41, v41, v33, vcc
	v_cmp_eq_u32_e32 vcc, 14, v90
	v_cndmask_b32_e32 v41, v41, v34, vcc
	v_cmp_eq_u32_e32 vcc, 15, v90
	;; [unrolled: 2-line block ×4, first 2 shown]
	v_add_co_u32_e64 v90, s[2:3], 1, v90
	v_cndmask_b32_e32 v41, v41, v37, vcc
	v_add_u32_e32 v39, 4, v39
	v_addc_co_u32_e64 v40, s[2:3], 0, v40, s[2:3]
	s_waitcnt lgkmcnt(0)
	v_fmac_f32_e32 v89, v41, v42
	s_andn2_b64 exec, exec, s[10:11]
	s_cbranch_execnz .LBB17_93
; %bb.94:
	s_or_b64 exec, exec, s[10:11]
.LBB17_95:
	s_or_b64 exec, exec, s[8:9]
.LBB17_96:
	s_or_b64 exec, exec, s[6:7]
	v_mov_b32_e32 v30, 0
	ds_read_b32 v30, v30 offset:40
	s_waitcnt lgkmcnt(0)
	v_mul_f32_e32 v30, v89, v30
.LBB17_97:
	s_or_b64 exec, exec, s[4:5]
	v_cmp_lt_u32_e64 s[2:3], 9, v0
	ds_write_b32 v88, v29
	s_waitcnt lgkmcnt(0)
	; wave barrier
	s_and_saveexec_b64 s[4:5], s[2:3]
	s_cbranch_execz .LBB17_113
; %bb.98:
	s_andn2_b64 vcc, exec, s[38:39]
	s_cbranch_vccnz .LBB17_100
; %bb.99:
	v_cmp_eq_u32_e32 vcc, 1, v0
	v_cndmask_b32_e32 v89, v20, v21, vcc
	v_cmp_eq_u32_e32 vcc, 2, v0
	v_cndmask_b32_e32 v89, v89, v22, vcc
	;; [unrolled: 2-line block ×13, first 2 shown]
	v_cmp_eq_u32_e32 vcc, 14, v0
	ds_read_b32 v90, v88
	v_cndmask_b32_e32 v89, v89, v34, vcc
	v_cmp_eq_u32_e32 vcc, 15, v0
	v_cndmask_b32_e32 v89, v89, v35, vcc
	v_cmp_eq_u32_e32 vcc, 16, v0
	;; [unrolled: 2-line block ×3, first 2 shown]
	v_cndmask_b32_e32 v89, v89, v37, vcc
	s_waitcnt lgkmcnt(0)
	v_mul_f32_e32 v89, v89, v90
	s_cbranch_execz .LBB17_101
	s_branch .LBB17_102
.LBB17_100:
                                        ; implicit-def: $vgpr89
.LBB17_101:
	ds_read_b32 v89, v88
.LBB17_102:
	s_and_saveexec_b64 s[6:7], s[0:1]
	s_cbranch_execz .LBB17_112
; %bb.103:
	v_add_u32_e32 v90, -11, v0
	v_add_u32_e32 v91, -10, v0
	v_cmp_lt_u32_e32 vcc, 6, v90
	v_mov_b32_e32 v90, 10
	s_and_saveexec_b64 s[0:1], vcc
	s_cbranch_execz .LBB17_107
; %bb.104:
	v_and_b32_e32 v90, -8, v91
	v_sub_u32_e32 v92, 0, v90
	s_mov_b64 s[8:9], 17
	s_movk_i32 s12, 0x78
	s_mov_b64 s[10:11], 0
.LBB17_105:                             ; =>This Inner Loop Header: Depth=1
	s_add_i32 s13, s8, -7
	v_mov_b32_e32 v90, s12
	s_add_i32 s14, s8, -6
	s_set_gpr_idx_on s13, gpr_idx(SRC0)
	v_mov_b32_e32 v101, v20
	s_set_gpr_idx_off
	ds_read2_b64 v[93:96], v90 offset1:1
	s_add_i32 s15, s8, -5
	s_set_gpr_idx_on s14, gpr_idx(SRC0)
	v_mov_b32_e32 v102, v20
	s_set_gpr_idx_off
	s_add_i32 s16, s8, -4
	s_set_gpr_idx_on s15, gpr_idx(SRC0)
	v_mov_b32_e32 v103, v20
	s_set_gpr_idx_off
	;; [unrolled: 4-line block ×4, first 2 shown]
	ds_read2_b64 v[97:100], v90 offset0:2 offset1:3
	s_add_i32 s19, s8, -1
	s_waitcnt lgkmcnt(1)
	v_fmac_f32_e32 v89, v101, v93
	s_set_gpr_idx_on s18, gpr_idx(SRC0)
	v_mov_b32_e32 v93, v20
	s_set_gpr_idx_off
	v_fmac_f32_e32 v89, v102, v94
	s_set_gpr_idx_on s19, gpr_idx(SRC0)
	v_mov_b32_e32 v94, v20
	s_set_gpr_idx_off
	;; [unrolled: 4-line block ×3, first 2 shown]
	v_fmac_f32_e32 v89, v104, v96
	s_add_u32 s8, s8, 8
	s_waitcnt lgkmcnt(0)
	v_fmac_f32_e32 v89, v105, v97
	v_add_u32_e32 v90, s8, v92
	v_fmac_f32_e32 v89, v93, v98
	s_addc_u32 s9, s9, 0
	s_add_i32 s12, s12, 32
	s_add_i32 s13, s8, -7
	v_cmp_eq_u32_e32 vcc, 17, v90
	v_fmac_f32_e32 v89, v94, v99
	v_mov_b32_e32 v90, s13
	s_or_b64 s[10:11], vcc, s[10:11]
	v_fmac_f32_e32 v89, v95, v100
	s_andn2_b64 exec, exec, s[10:11]
	s_cbranch_execnz .LBB17_105
; %bb.106:
	s_or_b64 exec, exec, s[10:11]
.LBB17_107:
	s_or_b64 exec, exec, s[0:1]
	v_and_b32_e32 v38, 7, v91
	v_cmp_ne_u32_e32 vcc, 0, v38
	s_and_saveexec_b64 s[8:9], vcc
	s_cbranch_execz .LBB17_111
; %bb.108:
	v_mov_b32_e32 v39, 0x50
	v_lshl_add_u32 v39, v90, 2, v39
	v_mov_b32_e32 v40, 0
	s_mov_b64 s[10:11], 0
.LBB17_109:                             ; =>This Inner Loop Header: Depth=1
	v_cmp_eq_u32_e32 vcc, 1, v90
	v_cndmask_b32_e32 v41, v20, v21, vcc
	v_add_u32_e32 v38, -1, v38
	v_cmp_eq_u32_e32 vcc, 2, v90
	v_cndmask_b32_e32 v41, v41, v22, vcc
	v_cmp_eq_u32_e32 vcc, 0, v38
	v_cmp_eq_u32_e64 s[0:1], 3, v90
	v_cndmask_b32_e64 v41, v41, v23, s[0:1]
	s_or_b64 s[10:11], vcc, s[10:11]
	v_cmp_eq_u32_e32 vcc, 4, v90
	v_cndmask_b32_e32 v41, v41, v24, vcc
	v_cmp_eq_u32_e32 vcc, 5, v90
	v_cndmask_b32_e32 v41, v41, v25, vcc
	;; [unrolled: 2-line block ×9, first 2 shown]
	v_cmp_eq_u32_e32 vcc, 13, v90
	ds_read_b32 v42, v39
	v_cndmask_b32_e32 v41, v41, v33, vcc
	v_cmp_eq_u32_e32 vcc, 14, v90
	v_cndmask_b32_e32 v41, v41, v34, vcc
	v_cmp_eq_u32_e32 vcc, 15, v90
	;; [unrolled: 2-line block ×4, first 2 shown]
	v_add_co_u32_e64 v90, s[0:1], 1, v90
	v_cndmask_b32_e32 v41, v41, v37, vcc
	v_add_u32_e32 v39, 4, v39
	v_addc_co_u32_e64 v40, s[0:1], 0, v40, s[0:1]
	s_waitcnt lgkmcnt(0)
	v_fmac_f32_e32 v89, v41, v42
	s_andn2_b64 exec, exec, s[10:11]
	s_cbranch_execnz .LBB17_109
; %bb.110:
	s_or_b64 exec, exec, s[10:11]
.LBB17_111:
	s_or_b64 exec, exec, s[8:9]
.LBB17_112:
	s_or_b64 exec, exec, s[6:7]
	v_mov_b32_e32 v29, 0
	ds_read_b32 v29, v29 offset:36
	s_waitcnt lgkmcnt(0)
	v_mul_f32_e32 v29, v89, v29
.LBB17_113:
	s_or_b64 exec, exec, s[4:5]
	v_cmp_lt_u32_e64 s[0:1], 8, v0
	ds_write_b32 v88, v28
	s_waitcnt lgkmcnt(0)
	; wave barrier
	s_and_saveexec_b64 s[4:5], s[0:1]
	s_cbranch_execz .LBB17_129
; %bb.114:
	s_andn2_b64 vcc, exec, s[38:39]
	s_cbranch_vccnz .LBB17_116
; %bb.115:
	v_cmp_eq_u32_e32 vcc, 1, v0
	v_cndmask_b32_e32 v89, v20, v21, vcc
	v_cmp_eq_u32_e32 vcc, 2, v0
	v_cndmask_b32_e32 v89, v89, v22, vcc
	;; [unrolled: 2-line block ×13, first 2 shown]
	v_cmp_eq_u32_e32 vcc, 14, v0
	ds_read_b32 v90, v88
	v_cndmask_b32_e32 v89, v89, v34, vcc
	v_cmp_eq_u32_e32 vcc, 15, v0
	v_cndmask_b32_e32 v89, v89, v35, vcc
	v_cmp_eq_u32_e32 vcc, 16, v0
	;; [unrolled: 2-line block ×3, first 2 shown]
	v_cndmask_b32_e32 v89, v89, v37, vcc
	s_waitcnt lgkmcnt(0)
	v_mul_f32_e32 v89, v89, v90
	s_cbranch_execz .LBB17_117
	s_branch .LBB17_118
.LBB17_116:
                                        ; implicit-def: $vgpr89
.LBB17_117:
	ds_read_b32 v89, v88
.LBB17_118:
	s_and_saveexec_b64 s[6:7], s[2:3]
	s_cbranch_execz .LBB17_128
; %bb.119:
	v_add_u32_e32 v90, -10, v0
	v_add_u32_e32 v91, -9, v0
	v_cmp_lt_u32_e32 vcc, 6, v90
	v_mov_b32_e32 v90, 9
	s_and_saveexec_b64 s[2:3], vcc
	s_cbranch_execz .LBB17_123
; %bb.120:
	v_and_b32_e32 v90, -8, v91
	v_sub_u32_e32 v92, 0, v90
	s_mov_b64 s[8:9], 16
	s_movk_i32 s12, 0x74
	s_mov_b64 s[10:11], 0
.LBB17_121:                             ; =>This Inner Loop Header: Depth=1
	s_add_i32 s13, s8, -7
	v_mov_b32_e32 v90, s12
	s_add_i32 s14, s8, -6
	s_set_gpr_idx_on s13, gpr_idx(SRC0)
	v_mov_b32_e32 v99, v20
	s_set_gpr_idx_off
	ds_read2_b32 v[93:94], v90 offset1:1
	s_add_i32 s15, s8, -5
	s_set_gpr_idx_on s14, gpr_idx(SRC0)
	v_mov_b32_e32 v100, v20
	s_set_gpr_idx_off
	s_add_i32 s16, s8, -4
	s_set_gpr_idx_on s15, gpr_idx(SRC0)
	v_mov_b32_e32 v101, v20
	s_set_gpr_idx_off
	ds_read2_b32 v[95:96], v90 offset0:2 offset1:3
	s_add_i32 s17, s8, -3
	s_set_gpr_idx_on s16, gpr_idx(SRC0)
	v_mov_b32_e32 v102, v20
	s_set_gpr_idx_off
	s_add_i32 s18, s8, -2
	s_set_gpr_idx_on s17, gpr_idx(SRC0)
	v_mov_b32_e32 v103, v20
	s_set_gpr_idx_off
	ds_read2_b32 v[97:98], v90 offset0:4 offset1:5
	s_add_i32 s19, s8, -1
	s_waitcnt lgkmcnt(2)
	v_fmac_f32_e32 v89, v99, v93
	s_set_gpr_idx_on s18, gpr_idx(SRC0)
	v_mov_b32_e32 v99, v20
	s_set_gpr_idx_off
	v_fmac_f32_e32 v89, v100, v94
	s_set_gpr_idx_on s19, gpr_idx(SRC0)
	v_mov_b32_e32 v100, v20
	s_set_gpr_idx_off
	ds_read2_b32 v[93:94], v90 offset0:6 offset1:7
	s_waitcnt lgkmcnt(2)
	v_fmac_f32_e32 v89, v101, v95
	s_set_gpr_idx_on s8, gpr_idx(SRC0)
	v_mov_b32_e32 v95, v20
	s_set_gpr_idx_off
	v_fmac_f32_e32 v89, v102, v96
	s_add_u32 s8, s8, 8
	s_waitcnt lgkmcnt(1)
	v_fmac_f32_e32 v89, v103, v97
	v_add_u32_e32 v90, s8, v92
	v_fmac_f32_e32 v89, v99, v98
	s_addc_u32 s9, s9, 0
	s_add_i32 s12, s12, 32
	s_add_i32 s13, s8, -7
	v_cmp_eq_u32_e32 vcc, 16, v90
	s_waitcnt lgkmcnt(0)
	v_fmac_f32_e32 v89, v100, v93
	v_mov_b32_e32 v90, s13
	s_or_b64 s[10:11], vcc, s[10:11]
	v_fmac_f32_e32 v89, v95, v94
	s_andn2_b64 exec, exec, s[10:11]
	s_cbranch_execnz .LBB17_121
; %bb.122:
	s_or_b64 exec, exec, s[10:11]
.LBB17_123:
	s_or_b64 exec, exec, s[2:3]
	v_and_b32_e32 v38, 7, v91
	v_cmp_ne_u32_e32 vcc, 0, v38
	s_and_saveexec_b64 s[8:9], vcc
	s_cbranch_execz .LBB17_127
; %bb.124:
	v_mov_b32_e32 v39, 0x50
	v_lshl_add_u32 v39, v90, 2, v39
	v_mov_b32_e32 v40, 0
	s_mov_b64 s[10:11], 0
.LBB17_125:                             ; =>This Inner Loop Header: Depth=1
	v_cmp_eq_u32_e32 vcc, 1, v90
	v_cndmask_b32_e32 v41, v20, v21, vcc
	v_add_u32_e32 v38, -1, v38
	v_cmp_eq_u32_e32 vcc, 2, v90
	v_cndmask_b32_e32 v41, v41, v22, vcc
	v_cmp_eq_u32_e32 vcc, 0, v38
	v_cmp_eq_u32_e64 s[2:3], 3, v90
	v_cndmask_b32_e64 v41, v41, v23, s[2:3]
	s_or_b64 s[10:11], vcc, s[10:11]
	v_cmp_eq_u32_e32 vcc, 4, v90
	v_cndmask_b32_e32 v41, v41, v24, vcc
	v_cmp_eq_u32_e32 vcc, 5, v90
	v_cndmask_b32_e32 v41, v41, v25, vcc
	;; [unrolled: 2-line block ×9, first 2 shown]
	v_cmp_eq_u32_e32 vcc, 13, v90
	ds_read_b32 v42, v39
	v_cndmask_b32_e32 v41, v41, v33, vcc
	v_cmp_eq_u32_e32 vcc, 14, v90
	v_cndmask_b32_e32 v41, v41, v34, vcc
	v_cmp_eq_u32_e32 vcc, 15, v90
	;; [unrolled: 2-line block ×4, first 2 shown]
	v_add_co_u32_e64 v90, s[2:3], 1, v90
	v_cndmask_b32_e32 v41, v41, v37, vcc
	v_add_u32_e32 v39, 4, v39
	v_addc_co_u32_e64 v40, s[2:3], 0, v40, s[2:3]
	s_waitcnt lgkmcnt(0)
	v_fmac_f32_e32 v89, v41, v42
	s_andn2_b64 exec, exec, s[10:11]
	s_cbranch_execnz .LBB17_125
; %bb.126:
	s_or_b64 exec, exec, s[10:11]
.LBB17_127:
	s_or_b64 exec, exec, s[8:9]
.LBB17_128:
	s_or_b64 exec, exec, s[6:7]
	v_mov_b32_e32 v28, 0
	ds_read_b32 v28, v28 offset:32
	s_waitcnt lgkmcnt(0)
	v_mul_f32_e32 v28, v89, v28
.LBB17_129:
	s_or_b64 exec, exec, s[4:5]
	v_cmp_lt_u32_e64 s[2:3], 7, v0
	ds_write_b32 v88, v27
	s_waitcnt lgkmcnt(0)
	; wave barrier
	s_and_saveexec_b64 s[4:5], s[2:3]
	s_cbranch_execz .LBB17_145
; %bb.130:
	s_andn2_b64 vcc, exec, s[38:39]
	s_cbranch_vccnz .LBB17_132
; %bb.131:
	v_cmp_eq_u32_e32 vcc, 1, v0
	v_cndmask_b32_e32 v89, v20, v21, vcc
	v_cmp_eq_u32_e32 vcc, 2, v0
	v_cndmask_b32_e32 v89, v89, v22, vcc
	;; [unrolled: 2-line block ×13, first 2 shown]
	v_cmp_eq_u32_e32 vcc, 14, v0
	ds_read_b32 v90, v88
	v_cndmask_b32_e32 v89, v89, v34, vcc
	v_cmp_eq_u32_e32 vcc, 15, v0
	v_cndmask_b32_e32 v89, v89, v35, vcc
	v_cmp_eq_u32_e32 vcc, 16, v0
	;; [unrolled: 2-line block ×3, first 2 shown]
	v_cndmask_b32_e32 v89, v89, v37, vcc
	s_waitcnt lgkmcnt(0)
	v_mul_f32_e32 v89, v89, v90
	s_cbranch_execz .LBB17_133
	s_branch .LBB17_134
.LBB17_132:
                                        ; implicit-def: $vgpr89
.LBB17_133:
	ds_read_b32 v89, v88
.LBB17_134:
	s_and_saveexec_b64 s[6:7], s[0:1]
	s_cbranch_execz .LBB17_144
; %bb.135:
	v_add_u32_e32 v90, -9, v0
	v_cmp_lt_u32_e32 vcc, 6, v90
	v_mov_b32_e32 v90, 8
	s_and_saveexec_b64 s[0:1], vcc
	s_cbranch_execz .LBB17_139
; %bb.136:
	v_and_b32_e32 v90, 24, v0
	v_sub_u32_e32 v91, 0, v90
	s_mov_b64 s[8:9], 15
	s_movk_i32 s12, 0x70
	s_mov_b64 s[10:11], 0
.LBB17_137:                             ; =>This Inner Loop Header: Depth=1
	s_add_i32 s13, s8, -7
	v_mov_b32_e32 v90, s12
	s_add_i32 s14, s8, -6
	s_set_gpr_idx_on s13, gpr_idx(SRC0)
	v_mov_b32_e32 v100, v20
	s_set_gpr_idx_off
	s_add_i32 s15, s8, -5
	ds_read_b128 v[92:95], v90
	ds_read_b128 v[96:99], v90 offset:16
	s_set_gpr_idx_on s14, gpr_idx(SRC0)
	v_mov_b32_e32 v90, v20
	s_set_gpr_idx_off
	s_add_i32 s16, s8, -4
	s_set_gpr_idx_on s15, gpr_idx(SRC0)
	v_mov_b32_e32 v101, v20
	s_set_gpr_idx_off
	s_add_i32 s17, s8, -3
	;; [unrolled: 4-line block ×4, first 2 shown]
	s_waitcnt lgkmcnt(1)
	v_fmac_f32_e32 v89, v100, v92
	s_set_gpr_idx_on s18, gpr_idx(SRC0)
	v_mov_b32_e32 v92, v20
	s_set_gpr_idx_off
	v_fmac_f32_e32 v89, v90, v93
	s_set_gpr_idx_on s19, gpr_idx(SRC0)
	v_mov_b32_e32 v93, v20
	s_set_gpr_idx_off
	;; [unrolled: 4-line block ×3, first 2 shown]
	v_fmac_f32_e32 v89, v102, v95
	s_add_u32 s8, s8, 8
	s_waitcnt lgkmcnt(0)
	v_fmac_f32_e32 v89, v103, v96
	v_add_u32_e32 v90, s8, v91
	v_fmac_f32_e32 v89, v92, v97
	s_addc_u32 s9, s9, 0
	s_add_i32 s12, s12, 32
	s_add_i32 s13, s8, -7
	v_cmp_eq_u32_e32 vcc, 7, v90
	v_fmac_f32_e32 v89, v93, v98
	v_mov_b32_e32 v90, s13
	s_or_b64 s[10:11], vcc, s[10:11]
	v_fmac_f32_e32 v89, v94, v99
	s_andn2_b64 exec, exec, s[10:11]
	s_cbranch_execnz .LBB17_137
; %bb.138:
	s_or_b64 exec, exec, s[10:11]
.LBB17_139:
	s_or_b64 exec, exec, s[0:1]
	v_and_b32_e32 v38, 7, v0
	v_cmp_ne_u32_e32 vcc, 0, v38
	s_and_saveexec_b64 s[8:9], vcc
	s_cbranch_execz .LBB17_143
; %bb.140:
	v_mov_b32_e32 v39, 0x50
	v_lshl_add_u32 v39, v90, 2, v39
	v_mov_b32_e32 v40, 0
	s_mov_b64 s[10:11], 0
.LBB17_141:                             ; =>This Inner Loop Header: Depth=1
	v_cmp_eq_u32_e32 vcc, 1, v90
	v_cndmask_b32_e32 v41, v20, v21, vcc
	v_add_u32_e32 v38, -1, v38
	v_cmp_eq_u32_e32 vcc, 2, v90
	v_cndmask_b32_e32 v41, v41, v22, vcc
	v_cmp_eq_u32_e32 vcc, 0, v38
	v_cmp_eq_u32_e64 s[0:1], 3, v90
	v_cndmask_b32_e64 v41, v41, v23, s[0:1]
	s_or_b64 s[10:11], vcc, s[10:11]
	v_cmp_eq_u32_e32 vcc, 4, v90
	v_cndmask_b32_e32 v41, v41, v24, vcc
	v_cmp_eq_u32_e32 vcc, 5, v90
	v_cndmask_b32_e32 v41, v41, v25, vcc
	;; [unrolled: 2-line block ×9, first 2 shown]
	v_cmp_eq_u32_e32 vcc, 13, v90
	ds_read_b32 v42, v39
	v_cndmask_b32_e32 v41, v41, v33, vcc
	v_cmp_eq_u32_e32 vcc, 14, v90
	v_cndmask_b32_e32 v41, v41, v34, vcc
	v_cmp_eq_u32_e32 vcc, 15, v90
	;; [unrolled: 2-line block ×4, first 2 shown]
	v_add_co_u32_e64 v90, s[0:1], 1, v90
	v_cndmask_b32_e32 v41, v41, v37, vcc
	v_add_u32_e32 v39, 4, v39
	v_addc_co_u32_e64 v40, s[0:1], 0, v40, s[0:1]
	s_waitcnt lgkmcnt(0)
	v_fmac_f32_e32 v89, v41, v42
	s_andn2_b64 exec, exec, s[10:11]
	s_cbranch_execnz .LBB17_141
; %bb.142:
	s_or_b64 exec, exec, s[10:11]
.LBB17_143:
	s_or_b64 exec, exec, s[8:9]
.LBB17_144:
	s_or_b64 exec, exec, s[6:7]
	v_mov_b32_e32 v27, 0
	ds_read_b32 v27, v27 offset:28
	s_waitcnt lgkmcnt(0)
	v_mul_f32_e32 v27, v89, v27
.LBB17_145:
	s_or_b64 exec, exec, s[4:5]
	v_cmp_lt_u32_e64 s[0:1], 6, v0
	ds_write_b32 v88, v26
	s_waitcnt lgkmcnt(0)
	; wave barrier
	s_and_saveexec_b64 s[4:5], s[0:1]
	s_cbranch_execz .LBB17_161
; %bb.146:
	s_andn2_b64 vcc, exec, s[38:39]
	s_cbranch_vccnz .LBB17_148
; %bb.147:
	v_cmp_eq_u32_e32 vcc, 1, v0
	v_cndmask_b32_e32 v89, v20, v21, vcc
	v_cmp_eq_u32_e32 vcc, 2, v0
	v_cndmask_b32_e32 v89, v89, v22, vcc
	;; [unrolled: 2-line block ×13, first 2 shown]
	v_cmp_eq_u32_e32 vcc, 14, v0
	ds_read_b32 v90, v88
	v_cndmask_b32_e32 v89, v89, v34, vcc
	v_cmp_eq_u32_e32 vcc, 15, v0
	v_cndmask_b32_e32 v89, v89, v35, vcc
	v_cmp_eq_u32_e32 vcc, 16, v0
	;; [unrolled: 2-line block ×3, first 2 shown]
	v_cndmask_b32_e32 v89, v89, v37, vcc
	s_waitcnt lgkmcnt(0)
	v_mul_f32_e32 v89, v89, v90
	s_cbranch_execz .LBB17_149
	s_branch .LBB17_150
.LBB17_148:
                                        ; implicit-def: $vgpr89
.LBB17_149:
	ds_read_b32 v89, v88
.LBB17_150:
	s_and_saveexec_b64 s[6:7], s[2:3]
	s_cbranch_execz .LBB17_160
; %bb.151:
	v_add_u32_e32 v90, -8, v0
	v_add_u32_e32 v91, -7, v0
	v_cmp_lt_u32_e32 vcc, 6, v90
	v_mov_b32_e32 v90, 7
	s_and_saveexec_b64 s[2:3], vcc
	s_cbranch_execz .LBB17_155
; %bb.152:
	v_and_b32_e32 v90, -8, v91
	v_sub_u32_e32 v92, 0, v90
	s_mov_b64 s[8:9], 14
	s_movk_i32 s12, 0x6c
	s_mov_b64 s[10:11], 0
.LBB17_153:                             ; =>This Inner Loop Header: Depth=1
	s_add_i32 s13, s8, -7
	v_mov_b32_e32 v90, s12
	s_add_i32 s14, s8, -6
	s_set_gpr_idx_on s13, gpr_idx(SRC0)
	v_mov_b32_e32 v99, v20
	s_set_gpr_idx_off
	ds_read2_b32 v[93:94], v90 offset1:1
	s_add_i32 s15, s8, -5
	s_set_gpr_idx_on s14, gpr_idx(SRC0)
	v_mov_b32_e32 v100, v20
	s_set_gpr_idx_off
	s_add_i32 s16, s8, -4
	s_set_gpr_idx_on s15, gpr_idx(SRC0)
	v_mov_b32_e32 v101, v20
	s_set_gpr_idx_off
	ds_read2_b32 v[95:96], v90 offset0:2 offset1:3
	s_add_i32 s17, s8, -3
	s_set_gpr_idx_on s16, gpr_idx(SRC0)
	v_mov_b32_e32 v102, v20
	s_set_gpr_idx_off
	s_add_i32 s18, s8, -2
	s_set_gpr_idx_on s17, gpr_idx(SRC0)
	v_mov_b32_e32 v103, v20
	s_set_gpr_idx_off
	ds_read2_b32 v[97:98], v90 offset0:4 offset1:5
	s_add_i32 s19, s8, -1
	s_waitcnt lgkmcnt(2)
	v_fmac_f32_e32 v89, v99, v93
	s_set_gpr_idx_on s18, gpr_idx(SRC0)
	v_mov_b32_e32 v99, v20
	s_set_gpr_idx_off
	v_fmac_f32_e32 v89, v100, v94
	s_set_gpr_idx_on s19, gpr_idx(SRC0)
	v_mov_b32_e32 v100, v20
	s_set_gpr_idx_off
	ds_read2_b32 v[93:94], v90 offset0:6 offset1:7
	s_waitcnt lgkmcnt(2)
	v_fmac_f32_e32 v89, v101, v95
	s_set_gpr_idx_on s8, gpr_idx(SRC0)
	v_mov_b32_e32 v95, v20
	s_set_gpr_idx_off
	v_fmac_f32_e32 v89, v102, v96
	s_add_u32 s8, s8, 8
	s_waitcnt lgkmcnt(1)
	v_fmac_f32_e32 v89, v103, v97
	v_add_u32_e32 v90, s8, v92
	v_fmac_f32_e32 v89, v99, v98
	s_addc_u32 s9, s9, 0
	s_add_i32 s12, s12, 32
	s_add_i32 s13, s8, -7
	v_cmp_eq_u32_e32 vcc, 14, v90
	s_waitcnt lgkmcnt(0)
	v_fmac_f32_e32 v89, v100, v93
	v_mov_b32_e32 v90, s13
	s_or_b64 s[10:11], vcc, s[10:11]
	v_fmac_f32_e32 v89, v95, v94
	s_andn2_b64 exec, exec, s[10:11]
	s_cbranch_execnz .LBB17_153
; %bb.154:
	s_or_b64 exec, exec, s[10:11]
.LBB17_155:
	s_or_b64 exec, exec, s[2:3]
	v_and_b32_e32 v38, 7, v91
	v_cmp_ne_u32_e32 vcc, 0, v38
	s_and_saveexec_b64 s[8:9], vcc
	s_cbranch_execz .LBB17_159
; %bb.156:
	v_mov_b32_e32 v39, 0x50
	v_lshl_add_u32 v39, v90, 2, v39
	v_mov_b32_e32 v40, 0
	s_mov_b64 s[10:11], 0
.LBB17_157:                             ; =>This Inner Loop Header: Depth=1
	v_cmp_eq_u32_e32 vcc, 1, v90
	v_cndmask_b32_e32 v41, v20, v21, vcc
	v_add_u32_e32 v38, -1, v38
	v_cmp_eq_u32_e32 vcc, 2, v90
	v_cndmask_b32_e32 v41, v41, v22, vcc
	v_cmp_eq_u32_e32 vcc, 0, v38
	v_cmp_eq_u32_e64 s[2:3], 3, v90
	v_cndmask_b32_e64 v41, v41, v23, s[2:3]
	s_or_b64 s[10:11], vcc, s[10:11]
	v_cmp_eq_u32_e32 vcc, 4, v90
	v_cndmask_b32_e32 v41, v41, v24, vcc
	v_cmp_eq_u32_e32 vcc, 5, v90
	v_cndmask_b32_e32 v41, v41, v25, vcc
	;; [unrolled: 2-line block ×9, first 2 shown]
	v_cmp_eq_u32_e32 vcc, 13, v90
	ds_read_b32 v42, v39
	v_cndmask_b32_e32 v41, v41, v33, vcc
	v_cmp_eq_u32_e32 vcc, 14, v90
	v_cndmask_b32_e32 v41, v41, v34, vcc
	v_cmp_eq_u32_e32 vcc, 15, v90
	;; [unrolled: 2-line block ×4, first 2 shown]
	v_add_co_u32_e64 v90, s[2:3], 1, v90
	v_cndmask_b32_e32 v41, v41, v37, vcc
	v_add_u32_e32 v39, 4, v39
	v_addc_co_u32_e64 v40, s[2:3], 0, v40, s[2:3]
	s_waitcnt lgkmcnt(0)
	v_fmac_f32_e32 v89, v41, v42
	s_andn2_b64 exec, exec, s[10:11]
	s_cbranch_execnz .LBB17_157
; %bb.158:
	s_or_b64 exec, exec, s[10:11]
.LBB17_159:
	s_or_b64 exec, exec, s[8:9]
.LBB17_160:
	s_or_b64 exec, exec, s[6:7]
	v_mov_b32_e32 v26, 0
	ds_read_b32 v26, v26 offset:24
	s_waitcnt lgkmcnt(0)
	v_mul_f32_e32 v26, v89, v26
.LBB17_161:
	s_or_b64 exec, exec, s[4:5]
	v_cmp_lt_u32_e64 s[2:3], 5, v0
	ds_write_b32 v88, v25
	s_waitcnt lgkmcnt(0)
	; wave barrier
	s_and_saveexec_b64 s[4:5], s[2:3]
	s_cbranch_execz .LBB17_177
; %bb.162:
	s_andn2_b64 vcc, exec, s[38:39]
	s_cbranch_vccnz .LBB17_164
; %bb.163:
	v_cmp_eq_u32_e32 vcc, 1, v0
	v_cndmask_b32_e32 v89, v20, v21, vcc
	v_cmp_eq_u32_e32 vcc, 2, v0
	v_cndmask_b32_e32 v89, v89, v22, vcc
	;; [unrolled: 2-line block ×13, first 2 shown]
	v_cmp_eq_u32_e32 vcc, 14, v0
	ds_read_b32 v90, v88
	v_cndmask_b32_e32 v89, v89, v34, vcc
	v_cmp_eq_u32_e32 vcc, 15, v0
	v_cndmask_b32_e32 v89, v89, v35, vcc
	v_cmp_eq_u32_e32 vcc, 16, v0
	;; [unrolled: 2-line block ×3, first 2 shown]
	v_cndmask_b32_e32 v89, v89, v37, vcc
	s_waitcnt lgkmcnt(0)
	v_mul_f32_e32 v89, v89, v90
	s_cbranch_execz .LBB17_165
	s_branch .LBB17_166
.LBB17_164:
                                        ; implicit-def: $vgpr89
.LBB17_165:
	ds_read_b32 v89, v88
.LBB17_166:
	s_and_saveexec_b64 s[6:7], s[0:1]
	s_cbranch_execz .LBB17_176
; %bb.167:
	v_add_u32_e32 v92, -7, v0
	v_add_u32_e32 v91, -6, v0
	v_mov_b32_e32 v90, 6
	v_cmp_lt_u32_e32 vcc, 6, v92
	s_and_saveexec_b64 s[0:1], vcc
	s_cbranch_execz .LBB17_171
; %bb.168:
	v_and_b32_e32 v90, -8, v91
	v_sub_u32_e32 v92, 0, v90
	s_mov_b64 s[8:9], 13
	s_movk_i32 s12, 0x68
	s_mov_b64 s[10:11], 0
.LBB17_169:                             ; =>This Inner Loop Header: Depth=1
	s_add_i32 s13, s8, -7
	v_mov_b32_e32 v90, s12
	s_add_i32 s14, s8, -6
	s_set_gpr_idx_on s13, gpr_idx(SRC0)
	v_mov_b32_e32 v101, v20
	s_set_gpr_idx_off
	ds_read2_b64 v[93:96], v90 offset1:1
	s_add_i32 s15, s8, -5
	s_set_gpr_idx_on s14, gpr_idx(SRC0)
	v_mov_b32_e32 v102, v20
	s_set_gpr_idx_off
	s_add_i32 s16, s8, -4
	s_set_gpr_idx_on s15, gpr_idx(SRC0)
	v_mov_b32_e32 v103, v20
	s_set_gpr_idx_off
	;; [unrolled: 4-line block ×4, first 2 shown]
	ds_read2_b64 v[97:100], v90 offset0:2 offset1:3
	s_add_i32 s19, s8, -1
	s_waitcnt lgkmcnt(1)
	v_fmac_f32_e32 v89, v101, v93
	s_set_gpr_idx_on s18, gpr_idx(SRC0)
	v_mov_b32_e32 v93, v20
	s_set_gpr_idx_off
	v_fmac_f32_e32 v89, v102, v94
	s_set_gpr_idx_on s19, gpr_idx(SRC0)
	v_mov_b32_e32 v94, v20
	s_set_gpr_idx_off
	;; [unrolled: 4-line block ×3, first 2 shown]
	v_fmac_f32_e32 v89, v104, v96
	s_add_u32 s8, s8, 8
	s_waitcnt lgkmcnt(0)
	v_fmac_f32_e32 v89, v105, v97
	v_add_u32_e32 v90, s8, v92
	v_fmac_f32_e32 v89, v93, v98
	s_addc_u32 s9, s9, 0
	s_add_i32 s12, s12, 32
	s_add_i32 s13, s8, -7
	v_cmp_eq_u32_e32 vcc, 13, v90
	v_fmac_f32_e32 v89, v94, v99
	v_mov_b32_e32 v90, s13
	s_or_b64 s[10:11], vcc, s[10:11]
	v_fmac_f32_e32 v89, v95, v100
	s_andn2_b64 exec, exec, s[10:11]
	s_cbranch_execnz .LBB17_169
; %bb.170:
	s_or_b64 exec, exec, s[10:11]
.LBB17_171:
	s_or_b64 exec, exec, s[0:1]
	v_and_b32_e32 v38, 7, v91
	v_cmp_ne_u32_e32 vcc, 0, v38
	s_and_saveexec_b64 s[8:9], vcc
	s_cbranch_execz .LBB17_175
; %bb.172:
	v_mov_b32_e32 v39, 0x50
	v_lshl_add_u32 v39, v90, 2, v39
	v_mov_b32_e32 v40, 0
	s_mov_b64 s[10:11], 0
.LBB17_173:                             ; =>This Inner Loop Header: Depth=1
	v_cmp_eq_u32_e32 vcc, 1, v90
	v_cndmask_b32_e32 v41, v20, v21, vcc
	v_add_u32_e32 v38, -1, v38
	v_cmp_eq_u32_e32 vcc, 2, v90
	v_cndmask_b32_e32 v41, v41, v22, vcc
	v_cmp_eq_u32_e32 vcc, 0, v38
	v_cmp_eq_u32_e64 s[0:1], 3, v90
	v_cndmask_b32_e64 v41, v41, v23, s[0:1]
	s_or_b64 s[10:11], vcc, s[10:11]
	v_cmp_eq_u32_e32 vcc, 4, v90
	v_cndmask_b32_e32 v41, v41, v24, vcc
	v_cmp_eq_u32_e32 vcc, 5, v90
	v_cndmask_b32_e32 v41, v41, v25, vcc
	;; [unrolled: 2-line block ×9, first 2 shown]
	v_cmp_eq_u32_e32 vcc, 13, v90
	ds_read_b32 v42, v39
	v_cndmask_b32_e32 v41, v41, v33, vcc
	v_cmp_eq_u32_e32 vcc, 14, v90
	v_cndmask_b32_e32 v41, v41, v34, vcc
	v_cmp_eq_u32_e32 vcc, 15, v90
	;; [unrolled: 2-line block ×4, first 2 shown]
	v_add_co_u32_e64 v90, s[0:1], 1, v90
	v_cndmask_b32_e32 v41, v41, v37, vcc
	v_add_u32_e32 v39, 4, v39
	v_addc_co_u32_e64 v40, s[0:1], 0, v40, s[0:1]
	s_waitcnt lgkmcnt(0)
	v_fmac_f32_e32 v89, v41, v42
	s_andn2_b64 exec, exec, s[10:11]
	s_cbranch_execnz .LBB17_173
; %bb.174:
	s_or_b64 exec, exec, s[10:11]
.LBB17_175:
	s_or_b64 exec, exec, s[8:9]
.LBB17_176:
	s_or_b64 exec, exec, s[6:7]
	v_mov_b32_e32 v25, 0
	ds_read_b32 v25, v25 offset:20
	s_waitcnt lgkmcnt(0)
	v_mul_f32_e32 v25, v89, v25
.LBB17_177:
	s_or_b64 exec, exec, s[4:5]
	v_cmp_lt_u32_e64 s[0:1], 4, v0
	ds_write_b32 v88, v24
	s_waitcnt lgkmcnt(0)
	; wave barrier
	s_and_saveexec_b64 s[4:5], s[0:1]
	s_cbranch_execz .LBB17_193
; %bb.178:
	s_andn2_b64 vcc, exec, s[38:39]
	s_cbranch_vccnz .LBB17_180
; %bb.179:
	v_cmp_eq_u32_e32 vcc, 1, v0
	v_cndmask_b32_e32 v89, v20, v21, vcc
	v_cmp_eq_u32_e32 vcc, 2, v0
	v_cndmask_b32_e32 v89, v89, v22, vcc
	;; [unrolled: 2-line block ×13, first 2 shown]
	v_cmp_eq_u32_e32 vcc, 14, v0
	ds_read_b32 v90, v88
	v_cndmask_b32_e32 v89, v89, v34, vcc
	v_cmp_eq_u32_e32 vcc, 15, v0
	v_cndmask_b32_e32 v89, v89, v35, vcc
	v_cmp_eq_u32_e32 vcc, 16, v0
	;; [unrolled: 2-line block ×3, first 2 shown]
	v_cndmask_b32_e32 v89, v89, v37, vcc
	s_waitcnt lgkmcnt(0)
	v_mul_f32_e32 v89, v89, v90
	s_cbranch_execz .LBB17_181
	s_branch .LBB17_182
.LBB17_180:
                                        ; implicit-def: $vgpr89
.LBB17_181:
	ds_read_b32 v89, v88
.LBB17_182:
	s_and_saveexec_b64 s[6:7], s[2:3]
	s_cbranch_execz .LBB17_192
; %bb.183:
	v_add_u32_e32 v90, -6, v0
	v_add_u32_e32 v91, -5, v0
	v_cmp_lt_u32_e32 vcc, 6, v90
	v_mov_b32_e32 v90, 5
	s_and_saveexec_b64 s[2:3], vcc
	s_cbranch_execz .LBB17_187
; %bb.184:
	v_and_b32_e32 v90, -8, v91
	v_sub_u32_e32 v92, 0, v90
	s_mov_b64 s[8:9], 12
	s_movk_i32 s12, 0x64
	s_mov_b64 s[10:11], 0
.LBB17_185:                             ; =>This Inner Loop Header: Depth=1
	s_add_i32 s13, s8, -7
	v_mov_b32_e32 v90, s12
	s_add_i32 s14, s8, -6
	s_set_gpr_idx_on s13, gpr_idx(SRC0)
	v_mov_b32_e32 v99, v20
	s_set_gpr_idx_off
	ds_read2_b32 v[93:94], v90 offset1:1
	s_add_i32 s15, s8, -5
	s_set_gpr_idx_on s14, gpr_idx(SRC0)
	v_mov_b32_e32 v100, v20
	s_set_gpr_idx_off
	s_add_i32 s16, s8, -4
	s_set_gpr_idx_on s15, gpr_idx(SRC0)
	v_mov_b32_e32 v101, v20
	s_set_gpr_idx_off
	ds_read2_b32 v[95:96], v90 offset0:2 offset1:3
	s_add_i32 s17, s8, -3
	s_set_gpr_idx_on s16, gpr_idx(SRC0)
	v_mov_b32_e32 v102, v20
	s_set_gpr_idx_off
	s_add_i32 s18, s8, -2
	s_set_gpr_idx_on s17, gpr_idx(SRC0)
	v_mov_b32_e32 v103, v20
	s_set_gpr_idx_off
	ds_read2_b32 v[97:98], v90 offset0:4 offset1:5
	s_add_i32 s19, s8, -1
	s_waitcnt lgkmcnt(2)
	v_fmac_f32_e32 v89, v99, v93
	s_set_gpr_idx_on s18, gpr_idx(SRC0)
	v_mov_b32_e32 v99, v20
	s_set_gpr_idx_off
	v_fmac_f32_e32 v89, v100, v94
	s_set_gpr_idx_on s19, gpr_idx(SRC0)
	v_mov_b32_e32 v100, v20
	s_set_gpr_idx_off
	ds_read2_b32 v[93:94], v90 offset0:6 offset1:7
	s_waitcnt lgkmcnt(2)
	v_fmac_f32_e32 v89, v101, v95
	s_set_gpr_idx_on s8, gpr_idx(SRC0)
	v_mov_b32_e32 v95, v20
	s_set_gpr_idx_off
	v_fmac_f32_e32 v89, v102, v96
	s_add_u32 s8, s8, 8
	s_waitcnt lgkmcnt(1)
	v_fmac_f32_e32 v89, v103, v97
	v_add_u32_e32 v90, s8, v92
	v_fmac_f32_e32 v89, v99, v98
	s_addc_u32 s9, s9, 0
	s_add_i32 s12, s12, 32
	s_add_i32 s13, s8, -7
	v_cmp_eq_u32_e32 vcc, 12, v90
	s_waitcnt lgkmcnt(0)
	v_fmac_f32_e32 v89, v100, v93
	v_mov_b32_e32 v90, s13
	s_or_b64 s[10:11], vcc, s[10:11]
	v_fmac_f32_e32 v89, v95, v94
	s_andn2_b64 exec, exec, s[10:11]
	s_cbranch_execnz .LBB17_185
; %bb.186:
	s_or_b64 exec, exec, s[10:11]
.LBB17_187:
	s_or_b64 exec, exec, s[2:3]
	v_and_b32_e32 v38, 7, v91
	v_cmp_ne_u32_e32 vcc, 0, v38
	s_and_saveexec_b64 s[8:9], vcc
	s_cbranch_execz .LBB17_191
; %bb.188:
	v_mov_b32_e32 v39, 0x50
	v_lshl_add_u32 v39, v90, 2, v39
	v_mov_b32_e32 v40, 0
	s_mov_b64 s[10:11], 0
.LBB17_189:                             ; =>This Inner Loop Header: Depth=1
	v_cmp_eq_u32_e32 vcc, 1, v90
	v_cndmask_b32_e32 v41, v20, v21, vcc
	v_add_u32_e32 v38, -1, v38
	v_cmp_eq_u32_e32 vcc, 2, v90
	v_cndmask_b32_e32 v41, v41, v22, vcc
	v_cmp_eq_u32_e32 vcc, 0, v38
	v_cmp_eq_u32_e64 s[2:3], 3, v90
	v_cndmask_b32_e64 v41, v41, v23, s[2:3]
	s_or_b64 s[10:11], vcc, s[10:11]
	v_cmp_eq_u32_e32 vcc, 4, v90
	v_cndmask_b32_e32 v41, v41, v24, vcc
	v_cmp_eq_u32_e32 vcc, 5, v90
	v_cndmask_b32_e32 v41, v41, v25, vcc
	;; [unrolled: 2-line block ×9, first 2 shown]
	v_cmp_eq_u32_e32 vcc, 13, v90
	ds_read_b32 v42, v39
	v_cndmask_b32_e32 v41, v41, v33, vcc
	v_cmp_eq_u32_e32 vcc, 14, v90
	v_cndmask_b32_e32 v41, v41, v34, vcc
	v_cmp_eq_u32_e32 vcc, 15, v90
	v_cndmask_b32_e32 v41, v41, v35, vcc
	v_cmp_eq_u32_e32 vcc, 16, v90
	v_cndmask_b32_e32 v41, v41, v36, vcc
	v_cmp_eq_u32_e32 vcc, 17, v90
	v_add_co_u32_e64 v90, s[2:3], 1, v90
	v_cndmask_b32_e32 v41, v41, v37, vcc
	v_add_u32_e32 v39, 4, v39
	v_addc_co_u32_e64 v40, s[2:3], 0, v40, s[2:3]
	s_waitcnt lgkmcnt(0)
	v_fmac_f32_e32 v89, v41, v42
	s_andn2_b64 exec, exec, s[10:11]
	s_cbranch_execnz .LBB17_189
; %bb.190:
	s_or_b64 exec, exec, s[10:11]
.LBB17_191:
	s_or_b64 exec, exec, s[8:9]
.LBB17_192:
	s_or_b64 exec, exec, s[6:7]
	v_mov_b32_e32 v24, 0
	ds_read_b32 v24, v24 offset:16
	s_waitcnt lgkmcnt(0)
	v_mul_f32_e32 v24, v89, v24
.LBB17_193:
	s_or_b64 exec, exec, s[4:5]
	v_cmp_lt_u32_e64 s[2:3], 3, v0
	ds_write_b32 v88, v23
	s_waitcnt lgkmcnt(0)
	; wave barrier
	s_and_saveexec_b64 s[4:5], s[2:3]
	s_cbranch_execz .LBB17_209
; %bb.194:
	s_andn2_b64 vcc, exec, s[38:39]
	s_cbranch_vccnz .LBB17_196
; %bb.195:
	v_cmp_eq_u32_e32 vcc, 1, v0
	v_cndmask_b32_e32 v89, v20, v21, vcc
	v_cmp_eq_u32_e32 vcc, 2, v0
	v_cndmask_b32_e32 v89, v89, v22, vcc
	;; [unrolled: 2-line block ×13, first 2 shown]
	v_cmp_eq_u32_e32 vcc, 14, v0
	ds_read_b32 v90, v88
	v_cndmask_b32_e32 v89, v89, v34, vcc
	v_cmp_eq_u32_e32 vcc, 15, v0
	v_cndmask_b32_e32 v89, v89, v35, vcc
	v_cmp_eq_u32_e32 vcc, 16, v0
	;; [unrolled: 2-line block ×3, first 2 shown]
	v_cndmask_b32_e32 v89, v89, v37, vcc
	s_waitcnt lgkmcnt(0)
	v_mul_f32_e32 v89, v89, v90
	s_cbranch_execz .LBB17_197
	s_branch .LBB17_198
.LBB17_196:
                                        ; implicit-def: $vgpr89
.LBB17_197:
	ds_read_b32 v89, v88
.LBB17_198:
	s_and_saveexec_b64 s[6:7], s[0:1]
	s_cbranch_execz .LBB17_208
; %bb.199:
	v_add_u32_e32 v90, -5, v0
	v_add_u32_e32 v91, -4, v0
	v_cmp_lt_u32_e32 vcc, 6, v90
	v_mov_b32_e32 v90, 4
	s_and_saveexec_b64 s[0:1], vcc
	s_cbranch_execz .LBB17_203
; %bb.200:
	v_and_b32_e32 v90, -8, v91
	v_sub_u32_e32 v92, 0, v90
	s_mov_b64 s[8:9], 5
	s_movk_i32 s12, 0x60
	s_mov_b64 s[10:11], 0
.LBB17_201:                             ; =>This Inner Loop Header: Depth=1
	s_add_i32 s13, s8, -1
	v_mov_b32_e32 v90, s12
	s_set_gpr_idx_on s13, gpr_idx(SRC0)
	v_mov_b32_e32 v101, v20
	s_set_gpr_idx_off
	s_add_i32 s14, s8, 1
	ds_read_b128 v[93:96], v90
	ds_read_b128 v[97:100], v90 offset:16
	s_set_gpr_idx_on s8, gpr_idx(SRC0)
	v_mov_b32_e32 v102, v20
	s_set_gpr_idx_off
	s_add_i32 s15, s8, 2
	s_set_gpr_idx_on s14, gpr_idx(SRC0)
	v_mov_b32_e32 v103, v20
	s_set_gpr_idx_off
	s_add_i32 s16, s8, 3
	;; [unrolled: 4-line block ×4, first 2 shown]
	s_waitcnt lgkmcnt(1)
	v_fmac_f32_e32 v89, v101, v93
	s_set_gpr_idx_on s17, gpr_idx(SRC0)
	v_mov_b32_e32 v93, v20
	s_set_gpr_idx_off
	s_add_i32 s19, s8, 6
	v_fmac_f32_e32 v89, v102, v94
	s_set_gpr_idx_on s18, gpr_idx(SRC0)
	v_mov_b32_e32 v94, v20
	s_set_gpr_idx_off
	v_fmac_f32_e32 v89, v103, v95
	s_set_gpr_idx_on s19, gpr_idx(SRC0)
	v_mov_b32_e32 v95, v20
	s_set_gpr_idx_off
	v_fmac_f32_e32 v89, v104, v96
	s_add_u32 s8, s8, 8
	s_waitcnt lgkmcnt(0)
	v_fmac_f32_e32 v89, v105, v97
	v_add_u32_e32 v90, s8, v92
	v_fmac_f32_e32 v89, v93, v98
	s_addc_u32 s9, s9, 0
	s_add_i32 s12, s12, 32
	s_add_i32 s13, s8, -1
	v_cmp_eq_u32_e32 vcc, 5, v90
	v_fmac_f32_e32 v89, v94, v99
	v_mov_b32_e32 v90, s13
	s_or_b64 s[10:11], vcc, s[10:11]
	v_fmac_f32_e32 v89, v95, v100
	s_andn2_b64 exec, exec, s[10:11]
	s_cbranch_execnz .LBB17_201
; %bb.202:
	s_or_b64 exec, exec, s[10:11]
.LBB17_203:
	s_or_b64 exec, exec, s[0:1]
	v_and_b32_e32 v38, 7, v91
	v_cmp_ne_u32_e32 vcc, 0, v38
	s_and_saveexec_b64 s[8:9], vcc
	s_cbranch_execz .LBB17_207
; %bb.204:
	v_mov_b32_e32 v39, 0x50
	v_lshl_add_u32 v39, v90, 2, v39
	v_mov_b32_e32 v40, 0
	s_mov_b64 s[10:11], 0
.LBB17_205:                             ; =>This Inner Loop Header: Depth=1
	v_cmp_eq_u32_e32 vcc, 1, v90
	v_cndmask_b32_e32 v41, v20, v21, vcc
	v_add_u32_e32 v38, -1, v38
	v_cmp_eq_u32_e32 vcc, 2, v90
	v_cndmask_b32_e32 v41, v41, v22, vcc
	v_cmp_eq_u32_e32 vcc, 0, v38
	v_cmp_eq_u32_e64 s[0:1], 3, v90
	v_cndmask_b32_e64 v41, v41, v23, s[0:1]
	s_or_b64 s[10:11], vcc, s[10:11]
	v_cmp_eq_u32_e32 vcc, 4, v90
	v_cndmask_b32_e32 v41, v41, v24, vcc
	v_cmp_eq_u32_e32 vcc, 5, v90
	v_cndmask_b32_e32 v41, v41, v25, vcc
	v_cmp_eq_u32_e32 vcc, 6, v90
	v_cndmask_b32_e32 v41, v41, v26, vcc
	v_cmp_eq_u32_e32 vcc, 7, v90
	v_cndmask_b32_e32 v41, v41, v27, vcc
	v_cmp_eq_u32_e32 vcc, 8, v90
	v_cndmask_b32_e32 v41, v41, v28, vcc
	v_cmp_eq_u32_e32 vcc, 9, v90
	v_cndmask_b32_e32 v41, v41, v29, vcc
	v_cmp_eq_u32_e32 vcc, 10, v90
	v_cndmask_b32_e32 v41, v41, v30, vcc
	v_cmp_eq_u32_e32 vcc, 11, v90
	v_cndmask_b32_e32 v41, v41, v31, vcc
	v_cmp_eq_u32_e32 vcc, 12, v90
	v_cndmask_b32_e32 v41, v41, v32, vcc
	v_cmp_eq_u32_e32 vcc, 13, v90
	ds_read_b32 v42, v39
	v_cndmask_b32_e32 v41, v41, v33, vcc
	v_cmp_eq_u32_e32 vcc, 14, v90
	v_cndmask_b32_e32 v41, v41, v34, vcc
	v_cmp_eq_u32_e32 vcc, 15, v90
	;; [unrolled: 2-line block ×4, first 2 shown]
	v_add_co_u32_e64 v90, s[0:1], 1, v90
	v_cndmask_b32_e32 v41, v41, v37, vcc
	v_add_u32_e32 v39, 4, v39
	v_addc_co_u32_e64 v40, s[0:1], 0, v40, s[0:1]
	s_waitcnt lgkmcnt(0)
	v_fmac_f32_e32 v89, v41, v42
	s_andn2_b64 exec, exec, s[10:11]
	s_cbranch_execnz .LBB17_205
; %bb.206:
	s_or_b64 exec, exec, s[10:11]
.LBB17_207:
	s_or_b64 exec, exec, s[8:9]
.LBB17_208:
	s_or_b64 exec, exec, s[6:7]
	v_mov_b32_e32 v23, 0
	ds_read_b32 v23, v23 offset:12
	s_waitcnt lgkmcnt(0)
	v_mul_f32_e32 v23, v89, v23
.LBB17_209:
	s_or_b64 exec, exec, s[4:5]
	v_cmp_lt_u32_e64 s[0:1], 2, v0
	ds_write_b32 v88, v22
	s_waitcnt lgkmcnt(0)
	; wave barrier
	s_and_saveexec_b64 s[4:5], s[0:1]
	s_cbranch_execz .LBB17_225
; %bb.210:
	s_andn2_b64 vcc, exec, s[38:39]
	s_cbranch_vccnz .LBB17_212
; %bb.211:
	v_cmp_eq_u32_e32 vcc, 1, v0
	v_cndmask_b32_e32 v89, v20, v21, vcc
	v_cmp_eq_u32_e32 vcc, 2, v0
	v_cndmask_b32_e32 v89, v89, v22, vcc
	;; [unrolled: 2-line block ×13, first 2 shown]
	v_cmp_eq_u32_e32 vcc, 14, v0
	ds_read_b32 v90, v88
	v_cndmask_b32_e32 v89, v89, v34, vcc
	v_cmp_eq_u32_e32 vcc, 15, v0
	v_cndmask_b32_e32 v89, v89, v35, vcc
	v_cmp_eq_u32_e32 vcc, 16, v0
	;; [unrolled: 2-line block ×3, first 2 shown]
	v_cndmask_b32_e32 v89, v89, v37, vcc
	s_waitcnt lgkmcnt(0)
	v_mul_f32_e32 v89, v89, v90
	s_cbranch_execz .LBB17_213
	s_branch .LBB17_214
.LBB17_212:
                                        ; implicit-def: $vgpr89
.LBB17_213:
	ds_read_b32 v89, v88
.LBB17_214:
	s_and_saveexec_b64 s[6:7], s[2:3]
	s_cbranch_execz .LBB17_224
; %bb.215:
	v_add_u32_e32 v90, -4, v0
	v_add_u32_e32 v91, -3, v0
	v_cmp_lt_u32_e32 vcc, 6, v90
	v_mov_b32_e32 v90, 3
	s_and_saveexec_b64 s[2:3], vcc
	s_cbranch_execz .LBB17_219
; %bb.216:
	v_and_b32_e32 v90, -8, v91
	v_sub_u32_e32 v92, 0, v90
	s_mov_b64 s[8:9], 10
	s_movk_i32 s12, 0x5c
	s_mov_b64 s[10:11], 0
.LBB17_217:                             ; =>This Inner Loop Header: Depth=1
	s_add_i32 s13, s8, -7
	v_mov_b32_e32 v90, s12
	s_add_i32 s14, s8, -6
	s_set_gpr_idx_on s13, gpr_idx(SRC0)
	v_mov_b32_e32 v99, v20
	s_set_gpr_idx_off
	ds_read2_b32 v[93:94], v90 offset1:1
	s_add_i32 s15, s8, -5
	s_set_gpr_idx_on s14, gpr_idx(SRC0)
	v_mov_b32_e32 v100, v20
	s_set_gpr_idx_off
	s_add_i32 s16, s8, -4
	s_set_gpr_idx_on s15, gpr_idx(SRC0)
	v_mov_b32_e32 v101, v20
	s_set_gpr_idx_off
	ds_read2_b32 v[95:96], v90 offset0:2 offset1:3
	s_add_i32 s17, s8, -3
	s_set_gpr_idx_on s16, gpr_idx(SRC0)
	v_mov_b32_e32 v102, v20
	s_set_gpr_idx_off
	s_add_i32 s18, s8, -2
	s_set_gpr_idx_on s17, gpr_idx(SRC0)
	v_mov_b32_e32 v103, v20
	s_set_gpr_idx_off
	ds_read2_b32 v[97:98], v90 offset0:4 offset1:5
	s_add_i32 s19, s8, -1
	s_waitcnt lgkmcnt(2)
	v_fmac_f32_e32 v89, v99, v93
	s_set_gpr_idx_on s18, gpr_idx(SRC0)
	v_mov_b32_e32 v99, v20
	s_set_gpr_idx_off
	v_fmac_f32_e32 v89, v100, v94
	s_set_gpr_idx_on s19, gpr_idx(SRC0)
	v_mov_b32_e32 v100, v20
	s_set_gpr_idx_off
	ds_read2_b32 v[93:94], v90 offset0:6 offset1:7
	s_waitcnt lgkmcnt(2)
	v_fmac_f32_e32 v89, v101, v95
	s_set_gpr_idx_on s8, gpr_idx(SRC0)
	v_mov_b32_e32 v95, v20
	s_set_gpr_idx_off
	v_fmac_f32_e32 v89, v102, v96
	s_add_u32 s8, s8, 8
	s_waitcnt lgkmcnt(1)
	v_fmac_f32_e32 v89, v103, v97
	v_add_u32_e32 v90, s8, v92
	v_fmac_f32_e32 v89, v99, v98
	s_addc_u32 s9, s9, 0
	s_add_i32 s12, s12, 32
	s_add_i32 s13, s8, -7
	v_cmp_eq_u32_e32 vcc, 10, v90
	s_waitcnt lgkmcnt(0)
	v_fmac_f32_e32 v89, v100, v93
	v_mov_b32_e32 v90, s13
	s_or_b64 s[10:11], vcc, s[10:11]
	v_fmac_f32_e32 v89, v95, v94
	s_andn2_b64 exec, exec, s[10:11]
	s_cbranch_execnz .LBB17_217
; %bb.218:
	s_or_b64 exec, exec, s[10:11]
.LBB17_219:
	s_or_b64 exec, exec, s[2:3]
	v_and_b32_e32 v38, 7, v91
	v_cmp_ne_u32_e32 vcc, 0, v38
	s_and_saveexec_b64 s[8:9], vcc
	s_cbranch_execz .LBB17_223
; %bb.220:
	v_mov_b32_e32 v39, 0x50
	v_lshl_add_u32 v39, v90, 2, v39
	v_mov_b32_e32 v40, 0
	s_mov_b64 s[10:11], 0
.LBB17_221:                             ; =>This Inner Loop Header: Depth=1
	v_cmp_eq_u32_e32 vcc, 1, v90
	v_cndmask_b32_e32 v41, v20, v21, vcc
	v_add_u32_e32 v38, -1, v38
	v_cmp_eq_u32_e32 vcc, 2, v90
	v_cndmask_b32_e32 v41, v41, v22, vcc
	v_cmp_eq_u32_e32 vcc, 0, v38
	v_cmp_eq_u32_e64 s[2:3], 3, v90
	v_cndmask_b32_e64 v41, v41, v23, s[2:3]
	s_or_b64 s[10:11], vcc, s[10:11]
	v_cmp_eq_u32_e32 vcc, 4, v90
	v_cndmask_b32_e32 v41, v41, v24, vcc
	v_cmp_eq_u32_e32 vcc, 5, v90
	v_cndmask_b32_e32 v41, v41, v25, vcc
	;; [unrolled: 2-line block ×9, first 2 shown]
	v_cmp_eq_u32_e32 vcc, 13, v90
	ds_read_b32 v42, v39
	v_cndmask_b32_e32 v41, v41, v33, vcc
	v_cmp_eq_u32_e32 vcc, 14, v90
	v_cndmask_b32_e32 v41, v41, v34, vcc
	v_cmp_eq_u32_e32 vcc, 15, v90
	;; [unrolled: 2-line block ×4, first 2 shown]
	v_add_co_u32_e64 v90, s[2:3], 1, v90
	v_cndmask_b32_e32 v41, v41, v37, vcc
	v_add_u32_e32 v39, 4, v39
	v_addc_co_u32_e64 v40, s[2:3], 0, v40, s[2:3]
	s_waitcnt lgkmcnt(0)
	v_fmac_f32_e32 v89, v41, v42
	s_andn2_b64 exec, exec, s[10:11]
	s_cbranch_execnz .LBB17_221
; %bb.222:
	s_or_b64 exec, exec, s[10:11]
.LBB17_223:
	s_or_b64 exec, exec, s[8:9]
.LBB17_224:
	s_or_b64 exec, exec, s[6:7]
	v_mov_b32_e32 v22, 0
	ds_read_b32 v22, v22 offset:8
	s_waitcnt lgkmcnt(0)
	v_mul_f32_e32 v22, v89, v22
.LBB17_225:
	s_or_b64 exec, exec, s[4:5]
	v_cmp_lt_u32_e64 s[2:3], 1, v0
	ds_write_b32 v88, v21
	s_waitcnt lgkmcnt(0)
	; wave barrier
	s_and_saveexec_b64 s[4:5], s[2:3]
	s_cbranch_execz .LBB17_241
; %bb.226:
	s_andn2_b64 vcc, exec, s[38:39]
	s_cbranch_vccnz .LBB17_228
; %bb.227:
	v_cmp_eq_u32_e32 vcc, 1, v0
	v_cndmask_b32_e32 v89, v20, v21, vcc
	v_cmp_eq_u32_e32 vcc, 2, v0
	v_cndmask_b32_e32 v89, v89, v22, vcc
	;; [unrolled: 2-line block ×13, first 2 shown]
	v_cmp_eq_u32_e32 vcc, 14, v0
	ds_read_b32 v90, v88
	v_cndmask_b32_e32 v89, v89, v34, vcc
	v_cmp_eq_u32_e32 vcc, 15, v0
	v_cndmask_b32_e32 v89, v89, v35, vcc
	v_cmp_eq_u32_e32 vcc, 16, v0
	;; [unrolled: 2-line block ×3, first 2 shown]
	v_cndmask_b32_e32 v89, v89, v37, vcc
	s_waitcnt lgkmcnt(0)
	v_mul_f32_e32 v89, v89, v90
	s_cbranch_execz .LBB17_229
	s_branch .LBB17_230
.LBB17_228:
                                        ; implicit-def: $vgpr89
.LBB17_229:
	ds_read_b32 v89, v88
.LBB17_230:
	s_and_saveexec_b64 s[6:7], s[0:1]
	s_cbranch_execz .LBB17_240
; %bb.231:
	v_add_u32_e32 v90, -3, v0
	v_add_u32_e32 v91, -2, v0
	v_cmp_lt_u32_e32 vcc, 6, v90
	v_mov_b32_e32 v90, 2
	s_and_saveexec_b64 s[0:1], vcc
	s_cbranch_execz .LBB17_235
; %bb.232:
	v_and_b32_e32 v90, -8, v91
	v_sub_u32_e32 v92, 0, v90
	s_mov_b64 s[8:9], 9
	s_movk_i32 s12, 0x58
	s_mov_b64 s[10:11], 0
.LBB17_233:                             ; =>This Inner Loop Header: Depth=1
	s_add_i32 s13, s8, -7
	v_mov_b32_e32 v90, s12
	s_add_i32 s14, s8, -6
	s_set_gpr_idx_on s13, gpr_idx(SRC0)
	v_mov_b32_e32 v101, v20
	s_set_gpr_idx_off
	ds_read2_b64 v[93:96], v90 offset1:1
	s_add_i32 s15, s8, -5
	s_set_gpr_idx_on s14, gpr_idx(SRC0)
	v_mov_b32_e32 v102, v20
	s_set_gpr_idx_off
	s_add_i32 s16, s8, -4
	s_set_gpr_idx_on s15, gpr_idx(SRC0)
	v_mov_b32_e32 v103, v20
	s_set_gpr_idx_off
	;; [unrolled: 4-line block ×4, first 2 shown]
	ds_read2_b64 v[97:100], v90 offset0:2 offset1:3
	s_add_i32 s19, s8, -1
	s_waitcnt lgkmcnt(1)
	v_fmac_f32_e32 v89, v101, v93
	s_set_gpr_idx_on s18, gpr_idx(SRC0)
	v_mov_b32_e32 v93, v20
	s_set_gpr_idx_off
	v_fmac_f32_e32 v89, v102, v94
	s_set_gpr_idx_on s19, gpr_idx(SRC0)
	v_mov_b32_e32 v94, v20
	s_set_gpr_idx_off
	;; [unrolled: 4-line block ×3, first 2 shown]
	v_fmac_f32_e32 v89, v104, v96
	s_add_u32 s8, s8, 8
	s_waitcnt lgkmcnt(0)
	v_fmac_f32_e32 v89, v105, v97
	v_add_u32_e32 v90, s8, v92
	v_fmac_f32_e32 v89, v93, v98
	s_addc_u32 s9, s9, 0
	s_add_i32 s12, s12, 32
	s_add_i32 s13, s8, -7
	v_cmp_eq_u32_e32 vcc, 9, v90
	v_fmac_f32_e32 v89, v94, v99
	v_mov_b32_e32 v90, s13
	s_or_b64 s[10:11], vcc, s[10:11]
	v_fmac_f32_e32 v89, v95, v100
	s_andn2_b64 exec, exec, s[10:11]
	s_cbranch_execnz .LBB17_233
; %bb.234:
	s_or_b64 exec, exec, s[10:11]
.LBB17_235:
	s_or_b64 exec, exec, s[0:1]
	v_and_b32_e32 v38, 7, v91
	v_cmp_ne_u32_e32 vcc, 0, v38
	s_and_saveexec_b64 s[8:9], vcc
	s_cbranch_execz .LBB17_239
; %bb.236:
	v_mov_b32_e32 v39, 0x50
	v_lshl_add_u32 v39, v90, 2, v39
	v_mov_b32_e32 v40, 0
	s_mov_b64 s[10:11], 0
.LBB17_237:                             ; =>This Inner Loop Header: Depth=1
	v_cmp_eq_u32_e32 vcc, 1, v90
	v_cndmask_b32_e32 v41, v20, v21, vcc
	v_add_u32_e32 v38, -1, v38
	v_cmp_eq_u32_e32 vcc, 2, v90
	v_cndmask_b32_e32 v41, v41, v22, vcc
	v_cmp_eq_u32_e32 vcc, 0, v38
	v_cmp_eq_u32_e64 s[0:1], 3, v90
	v_cndmask_b32_e64 v41, v41, v23, s[0:1]
	s_or_b64 s[10:11], vcc, s[10:11]
	v_cmp_eq_u32_e32 vcc, 4, v90
	v_cndmask_b32_e32 v41, v41, v24, vcc
	v_cmp_eq_u32_e32 vcc, 5, v90
	v_cndmask_b32_e32 v41, v41, v25, vcc
	;; [unrolled: 2-line block ×9, first 2 shown]
	v_cmp_eq_u32_e32 vcc, 13, v90
	ds_read_b32 v42, v39
	v_cndmask_b32_e32 v41, v41, v33, vcc
	v_cmp_eq_u32_e32 vcc, 14, v90
	v_cndmask_b32_e32 v41, v41, v34, vcc
	v_cmp_eq_u32_e32 vcc, 15, v90
	;; [unrolled: 2-line block ×4, first 2 shown]
	v_add_co_u32_e64 v90, s[0:1], 1, v90
	v_cndmask_b32_e32 v41, v41, v37, vcc
	v_add_u32_e32 v39, 4, v39
	v_addc_co_u32_e64 v40, s[0:1], 0, v40, s[0:1]
	s_waitcnt lgkmcnt(0)
	v_fmac_f32_e32 v89, v41, v42
	s_andn2_b64 exec, exec, s[10:11]
	s_cbranch_execnz .LBB17_237
; %bb.238:
	s_or_b64 exec, exec, s[10:11]
.LBB17_239:
	s_or_b64 exec, exec, s[8:9]
.LBB17_240:
	s_or_b64 exec, exec, s[6:7]
	v_mov_b32_e32 v21, 0
	ds_read_b32 v21, v21 offset:4
	s_waitcnt lgkmcnt(0)
	v_mul_f32_e32 v21, v89, v21
.LBB17_241:
	s_or_b64 exec, exec, s[4:5]
	v_cmp_ne_u32_e32 vcc, 0, v0
	ds_write_b32 v88, v20
	s_waitcnt lgkmcnt(0)
	; wave barrier
	s_and_saveexec_b64 s[4:5], vcc
	s_cbranch_execz .LBB17_257
; %bb.242:
	s_andn2_b64 vcc, exec, s[38:39]
	s_cbranch_vccnz .LBB17_244
; %bb.243:
	v_cmp_eq_u32_e32 vcc, 1, v0
	v_cndmask_b32_e32 v89, v20, v21, vcc
	v_cmp_eq_u32_e32 vcc, 2, v0
	v_cndmask_b32_e32 v89, v89, v22, vcc
	;; [unrolled: 2-line block ×13, first 2 shown]
	v_cmp_eq_u32_e32 vcc, 14, v0
	ds_read_b32 v90, v88
	v_cndmask_b32_e32 v89, v89, v34, vcc
	v_cmp_eq_u32_e32 vcc, 15, v0
	v_cndmask_b32_e32 v89, v89, v35, vcc
	v_cmp_eq_u32_e32 vcc, 16, v0
	;; [unrolled: 2-line block ×3, first 2 shown]
	v_cndmask_b32_e32 v89, v89, v37, vcc
	s_waitcnt lgkmcnt(0)
	v_mul_f32_e32 v89, v89, v90
	s_cbranch_execz .LBB17_245
	s_branch .LBB17_246
.LBB17_244:
                                        ; implicit-def: $vgpr89
.LBB17_245:
	ds_read_b32 v89, v88
.LBB17_246:
	s_and_saveexec_b64 s[6:7], s[2:3]
	s_cbranch_execz .LBB17_256
; %bb.247:
	v_add_u32_e32 v90, -2, v0
	v_add_u32_e32 v91, -1, v0
	v_cmp_lt_u32_e32 vcc, 6, v90
	v_mov_b32_e32 v90, 1
	s_and_saveexec_b64 s[0:1], vcc
	s_cbranch_execz .LBB17_251
; %bb.248:
	v_and_b32_e32 v90, -8, v91
	v_sub_u32_e32 v92, 0, v90
	s_mov_b64 s[2:3], 8
	s_movk_i32 s10, 0x54
	s_mov_b64 s[8:9], 0
.LBB17_249:                             ; =>This Inner Loop Header: Depth=1
	s_add_i32 s11, s2, -7
	v_mov_b32_e32 v90, s10
	s_add_i32 s12, s2, -6
	s_set_gpr_idx_on s11, gpr_idx(SRC0)
	v_mov_b32_e32 v99, v20
	s_set_gpr_idx_off
	ds_read2_b32 v[93:94], v90 offset1:1
	s_add_i32 s13, s2, -5
	s_set_gpr_idx_on s12, gpr_idx(SRC0)
	v_mov_b32_e32 v100, v20
	s_set_gpr_idx_off
	s_add_i32 s14, s2, -4
	s_set_gpr_idx_on s13, gpr_idx(SRC0)
	v_mov_b32_e32 v101, v20
	s_set_gpr_idx_off
	ds_read2_b32 v[95:96], v90 offset0:2 offset1:3
	s_add_i32 s15, s2, -3
	s_set_gpr_idx_on s14, gpr_idx(SRC0)
	v_mov_b32_e32 v102, v20
	s_set_gpr_idx_off
	s_add_i32 s16, s2, -2
	s_set_gpr_idx_on s15, gpr_idx(SRC0)
	v_mov_b32_e32 v103, v20
	s_set_gpr_idx_off
	ds_read2_b32 v[97:98], v90 offset0:4 offset1:5
	s_add_i32 s17, s2, -1
	s_waitcnt lgkmcnt(2)
	v_fmac_f32_e32 v89, v99, v93
	s_set_gpr_idx_on s16, gpr_idx(SRC0)
	v_mov_b32_e32 v99, v20
	s_set_gpr_idx_off
	v_fmac_f32_e32 v89, v100, v94
	s_set_gpr_idx_on s17, gpr_idx(SRC0)
	v_mov_b32_e32 v100, v20
	s_set_gpr_idx_off
	ds_read2_b32 v[93:94], v90 offset0:6 offset1:7
	s_waitcnt lgkmcnt(2)
	v_fmac_f32_e32 v89, v101, v95
	s_set_gpr_idx_on s2, gpr_idx(SRC0)
	v_mov_b32_e32 v95, v20
	s_set_gpr_idx_off
	v_fmac_f32_e32 v89, v102, v96
	s_add_u32 s2, s2, 8
	s_waitcnt lgkmcnt(1)
	v_fmac_f32_e32 v89, v103, v97
	v_add_u32_e32 v90, s2, v92
	v_fmac_f32_e32 v89, v99, v98
	s_addc_u32 s3, s3, 0
	s_add_i32 s10, s10, 32
	s_add_i32 s11, s2, -7
	v_cmp_eq_u32_e32 vcc, 8, v90
	s_waitcnt lgkmcnt(0)
	v_fmac_f32_e32 v89, v100, v93
	v_mov_b32_e32 v90, s11
	s_or_b64 s[8:9], vcc, s[8:9]
	v_fmac_f32_e32 v89, v95, v94
	s_andn2_b64 exec, exec, s[8:9]
	s_cbranch_execnz .LBB17_249
; %bb.250:
	s_or_b64 exec, exec, s[8:9]
.LBB17_251:
	s_or_b64 exec, exec, s[0:1]
	v_and_b32_e32 v38, 7, v91
	v_cmp_ne_u32_e32 vcc, 0, v38
	s_and_saveexec_b64 s[2:3], vcc
	s_cbranch_execz .LBB17_255
; %bb.252:
	v_mov_b32_e32 v39, 0x50
	v_lshl_add_u32 v39, v90, 2, v39
	v_mov_b32_e32 v40, 0
	s_mov_b64 s[8:9], 0
.LBB17_253:                             ; =>This Inner Loop Header: Depth=1
	v_cmp_eq_u32_e32 vcc, 1, v90
	v_cndmask_b32_e32 v41, v20, v21, vcc
	v_add_u32_e32 v38, -1, v38
	v_cmp_eq_u32_e32 vcc, 2, v90
	v_cndmask_b32_e32 v41, v41, v22, vcc
	v_cmp_eq_u32_e32 vcc, 0, v38
	v_cmp_eq_u32_e64 s[0:1], 3, v90
	v_cndmask_b32_e64 v41, v41, v23, s[0:1]
	s_or_b64 s[8:9], vcc, s[8:9]
	v_cmp_eq_u32_e32 vcc, 4, v90
	v_cndmask_b32_e32 v41, v41, v24, vcc
	v_cmp_eq_u32_e32 vcc, 5, v90
	v_cndmask_b32_e32 v41, v41, v25, vcc
	;; [unrolled: 2-line block ×9, first 2 shown]
	v_cmp_eq_u32_e32 vcc, 13, v90
	ds_read_b32 v42, v39
	v_cndmask_b32_e32 v41, v41, v33, vcc
	v_cmp_eq_u32_e32 vcc, 14, v90
	v_cndmask_b32_e32 v41, v41, v34, vcc
	v_cmp_eq_u32_e32 vcc, 15, v90
	;; [unrolled: 2-line block ×4, first 2 shown]
	v_add_co_u32_e64 v90, s[0:1], 1, v90
	v_cndmask_b32_e32 v41, v41, v37, vcc
	v_add_u32_e32 v39, 4, v39
	v_addc_co_u32_e64 v40, s[0:1], 0, v40, s[0:1]
	s_waitcnt lgkmcnt(0)
	v_fmac_f32_e32 v89, v41, v42
	s_andn2_b64 exec, exec, s[8:9]
	s_cbranch_execnz .LBB17_253
; %bb.254:
	s_or_b64 exec, exec, s[8:9]
.LBB17_255:
	s_or_b64 exec, exec, s[2:3]
.LBB17_256:
	s_or_b64 exec, exec, s[6:7]
	v_mov_b32_e32 v20, 0
	ds_read_b32 v20, v20
	s_waitcnt lgkmcnt(0)
	v_mul_f32_e32 v20, v89, v20
.LBB17_257:
	s_or_b64 exec, exec, s[4:5]
	s_branch .LBB17_431
.LBB17_258:
	v_cmp_eq_u32_e64 s[2:3], 0, v0
	s_waitcnt vmcnt(17)
	ds_write_b32 v88, v3
	s_waitcnt lgkmcnt(0)
	; wave barrier
	s_and_saveexec_b64 s[0:1], s[2:3]
	s_cbranch_execz .LBB17_264
; %bb.259:
	s_and_b64 vcc, exec, s[38:39]
	s_cbranch_vccz .LBB17_261
; %bb.260:
	v_cmp_eq_u32_e32 vcc, 1, v0
	s_waitcnt vmcnt(1)
	v_cndmask_b32_e32 v3, v2, v3, vcc
	v_cmp_eq_u32_e32 vcc, 2, v0
	v_cndmask_b32_e32 v3, v3, v4, vcc
	v_cmp_eq_u32_e32 vcc, 3, v0
	;; [unrolled: 2-line block ×13, first 2 shown]
	ds_read_b32 v20, v88
	v_cndmask_b32_e32 v3, v3, v16, vcc
	v_cmp_eq_u32_e32 vcc, 15, v0
	v_cndmask_b32_e32 v3, v3, v17, vcc
	v_cmp_eq_u32_e32 vcc, 16, v0
	;; [unrolled: 2-line block ×3, first 2 shown]
	s_waitcnt vmcnt(0)
	v_cndmask_b32_e32 v3, v3, v19, vcc
	s_waitcnt lgkmcnt(0)
	v_mul_f32_e32 v3, v3, v20
	s_cbranch_execz .LBB17_262
	s_branch .LBB17_263
.LBB17_261:
                                        ; implicit-def: $vgpr3
.LBB17_262:
	ds_read_b32 v3, v88
.LBB17_263:
	v_mov_b32_e32 v20, 0
	ds_read_b32 v20, v20 offset:4
	s_waitcnt lgkmcnt(0)
	v_mul_f32_e32 v3, v3, v20
.LBB17_264:
	s_or_b64 exec, exec, s[0:1]
	v_cndmask_b32_e64 v20, 0, 1, s[38:39]
	v_cmp_gt_u32_e32 vcc, 2, v0
	v_cmp_ne_u32_e64 s[0:1], 1, v20
	s_waitcnt vmcnt(16)
	ds_write_b32 v88, v4
	s_waitcnt lgkmcnt(0)
	; wave barrier
	s_and_saveexec_b64 s[4:5], vcc
	s_cbranch_execz .LBB17_270
; %bb.265:
	s_and_b64 vcc, exec, s[0:1]
	s_cbranch_vccnz .LBB17_267
; %bb.266:
	v_cmp_eq_u32_e32 vcc, 1, v0
	s_waitcnt vmcnt(1)
	v_cndmask_b32_e32 v20, v2, v3, vcc
	v_cmp_eq_u32_e32 vcc, 2, v0
	v_cndmask_b32_e32 v4, v20, v4, vcc
	v_cmp_eq_u32_e32 vcc, 3, v0
	;; [unrolled: 2-line block ×13, first 2 shown]
	ds_read_b32 v20, v88
	v_cndmask_b32_e32 v4, v4, v16, vcc
	v_cmp_eq_u32_e32 vcc, 15, v0
	v_cndmask_b32_e32 v4, v4, v17, vcc
	v_cmp_eq_u32_e32 vcc, 16, v0
	;; [unrolled: 2-line block ×3, first 2 shown]
	s_waitcnt vmcnt(0)
	v_cndmask_b32_e32 v4, v4, v19, vcc
	s_waitcnt lgkmcnt(0)
	v_mul_f32_e32 v4, v4, v20
	s_cbranch_execz .LBB17_268
	s_branch .LBB17_269
.LBB17_267:
                                        ; implicit-def: $vgpr4
.LBB17_268:
	ds_read_b32 v4, v88
.LBB17_269:
	v_mov_b32_e32 v20, 0
	ds_read2_b32 v[20:21], v20 offset0:2 offset1:21
	s_waitcnt lgkmcnt(0)
	v_fma_f32 v21, v3, v21, v4
	v_cndmask_b32_e64 v4, v4, v21, s[2:3]
	v_mul_f32_e32 v4, v4, v20
.LBB17_270:
	s_or_b64 exec, exec, s[4:5]
	v_add_u32_e32 v22, 1, v0
	v_cmp_gt_u32_e64 s[4:5], 3, v0
	s_waitcnt vmcnt(15)
	ds_write_b32 v88, v5
	s_waitcnt lgkmcnt(0)
	; wave barrier
	s_and_saveexec_b64 s[6:7], s[4:5]
	s_cbranch_execz .LBB17_278
; %bb.271:
	s_and_b64 vcc, exec, s[0:1]
	s_cbranch_vccnz .LBB17_273
; %bb.272:
	v_cmp_eq_u32_e32 vcc, 1, v0
	s_waitcnt vmcnt(1)
	v_cndmask_b32_e32 v20, v2, v3, vcc
	v_cmp_eq_u32_e32 vcc, 2, v0
	v_cndmask_b32_e32 v20, v20, v4, vcc
	v_cmp_eq_u32_e32 vcc, 3, v0
	;; [unrolled: 2-line block ×13, first 2 shown]
	ds_read_b32 v21, v88
	v_cndmask_b32_e32 v20, v20, v16, vcc
	v_cmp_eq_u32_e32 vcc, 15, v0
	v_cndmask_b32_e32 v20, v20, v17, vcc
	v_cmp_eq_u32_e32 vcc, 16, v0
	v_cndmask_b32_e32 v20, v20, v18, vcc
	v_cmp_eq_u32_e32 vcc, 17, v0
	s_waitcnt vmcnt(0)
	v_cndmask_b32_e32 v20, v20, v19, vcc
	s_waitcnt lgkmcnt(0)
	v_mul_f32_e32 v20, v20, v21
	s_cbranch_execz .LBB17_274
	s_branch .LBB17_275
.LBB17_273:
                                        ; implicit-def: $vgpr20
.LBB17_274:
	ds_read_b32 v20, v88
.LBB17_275:
	v_cmp_ne_u32_e32 vcc, 2, v0
	s_and_saveexec_b64 s[8:9], vcc
	s_cbranch_execz .LBB17_277
; %bb.276:
	v_cmp_eq_u32_e32 vcc, 1, v22
	s_waitcnt vmcnt(1)
	v_cndmask_b32_e32 v21, v2, v3, vcc
	v_cmp_eq_u32_e32 vcc, 2, v22
	v_cndmask_b32_e32 v21, v21, v4, vcc
	v_cmp_eq_u32_e32 vcc, 3, v22
	;; [unrolled: 2-line block ×13, first 2 shown]
	v_mov_b32_e32 v21, 0
	v_cndmask_b32_e32 v5, v5, v16, vcc
	v_cmp_eq_u32_e32 vcc, 15, v22
	ds_read_b32 v23, v88 offset:4
	ds_read_b32 v21, v21 offset:88
	v_cndmask_b32_e32 v5, v5, v17, vcc
	v_cmp_eq_u32_e32 vcc, 16, v22
	v_cndmask_b32_e32 v5, v5, v18, vcc
	v_cmp_eq_u32_e32 vcc, 17, v22
	s_waitcnt vmcnt(0)
	v_cndmask_b32_e32 v5, v5, v19, vcc
	s_waitcnt lgkmcnt(1)
	v_fmac_f32_e32 v20, v5, v23
	s_waitcnt lgkmcnt(0)
	v_fma_f32 v5, v4, v21, v20
	v_cndmask_b32_e64 v20, v20, v5, s[2:3]
.LBB17_277:
	s_or_b64 exec, exec, s[8:9]
	v_mov_b32_e32 v5, 0
	ds_read_b32 v5, v5 offset:12
	s_waitcnt lgkmcnt(0)
	v_mul_f32_e32 v5, v20, v5
.LBB17_278:
	s_or_b64 exec, exec, s[6:7]
	v_cmp_gt_u32_e32 vcc, 4, v0
	s_waitcnt vmcnt(14)
	ds_write_b32 v88, v6
	s_waitcnt lgkmcnt(0)
	; wave barrier
	s_and_saveexec_b64 s[8:9], vcc
	s_cbranch_execz .LBB17_288
; %bb.279:
	s_and_b64 vcc, exec, s[0:1]
	s_cbranch_vccnz .LBB17_281
; %bb.280:
	v_cmp_eq_u32_e32 vcc, 1, v0
	s_waitcnt vmcnt(1)
	v_cndmask_b32_e32 v20, v2, v3, vcc
	v_cmp_eq_u32_e32 vcc, 2, v0
	v_cndmask_b32_e32 v20, v20, v4, vcc
	v_cmp_eq_u32_e32 vcc, 3, v0
	;; [unrolled: 2-line block ×13, first 2 shown]
	ds_read_b32 v21, v88
	v_cndmask_b32_e32 v20, v20, v16, vcc
	v_cmp_eq_u32_e32 vcc, 15, v0
	v_cndmask_b32_e32 v20, v20, v17, vcc
	v_cmp_eq_u32_e32 vcc, 16, v0
	;; [unrolled: 2-line block ×3, first 2 shown]
	s_waitcnt vmcnt(0)
	v_cndmask_b32_e32 v20, v20, v19, vcc
	s_waitcnt lgkmcnt(0)
	v_mul_f32_e32 v23, v20, v21
	s_cbranch_execz .LBB17_282
	s_branch .LBB17_283
.LBB17_281:
                                        ; implicit-def: $vgpr23
.LBB17_282:
	ds_read_b32 v23, v88
.LBB17_283:
	v_cmp_ne_u32_e32 vcc, 3, v0
	s_and_saveexec_b64 s[10:11], vcc
	s_cbranch_execz .LBB17_287
; %bb.284:
	v_mov_b32_e32 v20, 0x54
	v_lshl_add_u32 v24, v0, 2, v20
	v_mov_b32_e32 v21, v1
	s_mov_b64 s[12:13], 0
	v_mov_b32_e32 v20, v0
.LBB17_285:                             ; =>This Inner Loop Header: Depth=1
	v_add_co_u32_e32 v20, vcc, 1, v20
	v_addc_co_u32_e32 v21, vcc, 0, v21, vcc
	v_cmp_eq_u32_e32 vcc, 1, v20
	s_waitcnt vmcnt(1)
	v_cndmask_b32_e32 v26, v2, v3, vcc
	v_cmp_lt_u32_e32 vcc, 2, v20
	v_cmp_eq_u32_e64 s[6:7], 2, v20
	v_cndmask_b32_e64 v26, v26, v4, s[6:7]
	s_or_b64 s[12:13], vcc, s[12:13]
	v_cmp_eq_u32_e32 vcc, 3, v20
	v_cndmask_b32_e32 v26, v26, v5, vcc
	v_cmp_eq_u32_e32 vcc, 4, v20
	v_cndmask_b32_e32 v26, v26, v6, vcc
	;; [unrolled: 2-line block ×10, first 2 shown]
	v_cmp_eq_u32_e32 vcc, 13, v20
	ds_read_b32 v25, v24
	v_cndmask_b32_e32 v26, v26, v15, vcc
	v_cmp_eq_u32_e32 vcc, 14, v20
	v_cndmask_b32_e32 v26, v26, v16, vcc
	v_cmp_eq_u32_e32 vcc, 15, v20
	;; [unrolled: 2-line block ×4, first 2 shown]
	s_waitcnt vmcnt(0)
	v_cndmask_b32_e32 v26, v26, v19, vcc
	v_add_u32_e32 v24, 4, v24
	s_waitcnt lgkmcnt(0)
	v_fmac_f32_e32 v23, v26, v25
	s_andn2_b64 exec, exec, s[12:13]
	s_cbranch_execnz .LBB17_285
; %bb.286:
	s_or_b64 exec, exec, s[12:13]
.LBB17_287:
	s_or_b64 exec, exec, s[10:11]
	v_mov_b32_e32 v6, 0
	ds_read_b32 v6, v6 offset:16
	s_waitcnt lgkmcnt(0)
	v_mul_f32_e32 v6, v23, v6
.LBB17_288:
	s_or_b64 exec, exec, s[8:9]
	v_cmp_gt_u32_e64 s[6:7], 5, v0
	s_waitcnt vmcnt(13)
	ds_write_b32 v88, v7
	s_waitcnt lgkmcnt(0)
	; wave barrier
	s_and_saveexec_b64 s[10:11], s[6:7]
	s_cbranch_execz .LBB17_298
; %bb.289:
	s_and_b64 vcc, exec, s[0:1]
	s_cbranch_vccnz .LBB17_291
; %bb.290:
	v_cmp_eq_u32_e32 vcc, 1, v0
	s_waitcnt vmcnt(1)
	v_cndmask_b32_e32 v20, v2, v3, vcc
	v_cmp_eq_u32_e32 vcc, 2, v0
	v_cndmask_b32_e32 v20, v20, v4, vcc
	v_cmp_eq_u32_e32 vcc, 3, v0
	;; [unrolled: 2-line block ×13, first 2 shown]
	ds_read_b32 v21, v88
	v_cndmask_b32_e32 v20, v20, v16, vcc
	v_cmp_eq_u32_e32 vcc, 15, v0
	v_cndmask_b32_e32 v20, v20, v17, vcc
	v_cmp_eq_u32_e32 vcc, 16, v0
	;; [unrolled: 2-line block ×3, first 2 shown]
	s_waitcnt vmcnt(0)
	v_cndmask_b32_e32 v20, v20, v19, vcc
	s_waitcnt lgkmcnt(0)
	v_mul_f32_e32 v23, v20, v21
	s_cbranch_execz .LBB17_292
	s_branch .LBB17_293
.LBB17_291:
                                        ; implicit-def: $vgpr23
.LBB17_292:
	ds_read_b32 v23, v88
.LBB17_293:
	v_cmp_ne_u32_e32 vcc, 4, v0
	s_and_saveexec_b64 s[12:13], vcc
	s_cbranch_execz .LBB17_297
; %bb.294:
	v_mov_b32_e32 v20, 0x54
	v_lshl_add_u32 v24, v0, 2, v20
	v_mov_b32_e32 v21, v1
	s_mov_b64 s[14:15], 0
	v_mov_b32_e32 v20, v0
.LBB17_295:                             ; =>This Inner Loop Header: Depth=1
	v_add_co_u32_e32 v20, vcc, 1, v20
	v_addc_co_u32_e32 v21, vcc, 0, v21, vcc
	v_cmp_eq_u32_e32 vcc, 1, v20
	s_waitcnt vmcnt(1)
	v_cndmask_b32_e32 v26, v2, v3, vcc
	v_cmp_lt_u32_e32 vcc, 3, v20
	v_cmp_eq_u32_e64 s[8:9], 2, v20
	v_cndmask_b32_e64 v26, v26, v4, s[8:9]
	s_or_b64 s[14:15], vcc, s[14:15]
	v_cmp_eq_u32_e32 vcc, 3, v20
	v_cndmask_b32_e32 v26, v26, v5, vcc
	v_cmp_eq_u32_e32 vcc, 4, v20
	v_cndmask_b32_e32 v26, v26, v6, vcc
	;; [unrolled: 2-line block ×10, first 2 shown]
	v_cmp_eq_u32_e32 vcc, 13, v20
	ds_read_b32 v25, v24
	v_cndmask_b32_e32 v26, v26, v15, vcc
	v_cmp_eq_u32_e32 vcc, 14, v20
	v_cndmask_b32_e32 v26, v26, v16, vcc
	v_cmp_eq_u32_e32 vcc, 15, v20
	;; [unrolled: 2-line block ×4, first 2 shown]
	s_waitcnt vmcnt(0)
	v_cndmask_b32_e32 v26, v26, v19, vcc
	v_add_u32_e32 v24, 4, v24
	s_waitcnt lgkmcnt(0)
	v_fmac_f32_e32 v23, v26, v25
	s_andn2_b64 exec, exec, s[14:15]
	s_cbranch_execnz .LBB17_295
; %bb.296:
	s_or_b64 exec, exec, s[14:15]
.LBB17_297:
	s_or_b64 exec, exec, s[12:13]
	v_mov_b32_e32 v7, 0
	ds_read_b32 v7, v7 offset:20
	s_waitcnt lgkmcnt(0)
	v_mul_f32_e32 v7, v23, v7
.LBB17_298:
	s_or_b64 exec, exec, s[10:11]
	v_cmp_gt_u32_e32 vcc, 6, v0
	s_waitcnt vmcnt(12)
	ds_write_b32 v88, v8
	s_waitcnt lgkmcnt(0)
	; wave barrier
	s_and_saveexec_b64 s[10:11], vcc
	s_cbranch_execz .LBB17_308
; %bb.299:
	s_and_b64 vcc, exec, s[0:1]
	s_cbranch_vccnz .LBB17_301
; %bb.300:
	v_cmp_eq_u32_e32 vcc, 1, v0
	s_waitcnt vmcnt(1)
	v_cndmask_b32_e32 v20, v2, v3, vcc
	v_cmp_eq_u32_e32 vcc, 2, v0
	v_cndmask_b32_e32 v20, v20, v4, vcc
	v_cmp_eq_u32_e32 vcc, 3, v0
	;; [unrolled: 2-line block ×13, first 2 shown]
	ds_read_b32 v21, v88
	v_cndmask_b32_e32 v20, v20, v16, vcc
	v_cmp_eq_u32_e32 vcc, 15, v0
	v_cndmask_b32_e32 v20, v20, v17, vcc
	v_cmp_eq_u32_e32 vcc, 16, v0
	;; [unrolled: 2-line block ×3, first 2 shown]
	s_waitcnt vmcnt(0)
	v_cndmask_b32_e32 v20, v20, v19, vcc
	s_waitcnt lgkmcnt(0)
	v_mul_f32_e32 v23, v20, v21
	s_cbranch_execz .LBB17_302
	s_branch .LBB17_303
.LBB17_301:
                                        ; implicit-def: $vgpr23
.LBB17_302:
	ds_read_b32 v23, v88
.LBB17_303:
	v_cmp_ne_u32_e32 vcc, 5, v0
	s_and_saveexec_b64 s[12:13], vcc
	s_cbranch_execz .LBB17_307
; %bb.304:
	v_mov_b32_e32 v20, 0x54
	v_lshl_add_u32 v24, v0, 2, v20
	v_mov_b32_e32 v21, v1
	s_mov_b64 s[14:15], 0
	v_mov_b32_e32 v20, v0
.LBB17_305:                             ; =>This Inner Loop Header: Depth=1
	v_add_co_u32_e32 v20, vcc, 1, v20
	v_addc_co_u32_e32 v21, vcc, 0, v21, vcc
	v_cmp_eq_u32_e32 vcc, 1, v20
	s_waitcnt vmcnt(1)
	v_cndmask_b32_e32 v26, v2, v3, vcc
	v_cmp_lt_u32_e32 vcc, 4, v20
	v_cmp_eq_u32_e64 s[8:9], 2, v20
	v_cndmask_b32_e64 v26, v26, v4, s[8:9]
	s_or_b64 s[14:15], vcc, s[14:15]
	v_cmp_eq_u32_e32 vcc, 3, v20
	v_cndmask_b32_e32 v26, v26, v5, vcc
	v_cmp_eq_u32_e32 vcc, 4, v20
	v_cndmask_b32_e32 v26, v26, v6, vcc
	;; [unrolled: 2-line block ×10, first 2 shown]
	v_cmp_eq_u32_e32 vcc, 13, v20
	ds_read_b32 v25, v24
	v_cndmask_b32_e32 v26, v26, v15, vcc
	v_cmp_eq_u32_e32 vcc, 14, v20
	v_cndmask_b32_e32 v26, v26, v16, vcc
	v_cmp_eq_u32_e32 vcc, 15, v20
	;; [unrolled: 2-line block ×4, first 2 shown]
	s_waitcnt vmcnt(0)
	v_cndmask_b32_e32 v26, v26, v19, vcc
	v_add_u32_e32 v24, 4, v24
	s_waitcnt lgkmcnt(0)
	v_fmac_f32_e32 v23, v26, v25
	s_andn2_b64 exec, exec, s[14:15]
	s_cbranch_execnz .LBB17_305
; %bb.306:
	s_or_b64 exec, exec, s[14:15]
.LBB17_307:
	s_or_b64 exec, exec, s[12:13]
	v_mov_b32_e32 v8, 0
	ds_read_b32 v8, v8 offset:24
	s_waitcnt lgkmcnt(0)
	v_mul_f32_e32 v8, v23, v8
.LBB17_308:
	s_or_b64 exec, exec, s[10:11]
	v_cmp_gt_u32_e64 s[8:9], 7, v0
	s_waitcnt vmcnt(11)
	ds_write_b32 v88, v9
	s_waitcnt lgkmcnt(0)
	; wave barrier
	s_and_saveexec_b64 s[12:13], s[8:9]
	s_cbranch_execz .LBB17_318
; %bb.309:
	s_and_b64 vcc, exec, s[0:1]
	s_cbranch_vccnz .LBB17_311
; %bb.310:
	v_cmp_eq_u32_e32 vcc, 1, v0
	s_waitcnt vmcnt(1)
	v_cndmask_b32_e32 v20, v2, v3, vcc
	v_cmp_eq_u32_e32 vcc, 2, v0
	v_cndmask_b32_e32 v20, v20, v4, vcc
	v_cmp_eq_u32_e32 vcc, 3, v0
	;; [unrolled: 2-line block ×13, first 2 shown]
	ds_read_b32 v21, v88
	v_cndmask_b32_e32 v20, v20, v16, vcc
	v_cmp_eq_u32_e32 vcc, 15, v0
	v_cndmask_b32_e32 v20, v20, v17, vcc
	v_cmp_eq_u32_e32 vcc, 16, v0
	;; [unrolled: 2-line block ×3, first 2 shown]
	s_waitcnt vmcnt(0)
	v_cndmask_b32_e32 v20, v20, v19, vcc
	s_waitcnt lgkmcnt(0)
	v_mul_f32_e32 v23, v20, v21
	s_cbranch_execz .LBB17_312
	s_branch .LBB17_313
.LBB17_311:
                                        ; implicit-def: $vgpr23
.LBB17_312:
	ds_read_b32 v23, v88
.LBB17_313:
	v_cmp_ne_u32_e32 vcc, 6, v0
	s_and_saveexec_b64 s[14:15], vcc
	s_cbranch_execz .LBB17_317
; %bb.314:
	v_mov_b32_e32 v20, 0x54
	v_lshl_add_u32 v24, v0, 2, v20
	v_mov_b32_e32 v21, v1
	s_mov_b64 s[16:17], 0
	v_mov_b32_e32 v20, v0
.LBB17_315:                             ; =>This Inner Loop Header: Depth=1
	v_add_co_u32_e32 v20, vcc, 1, v20
	v_addc_co_u32_e32 v21, vcc, 0, v21, vcc
	v_cmp_eq_u32_e32 vcc, 1, v20
	s_waitcnt vmcnt(1)
	v_cndmask_b32_e32 v26, v2, v3, vcc
	v_cmp_lt_u32_e32 vcc, 5, v20
	v_cmp_eq_u32_e64 s[10:11], 2, v20
	v_cndmask_b32_e64 v26, v26, v4, s[10:11]
	s_or_b64 s[16:17], vcc, s[16:17]
	v_cmp_eq_u32_e32 vcc, 3, v20
	v_cndmask_b32_e32 v26, v26, v5, vcc
	v_cmp_eq_u32_e32 vcc, 4, v20
	v_cndmask_b32_e32 v26, v26, v6, vcc
	;; [unrolled: 2-line block ×10, first 2 shown]
	v_cmp_eq_u32_e32 vcc, 13, v20
	ds_read_b32 v25, v24
	v_cndmask_b32_e32 v26, v26, v15, vcc
	v_cmp_eq_u32_e32 vcc, 14, v20
	v_cndmask_b32_e32 v26, v26, v16, vcc
	v_cmp_eq_u32_e32 vcc, 15, v20
	;; [unrolled: 2-line block ×4, first 2 shown]
	s_waitcnt vmcnt(0)
	v_cndmask_b32_e32 v26, v26, v19, vcc
	v_add_u32_e32 v24, 4, v24
	s_waitcnt lgkmcnt(0)
	v_fmac_f32_e32 v23, v26, v25
	s_andn2_b64 exec, exec, s[16:17]
	s_cbranch_execnz .LBB17_315
; %bb.316:
	s_or_b64 exec, exec, s[16:17]
.LBB17_317:
	s_or_b64 exec, exec, s[14:15]
	v_mov_b32_e32 v9, 0
	ds_read_b32 v9, v9 offset:28
	s_waitcnt lgkmcnt(0)
	v_mul_f32_e32 v9, v23, v9
.LBB17_318:
	s_or_b64 exec, exec, s[12:13]
	v_cmp_gt_u32_e32 vcc, 8, v0
	s_waitcnt vmcnt(10)
	ds_write_b32 v88, v10
	s_waitcnt lgkmcnt(0)
	; wave barrier
	s_and_saveexec_b64 s[12:13], vcc
	s_cbranch_execz .LBB17_328
; %bb.319:
	s_and_b64 vcc, exec, s[0:1]
	s_cbranch_vccnz .LBB17_321
; %bb.320:
	v_cmp_eq_u32_e32 vcc, 1, v0
	s_waitcnt vmcnt(1)
	v_cndmask_b32_e32 v20, v2, v3, vcc
	v_cmp_eq_u32_e32 vcc, 2, v0
	v_cndmask_b32_e32 v20, v20, v4, vcc
	v_cmp_eq_u32_e32 vcc, 3, v0
	;; [unrolled: 2-line block ×13, first 2 shown]
	ds_read_b32 v21, v88
	v_cndmask_b32_e32 v20, v20, v16, vcc
	v_cmp_eq_u32_e32 vcc, 15, v0
	v_cndmask_b32_e32 v20, v20, v17, vcc
	v_cmp_eq_u32_e32 vcc, 16, v0
	;; [unrolled: 2-line block ×3, first 2 shown]
	s_waitcnt vmcnt(0)
	v_cndmask_b32_e32 v20, v20, v19, vcc
	s_waitcnt lgkmcnt(0)
	v_mul_f32_e32 v23, v20, v21
	s_cbranch_execz .LBB17_322
	s_branch .LBB17_323
.LBB17_321:
                                        ; implicit-def: $vgpr23
.LBB17_322:
	ds_read_b32 v23, v88
.LBB17_323:
	v_cmp_ne_u32_e32 vcc, 7, v0
	s_and_saveexec_b64 s[14:15], vcc
	s_cbranch_execz .LBB17_327
; %bb.324:
	v_mov_b32_e32 v20, 0x54
	v_lshl_add_u32 v24, v0, 2, v20
	v_mov_b32_e32 v21, v1
	s_mov_b64 s[16:17], 0
	v_mov_b32_e32 v20, v0
.LBB17_325:                             ; =>This Inner Loop Header: Depth=1
	v_add_co_u32_e32 v20, vcc, 1, v20
	v_addc_co_u32_e32 v21, vcc, 0, v21, vcc
	v_cmp_eq_u32_e32 vcc, 1, v20
	s_waitcnt vmcnt(1)
	v_cndmask_b32_e32 v26, v2, v3, vcc
	v_cmp_lt_u32_e32 vcc, 6, v20
	v_cmp_eq_u32_e64 s[10:11], 2, v20
	v_cndmask_b32_e64 v26, v26, v4, s[10:11]
	s_or_b64 s[16:17], vcc, s[16:17]
	v_cmp_eq_u32_e32 vcc, 3, v20
	v_cndmask_b32_e32 v26, v26, v5, vcc
	v_cmp_eq_u32_e32 vcc, 4, v20
	v_cndmask_b32_e32 v26, v26, v6, vcc
	;; [unrolled: 2-line block ×10, first 2 shown]
	v_cmp_eq_u32_e32 vcc, 13, v20
	ds_read_b32 v25, v24
	v_cndmask_b32_e32 v26, v26, v15, vcc
	v_cmp_eq_u32_e32 vcc, 14, v20
	v_cndmask_b32_e32 v26, v26, v16, vcc
	v_cmp_eq_u32_e32 vcc, 15, v20
	;; [unrolled: 2-line block ×4, first 2 shown]
	s_waitcnt vmcnt(0)
	v_cndmask_b32_e32 v26, v26, v19, vcc
	v_add_u32_e32 v24, 4, v24
	s_waitcnt lgkmcnt(0)
	v_fmac_f32_e32 v23, v26, v25
	s_andn2_b64 exec, exec, s[16:17]
	s_cbranch_execnz .LBB17_325
; %bb.326:
	s_or_b64 exec, exec, s[16:17]
.LBB17_327:
	s_or_b64 exec, exec, s[14:15]
	v_mov_b32_e32 v10, 0
	ds_read_b32 v10, v10 offset:32
	s_waitcnt lgkmcnt(0)
	v_mul_f32_e32 v10, v23, v10
.LBB17_328:
	s_or_b64 exec, exec, s[12:13]
	v_cmp_gt_u32_e32 vcc, 9, v0
	s_waitcnt vmcnt(9)
	ds_write_b32 v88, v11
	s_waitcnt lgkmcnt(0)
	; wave barrier
	s_and_saveexec_b64 s[10:11], vcc
	s_cbranch_execz .LBB17_350
; %bb.329:
	s_and_b64 vcc, exec, s[0:1]
	s_cbranch_vccnz .LBB17_331
; %bb.330:
	v_cmp_eq_u32_e32 vcc, 1, v0
	s_waitcnt vmcnt(1)
	v_cndmask_b32_e32 v20, v2, v3, vcc
	v_cmp_eq_u32_e32 vcc, 2, v0
	v_cndmask_b32_e32 v20, v20, v4, vcc
	v_cmp_eq_u32_e32 vcc, 3, v0
	;; [unrolled: 2-line block ×13, first 2 shown]
	ds_read_b32 v21, v88
	v_cndmask_b32_e32 v20, v20, v16, vcc
	v_cmp_eq_u32_e32 vcc, 15, v0
	v_cndmask_b32_e32 v20, v20, v17, vcc
	v_cmp_eq_u32_e32 vcc, 16, v0
	;; [unrolled: 2-line block ×3, first 2 shown]
	s_waitcnt vmcnt(0)
	v_cndmask_b32_e32 v20, v20, v19, vcc
	s_waitcnt lgkmcnt(0)
	v_mul_f32_e32 v20, v20, v21
	s_cbranch_execz .LBB17_332
	s_branch .LBB17_333
.LBB17_331:
                                        ; implicit-def: $vgpr20
.LBB17_332:
	ds_read_b32 v20, v88
.LBB17_333:
	v_cmp_ne_u32_e32 vcc, 8, v0
	s_and_saveexec_b64 s[12:13], vcc
	s_cbranch_execz .LBB17_349
; %bb.334:
	v_cmp_eq_u32_e32 vcc, 1, v22
	s_waitcnt vmcnt(1)
	v_cndmask_b32_e32 v21, v2, v3, vcc
	v_cmp_eq_u32_e32 vcc, 2, v22
	v_cndmask_b32_e32 v21, v21, v4, vcc
	v_cmp_eq_u32_e32 vcc, 3, v22
	;; [unrolled: 2-line block ×13, first 2 shown]
	ds_read_b32 v23, v88 offset:4
	v_cndmask_b32_e32 v21, v21, v16, vcc
	v_cmp_eq_u32_e32 vcc, 15, v22
	v_cndmask_b32_e32 v21, v21, v17, vcc
	v_cmp_eq_u32_e32 vcc, 16, v22
	;; [unrolled: 2-line block ×3, first 2 shown]
	s_waitcnt vmcnt(0)
	v_cndmask_b32_e32 v21, v21, v19, vcc
	s_waitcnt lgkmcnt(0)
	v_fmac_f32_e32 v20, v21, v23
	s_and_saveexec_b64 s[14:15], s[8:9]
	s_cbranch_execz .LBB17_348
; %bb.335:
	v_add_u32_e32 v21, 2, v0
	v_cmp_eq_u32_e32 vcc, 1, v21
	v_cndmask_b32_e32 v22, v2, v3, vcc
	v_cmp_eq_u32_e32 vcc, 2, v21
	v_cndmask_b32_e32 v22, v22, v4, vcc
	;; [unrolled: 2-line block ×13, first 2 shown]
	v_cmp_eq_u32_e32 vcc, 14, v21
	ds_read_b32 v23, v88 offset:8
	v_cndmask_b32_e32 v22, v22, v16, vcc
	v_cmp_eq_u32_e32 vcc, 15, v21
	v_cndmask_b32_e32 v22, v22, v17, vcc
	v_cmp_eq_u32_e32 vcc, 16, v21
	;; [unrolled: 2-line block ×3, first 2 shown]
	v_cndmask_b32_e32 v21, v22, v19, vcc
	s_waitcnt lgkmcnt(0)
	v_fmac_f32_e32 v20, v21, v23
	v_cmp_ne_u32_e32 vcc, 6, v0
	s_and_saveexec_b64 s[8:9], vcc
	s_cbranch_execz .LBB17_347
; %bb.336:
	v_add_u32_e32 v21, 3, v0
	v_cmp_eq_u32_e32 vcc, 1, v21
	v_cndmask_b32_e32 v22, v2, v3, vcc
	v_cmp_eq_u32_e32 vcc, 2, v21
	v_cndmask_b32_e32 v22, v22, v4, vcc
	;; [unrolled: 2-line block ×13, first 2 shown]
	v_cmp_eq_u32_e32 vcc, 14, v21
	ds_read_b32 v23, v88 offset:12
	v_cndmask_b32_e32 v22, v22, v16, vcc
	v_cmp_eq_u32_e32 vcc, 15, v21
	v_cndmask_b32_e32 v22, v22, v17, vcc
	v_cmp_eq_u32_e32 vcc, 16, v21
	;; [unrolled: 2-line block ×3, first 2 shown]
	v_cndmask_b32_e32 v21, v22, v19, vcc
	s_waitcnt lgkmcnt(0)
	v_fmac_f32_e32 v20, v21, v23
	s_and_saveexec_b64 s[16:17], s[6:7]
	s_cbranch_execz .LBB17_346
; %bb.337:
	v_add_u32_e32 v21, 4, v0
	v_cmp_eq_u32_e32 vcc, 1, v21
	v_cndmask_b32_e32 v22, v2, v3, vcc
	v_cmp_eq_u32_e32 vcc, 2, v21
	v_cndmask_b32_e32 v22, v22, v4, vcc
	;; [unrolled: 2-line block ×13, first 2 shown]
	v_cmp_eq_u32_e32 vcc, 14, v21
	ds_read_b32 v23, v88 offset:16
	v_cndmask_b32_e32 v22, v22, v16, vcc
	v_cmp_eq_u32_e32 vcc, 15, v21
	v_cndmask_b32_e32 v22, v22, v17, vcc
	v_cmp_eq_u32_e32 vcc, 16, v21
	;; [unrolled: 2-line block ×3, first 2 shown]
	v_cndmask_b32_e32 v21, v22, v19, vcc
	s_waitcnt lgkmcnt(0)
	v_fmac_f32_e32 v20, v21, v23
	v_cmp_ne_u32_e32 vcc, 4, v0
	s_and_saveexec_b64 s[6:7], vcc
	s_cbranch_execz .LBB17_345
; %bb.338:
	v_add_u32_e32 v21, 5, v0
	v_cmp_eq_u32_e32 vcc, 1, v21
	v_cndmask_b32_e32 v22, v2, v3, vcc
	v_cmp_eq_u32_e32 vcc, 2, v21
	v_cndmask_b32_e32 v22, v22, v4, vcc
	;; [unrolled: 2-line block ×13, first 2 shown]
	v_cmp_eq_u32_e32 vcc, 14, v21
	ds_read_b32 v23, v88 offset:20
	v_cndmask_b32_e32 v22, v22, v16, vcc
	v_cmp_eq_u32_e32 vcc, 15, v21
	v_cndmask_b32_e32 v22, v22, v17, vcc
	v_cmp_eq_u32_e32 vcc, 16, v21
	;; [unrolled: 2-line block ×3, first 2 shown]
	v_cndmask_b32_e32 v21, v22, v19, vcc
	s_waitcnt lgkmcnt(0)
	v_fmac_f32_e32 v20, v21, v23
	s_and_saveexec_b64 s[18:19], s[4:5]
	s_cbranch_execz .LBB17_344
; %bb.339:
	v_add_u32_e32 v21, 6, v0
	v_cmp_eq_u32_e32 vcc, 1, v21
	v_cndmask_b32_e32 v22, v2, v3, vcc
	v_cmp_eq_u32_e32 vcc, 2, v21
	v_cndmask_b32_e32 v22, v22, v4, vcc
	;; [unrolled: 2-line block ×13, first 2 shown]
	v_cmp_eq_u32_e32 vcc, 14, v21
	ds_read_b32 v23, v88 offset:24
	v_cndmask_b32_e32 v22, v22, v16, vcc
	v_cmp_eq_u32_e32 vcc, 15, v21
	v_cndmask_b32_e32 v22, v22, v17, vcc
	v_cmp_eq_u32_e32 vcc, 16, v21
	;; [unrolled: 2-line block ×3, first 2 shown]
	v_cndmask_b32_e32 v21, v22, v19, vcc
	s_waitcnt lgkmcnt(0)
	v_fmac_f32_e32 v20, v21, v23
	v_cmp_ne_u32_e32 vcc, 2, v0
	s_and_saveexec_b64 s[4:5], vcc
	s_cbranch_execz .LBB17_343
; %bb.340:
	v_add_u32_e32 v21, 7, v0
	v_cmp_eq_u32_e32 vcc, 1, v21
	v_cndmask_b32_e32 v22, v2, v3, vcc
	v_cmp_eq_u32_e32 vcc, 2, v21
	v_cndmask_b32_e32 v22, v22, v4, vcc
	;; [unrolled: 2-line block ×13, first 2 shown]
	v_cmp_eq_u32_e32 vcc, 14, v21
	ds_read_b32 v22, v88 offset:28
	v_cndmask_b32_e32 v11, v11, v16, vcc
	v_cmp_eq_u32_e32 vcc, 15, v21
	v_cndmask_b32_e32 v11, v11, v17, vcc
	v_cmp_eq_u32_e32 vcc, 16, v21
	;; [unrolled: 2-line block ×3, first 2 shown]
	v_cndmask_b32_e32 v11, v11, v19, vcc
	s_waitcnt lgkmcnt(0)
	v_fmac_f32_e32 v20, v11, v22
	s_and_saveexec_b64 s[20:21], s[2:3]
	s_cbranch_execz .LBB17_342
; %bb.341:
	ds_read_b32 v11, v88 offset:32
	s_waitcnt lgkmcnt(0)
	v_fmac_f32_e32 v20, v10, v11
.LBB17_342:
	s_or_b64 exec, exec, s[20:21]
.LBB17_343:
	s_or_b64 exec, exec, s[4:5]
.LBB17_344:
	s_or_b64 exec, exec, s[18:19]
.LBB17_345:
	s_or_b64 exec, exec, s[6:7]
.LBB17_346:
	s_or_b64 exec, exec, s[16:17]
.LBB17_347:
	s_or_b64 exec, exec, s[8:9]
.LBB17_348:
	s_or_b64 exec, exec, s[14:15]
.LBB17_349:
	s_or_b64 exec, exec, s[12:13]
	v_mov_b32_e32 v11, 0
	ds_read_b32 v11, v11 offset:36
	s_waitcnt lgkmcnt(0)
	v_mul_f32_e32 v11, v20, v11
.LBB17_350:
	s_or_b64 exec, exec, s[10:11]
	v_cmp_gt_u32_e32 vcc, 10, v0
	s_waitcnt vmcnt(8)
	ds_write_b32 v88, v12
	s_waitcnt lgkmcnt(0)
	; wave barrier
	s_and_saveexec_b64 s[4:5], vcc
	s_cbranch_execz .LBB17_360
; %bb.351:
	s_and_b64 vcc, exec, s[0:1]
	s_cbranch_vccnz .LBB17_353
; %bb.352:
	v_cmp_eq_u32_e32 vcc, 1, v0
	s_waitcnt vmcnt(1)
	v_cndmask_b32_e32 v20, v2, v3, vcc
	v_cmp_eq_u32_e32 vcc, 2, v0
	v_cndmask_b32_e32 v20, v20, v4, vcc
	v_cmp_eq_u32_e32 vcc, 3, v0
	v_cndmask_b32_e32 v20, v20, v5, vcc
	v_cmp_eq_u32_e32 vcc, 4, v0
	v_cndmask_b32_e32 v20, v20, v6, vcc
	v_cmp_eq_u32_e32 vcc, 5, v0
	v_cndmask_b32_e32 v20, v20, v7, vcc
	v_cmp_eq_u32_e32 vcc, 6, v0
	v_cndmask_b32_e32 v20, v20, v8, vcc
	v_cmp_eq_u32_e32 vcc, 7, v0
	v_cndmask_b32_e32 v20, v20, v9, vcc
	v_cmp_eq_u32_e32 vcc, 8, v0
	v_cndmask_b32_e32 v20, v20, v10, vcc
	v_cmp_eq_u32_e32 vcc, 9, v0
	v_cndmask_b32_e32 v20, v20, v11, vcc
	v_cmp_eq_u32_e32 vcc, 10, v0
	v_cndmask_b32_e32 v20, v20, v12, vcc
	v_cmp_eq_u32_e32 vcc, 11, v0
	v_cndmask_b32_e32 v20, v20, v13, vcc
	v_cmp_eq_u32_e32 vcc, 12, v0
	v_cndmask_b32_e32 v20, v20, v14, vcc
	v_cmp_eq_u32_e32 vcc, 13, v0
	v_cndmask_b32_e32 v20, v20, v15, vcc
	v_cmp_eq_u32_e32 vcc, 14, v0
	ds_read_b32 v21, v88
	v_cndmask_b32_e32 v20, v20, v16, vcc
	v_cmp_eq_u32_e32 vcc, 15, v0
	v_cndmask_b32_e32 v20, v20, v17, vcc
	v_cmp_eq_u32_e32 vcc, 16, v0
	;; [unrolled: 2-line block ×3, first 2 shown]
	s_waitcnt vmcnt(0)
	v_cndmask_b32_e32 v20, v20, v19, vcc
	s_waitcnt lgkmcnt(0)
	v_mul_f32_e32 v22, v20, v21
	s_cbranch_execz .LBB17_354
	s_branch .LBB17_355
.LBB17_353:
                                        ; implicit-def: $vgpr22
.LBB17_354:
	ds_read_b32 v22, v88
.LBB17_355:
	v_cmp_ne_u32_e32 vcc, 9, v0
	s_and_saveexec_b64 s[6:7], vcc
	s_cbranch_execz .LBB17_359
; %bb.356:
	v_mov_b32_e32 v20, 0x54
	v_lshl_add_u32 v23, v0, 2, v20
	v_mov_b32_e32 v21, v1
	s_mov_b64 s[8:9], 0
	v_mov_b32_e32 v20, v0
.LBB17_357:                             ; =>This Inner Loop Header: Depth=1
	v_add_co_u32_e32 v20, vcc, 1, v20
	v_addc_co_u32_e32 v21, vcc, 0, v21, vcc
	v_cmp_eq_u32_e32 vcc, 1, v20
	s_waitcnt vmcnt(1)
	v_cndmask_b32_e32 v25, v2, v3, vcc
	v_cmp_lt_u32_e32 vcc, 8, v20
	v_cmp_eq_u32_e64 s[2:3], 2, v20
	v_cndmask_b32_e64 v25, v25, v4, s[2:3]
	s_or_b64 s[8:9], vcc, s[8:9]
	v_cmp_eq_u32_e32 vcc, 3, v20
	v_cndmask_b32_e32 v25, v25, v5, vcc
	v_cmp_eq_u32_e32 vcc, 4, v20
	v_cndmask_b32_e32 v25, v25, v6, vcc
	;; [unrolled: 2-line block ×10, first 2 shown]
	v_cmp_eq_u32_e32 vcc, 13, v20
	ds_read_b32 v24, v23
	v_cndmask_b32_e32 v25, v25, v15, vcc
	v_cmp_eq_u32_e32 vcc, 14, v20
	v_cndmask_b32_e32 v25, v25, v16, vcc
	v_cmp_eq_u32_e32 vcc, 15, v20
	;; [unrolled: 2-line block ×4, first 2 shown]
	s_waitcnt vmcnt(0)
	v_cndmask_b32_e32 v25, v25, v19, vcc
	v_add_u32_e32 v23, 4, v23
	s_waitcnt lgkmcnt(0)
	v_fmac_f32_e32 v22, v25, v24
	s_andn2_b64 exec, exec, s[8:9]
	s_cbranch_execnz .LBB17_357
; %bb.358:
	s_or_b64 exec, exec, s[8:9]
.LBB17_359:
	s_or_b64 exec, exec, s[6:7]
	v_mov_b32_e32 v12, 0
	ds_read_b32 v12, v12 offset:40
	s_waitcnt lgkmcnt(0)
	v_mul_f32_e32 v12, v22, v12
.LBB17_360:
	s_or_b64 exec, exec, s[4:5]
	v_cmp_gt_u32_e32 vcc, 11, v0
	s_waitcnt vmcnt(7)
	ds_write_b32 v88, v13
	s_waitcnt lgkmcnt(0)
	; wave barrier
	s_and_saveexec_b64 s[4:5], vcc
	s_cbranch_execz .LBB17_370
; %bb.361:
	s_and_b64 vcc, exec, s[0:1]
	s_cbranch_vccnz .LBB17_363
; %bb.362:
	v_cmp_eq_u32_e32 vcc, 1, v0
	s_waitcnt vmcnt(1)
	v_cndmask_b32_e32 v20, v2, v3, vcc
	v_cmp_eq_u32_e32 vcc, 2, v0
	v_cndmask_b32_e32 v20, v20, v4, vcc
	v_cmp_eq_u32_e32 vcc, 3, v0
	v_cndmask_b32_e32 v20, v20, v5, vcc
	v_cmp_eq_u32_e32 vcc, 4, v0
	v_cndmask_b32_e32 v20, v20, v6, vcc
	v_cmp_eq_u32_e32 vcc, 5, v0
	v_cndmask_b32_e32 v20, v20, v7, vcc
	v_cmp_eq_u32_e32 vcc, 6, v0
	v_cndmask_b32_e32 v20, v20, v8, vcc
	v_cmp_eq_u32_e32 vcc, 7, v0
	v_cndmask_b32_e32 v20, v20, v9, vcc
	v_cmp_eq_u32_e32 vcc, 8, v0
	v_cndmask_b32_e32 v20, v20, v10, vcc
	v_cmp_eq_u32_e32 vcc, 9, v0
	v_cndmask_b32_e32 v20, v20, v11, vcc
	v_cmp_eq_u32_e32 vcc, 10, v0
	v_cndmask_b32_e32 v20, v20, v12, vcc
	v_cmp_eq_u32_e32 vcc, 11, v0
	v_cndmask_b32_e32 v20, v20, v13, vcc
	v_cmp_eq_u32_e32 vcc, 12, v0
	v_cndmask_b32_e32 v20, v20, v14, vcc
	v_cmp_eq_u32_e32 vcc, 13, v0
	v_cndmask_b32_e32 v20, v20, v15, vcc
	v_cmp_eq_u32_e32 vcc, 14, v0
	ds_read_b32 v21, v88
	v_cndmask_b32_e32 v20, v20, v16, vcc
	v_cmp_eq_u32_e32 vcc, 15, v0
	v_cndmask_b32_e32 v20, v20, v17, vcc
	v_cmp_eq_u32_e32 vcc, 16, v0
	;; [unrolled: 2-line block ×3, first 2 shown]
	s_waitcnt vmcnt(0)
	v_cndmask_b32_e32 v20, v20, v19, vcc
	s_waitcnt lgkmcnt(0)
	v_mul_f32_e32 v22, v20, v21
	s_cbranch_execz .LBB17_364
	s_branch .LBB17_365
.LBB17_363:
                                        ; implicit-def: $vgpr22
.LBB17_364:
	ds_read_b32 v22, v88
.LBB17_365:
	v_cmp_ne_u32_e32 vcc, 10, v0
	s_and_saveexec_b64 s[6:7], vcc
	s_cbranch_execz .LBB17_369
; %bb.366:
	v_mov_b32_e32 v20, 0x54
	v_lshl_add_u32 v23, v0, 2, v20
	v_mov_b32_e32 v21, v1
	s_mov_b64 s[8:9], 0
	v_mov_b32_e32 v20, v0
.LBB17_367:                             ; =>This Inner Loop Header: Depth=1
	v_add_co_u32_e32 v20, vcc, 1, v20
	v_addc_co_u32_e32 v21, vcc, 0, v21, vcc
	v_cmp_eq_u32_e32 vcc, 1, v20
	s_waitcnt vmcnt(1)
	v_cndmask_b32_e32 v25, v2, v3, vcc
	v_cmp_lt_u32_e32 vcc, 9, v20
	v_cmp_eq_u32_e64 s[2:3], 2, v20
	v_cndmask_b32_e64 v25, v25, v4, s[2:3]
	s_or_b64 s[8:9], vcc, s[8:9]
	v_cmp_eq_u32_e32 vcc, 3, v20
	v_cndmask_b32_e32 v25, v25, v5, vcc
	v_cmp_eq_u32_e32 vcc, 4, v20
	v_cndmask_b32_e32 v25, v25, v6, vcc
	;; [unrolled: 2-line block ×10, first 2 shown]
	v_cmp_eq_u32_e32 vcc, 13, v20
	ds_read_b32 v24, v23
	v_cndmask_b32_e32 v25, v25, v15, vcc
	v_cmp_eq_u32_e32 vcc, 14, v20
	v_cndmask_b32_e32 v25, v25, v16, vcc
	v_cmp_eq_u32_e32 vcc, 15, v20
	;; [unrolled: 2-line block ×4, first 2 shown]
	s_waitcnt vmcnt(0)
	v_cndmask_b32_e32 v25, v25, v19, vcc
	v_add_u32_e32 v23, 4, v23
	s_waitcnt lgkmcnt(0)
	v_fmac_f32_e32 v22, v25, v24
	s_andn2_b64 exec, exec, s[8:9]
	s_cbranch_execnz .LBB17_367
; %bb.368:
	s_or_b64 exec, exec, s[8:9]
.LBB17_369:
	s_or_b64 exec, exec, s[6:7]
	v_mov_b32_e32 v13, 0
	ds_read_b32 v13, v13 offset:44
	s_waitcnt lgkmcnt(0)
	v_mul_f32_e32 v13, v22, v13
.LBB17_370:
	s_or_b64 exec, exec, s[4:5]
	v_cmp_gt_u32_e32 vcc, 12, v0
	s_waitcnt vmcnt(6)
	ds_write_b32 v88, v14
	s_waitcnt lgkmcnt(0)
	; wave barrier
	s_and_saveexec_b64 s[4:5], vcc
	s_cbranch_execz .LBB17_380
; %bb.371:
	s_and_b64 vcc, exec, s[0:1]
	s_cbranch_vccnz .LBB17_373
; %bb.372:
	v_cmp_eq_u32_e32 vcc, 1, v0
	s_waitcnt vmcnt(1)
	v_cndmask_b32_e32 v20, v2, v3, vcc
	v_cmp_eq_u32_e32 vcc, 2, v0
	v_cndmask_b32_e32 v20, v20, v4, vcc
	v_cmp_eq_u32_e32 vcc, 3, v0
	;; [unrolled: 2-line block ×13, first 2 shown]
	ds_read_b32 v21, v88
	v_cndmask_b32_e32 v20, v20, v16, vcc
	v_cmp_eq_u32_e32 vcc, 15, v0
	v_cndmask_b32_e32 v20, v20, v17, vcc
	v_cmp_eq_u32_e32 vcc, 16, v0
	;; [unrolled: 2-line block ×3, first 2 shown]
	s_waitcnt vmcnt(0)
	v_cndmask_b32_e32 v20, v20, v19, vcc
	s_waitcnt lgkmcnt(0)
	v_mul_f32_e32 v22, v20, v21
	s_cbranch_execz .LBB17_374
	s_branch .LBB17_375
.LBB17_373:
                                        ; implicit-def: $vgpr22
.LBB17_374:
	ds_read_b32 v22, v88
.LBB17_375:
	v_cmp_ne_u32_e32 vcc, 11, v0
	s_and_saveexec_b64 s[6:7], vcc
	s_cbranch_execz .LBB17_379
; %bb.376:
	v_mov_b32_e32 v20, 0x54
	v_lshl_add_u32 v23, v0, 2, v20
	v_mov_b32_e32 v21, v1
	s_mov_b64 s[8:9], 0
	v_mov_b32_e32 v20, v0
.LBB17_377:                             ; =>This Inner Loop Header: Depth=1
	v_add_co_u32_e32 v20, vcc, 1, v20
	v_addc_co_u32_e32 v21, vcc, 0, v21, vcc
	v_cmp_eq_u32_e32 vcc, 1, v20
	s_waitcnt vmcnt(1)
	v_cndmask_b32_e32 v25, v2, v3, vcc
	v_cmp_lt_u32_e32 vcc, 10, v20
	v_cmp_eq_u32_e64 s[2:3], 2, v20
	v_cndmask_b32_e64 v25, v25, v4, s[2:3]
	s_or_b64 s[8:9], vcc, s[8:9]
	v_cmp_eq_u32_e32 vcc, 3, v20
	v_cndmask_b32_e32 v25, v25, v5, vcc
	v_cmp_eq_u32_e32 vcc, 4, v20
	v_cndmask_b32_e32 v25, v25, v6, vcc
	;; [unrolled: 2-line block ×10, first 2 shown]
	v_cmp_eq_u32_e32 vcc, 13, v20
	ds_read_b32 v24, v23
	v_cndmask_b32_e32 v25, v25, v15, vcc
	v_cmp_eq_u32_e32 vcc, 14, v20
	v_cndmask_b32_e32 v25, v25, v16, vcc
	v_cmp_eq_u32_e32 vcc, 15, v20
	;; [unrolled: 2-line block ×4, first 2 shown]
	s_waitcnt vmcnt(0)
	v_cndmask_b32_e32 v25, v25, v19, vcc
	v_add_u32_e32 v23, 4, v23
	s_waitcnt lgkmcnt(0)
	v_fmac_f32_e32 v22, v25, v24
	s_andn2_b64 exec, exec, s[8:9]
	s_cbranch_execnz .LBB17_377
; %bb.378:
	s_or_b64 exec, exec, s[8:9]
.LBB17_379:
	s_or_b64 exec, exec, s[6:7]
	v_mov_b32_e32 v14, 0
	ds_read_b32 v14, v14 offset:48
	s_waitcnt lgkmcnt(0)
	v_mul_f32_e32 v14, v22, v14
.LBB17_380:
	s_or_b64 exec, exec, s[4:5]
	v_cmp_gt_u32_e32 vcc, 13, v0
	s_waitcnt vmcnt(5)
	ds_write_b32 v88, v15
	s_waitcnt lgkmcnt(0)
	; wave barrier
	s_and_saveexec_b64 s[4:5], vcc
	s_cbranch_execz .LBB17_390
; %bb.381:
	s_and_b64 vcc, exec, s[0:1]
	s_cbranch_vccnz .LBB17_383
; %bb.382:
	v_cmp_eq_u32_e32 vcc, 1, v0
	s_waitcnt vmcnt(1)
	v_cndmask_b32_e32 v20, v2, v3, vcc
	v_cmp_eq_u32_e32 vcc, 2, v0
	v_cndmask_b32_e32 v20, v20, v4, vcc
	v_cmp_eq_u32_e32 vcc, 3, v0
	;; [unrolled: 2-line block ×13, first 2 shown]
	ds_read_b32 v21, v88
	v_cndmask_b32_e32 v20, v20, v16, vcc
	v_cmp_eq_u32_e32 vcc, 15, v0
	v_cndmask_b32_e32 v20, v20, v17, vcc
	v_cmp_eq_u32_e32 vcc, 16, v0
	;; [unrolled: 2-line block ×3, first 2 shown]
	s_waitcnt vmcnt(0)
	v_cndmask_b32_e32 v20, v20, v19, vcc
	s_waitcnt lgkmcnt(0)
	v_mul_f32_e32 v22, v20, v21
	s_cbranch_execz .LBB17_384
	s_branch .LBB17_385
.LBB17_383:
                                        ; implicit-def: $vgpr22
.LBB17_384:
	ds_read_b32 v22, v88
.LBB17_385:
	v_cmp_ne_u32_e32 vcc, 12, v0
	s_and_saveexec_b64 s[6:7], vcc
	s_cbranch_execz .LBB17_389
; %bb.386:
	v_mov_b32_e32 v20, 0x54
	v_lshl_add_u32 v23, v0, 2, v20
	v_mov_b32_e32 v21, v1
	s_mov_b64 s[8:9], 0
	v_mov_b32_e32 v20, v0
.LBB17_387:                             ; =>This Inner Loop Header: Depth=1
	v_add_co_u32_e32 v20, vcc, 1, v20
	v_addc_co_u32_e32 v21, vcc, 0, v21, vcc
	v_cmp_eq_u32_e32 vcc, 1, v20
	s_waitcnt vmcnt(1)
	v_cndmask_b32_e32 v25, v2, v3, vcc
	v_cmp_lt_u32_e32 vcc, 11, v20
	v_cmp_eq_u32_e64 s[2:3], 2, v20
	v_cndmask_b32_e64 v25, v25, v4, s[2:3]
	s_or_b64 s[8:9], vcc, s[8:9]
	v_cmp_eq_u32_e32 vcc, 3, v20
	v_cndmask_b32_e32 v25, v25, v5, vcc
	v_cmp_eq_u32_e32 vcc, 4, v20
	v_cndmask_b32_e32 v25, v25, v6, vcc
	;; [unrolled: 2-line block ×10, first 2 shown]
	v_cmp_eq_u32_e32 vcc, 13, v20
	ds_read_b32 v24, v23
	v_cndmask_b32_e32 v25, v25, v15, vcc
	v_cmp_eq_u32_e32 vcc, 14, v20
	v_cndmask_b32_e32 v25, v25, v16, vcc
	v_cmp_eq_u32_e32 vcc, 15, v20
	;; [unrolled: 2-line block ×4, first 2 shown]
	s_waitcnt vmcnt(0)
	v_cndmask_b32_e32 v25, v25, v19, vcc
	v_add_u32_e32 v23, 4, v23
	s_waitcnt lgkmcnt(0)
	v_fmac_f32_e32 v22, v25, v24
	s_andn2_b64 exec, exec, s[8:9]
	s_cbranch_execnz .LBB17_387
; %bb.388:
	s_or_b64 exec, exec, s[8:9]
.LBB17_389:
	s_or_b64 exec, exec, s[6:7]
	v_mov_b32_e32 v15, 0
	ds_read_b32 v15, v15 offset:52
	s_waitcnt lgkmcnt(0)
	v_mul_f32_e32 v15, v22, v15
.LBB17_390:
	s_or_b64 exec, exec, s[4:5]
	v_cmp_gt_u32_e32 vcc, 14, v0
	s_waitcnt vmcnt(4)
	ds_write_b32 v88, v16
	s_waitcnt lgkmcnt(0)
	; wave barrier
	s_and_saveexec_b64 s[4:5], vcc
	s_cbranch_execz .LBB17_400
; %bb.391:
	s_and_b64 vcc, exec, s[0:1]
	s_cbranch_vccnz .LBB17_393
; %bb.392:
	v_cmp_eq_u32_e32 vcc, 1, v0
	s_waitcnt vmcnt(1)
	v_cndmask_b32_e32 v20, v2, v3, vcc
	v_cmp_eq_u32_e32 vcc, 2, v0
	v_cndmask_b32_e32 v20, v20, v4, vcc
	v_cmp_eq_u32_e32 vcc, 3, v0
	;; [unrolled: 2-line block ×13, first 2 shown]
	ds_read_b32 v21, v88
	v_cndmask_b32_e32 v20, v20, v16, vcc
	v_cmp_eq_u32_e32 vcc, 15, v0
	v_cndmask_b32_e32 v20, v20, v17, vcc
	v_cmp_eq_u32_e32 vcc, 16, v0
	;; [unrolled: 2-line block ×3, first 2 shown]
	s_waitcnt vmcnt(0)
	v_cndmask_b32_e32 v20, v20, v19, vcc
	s_waitcnt lgkmcnt(0)
	v_mul_f32_e32 v22, v20, v21
	s_cbranch_execz .LBB17_394
	s_branch .LBB17_395
.LBB17_393:
                                        ; implicit-def: $vgpr22
.LBB17_394:
	ds_read_b32 v22, v88
.LBB17_395:
	v_cmp_ne_u32_e32 vcc, 13, v0
	s_and_saveexec_b64 s[6:7], vcc
	s_cbranch_execz .LBB17_399
; %bb.396:
	v_mov_b32_e32 v20, 0x54
	v_lshl_add_u32 v23, v0, 2, v20
	v_mov_b32_e32 v21, v1
	s_mov_b64 s[8:9], 0
	v_mov_b32_e32 v20, v0
.LBB17_397:                             ; =>This Inner Loop Header: Depth=1
	v_add_co_u32_e32 v20, vcc, 1, v20
	v_addc_co_u32_e32 v21, vcc, 0, v21, vcc
	v_cmp_eq_u32_e32 vcc, 1, v20
	s_waitcnt vmcnt(1)
	v_cndmask_b32_e32 v25, v2, v3, vcc
	v_cmp_lt_u32_e32 vcc, 12, v20
	v_cmp_eq_u32_e64 s[2:3], 2, v20
	v_cndmask_b32_e64 v25, v25, v4, s[2:3]
	s_or_b64 s[8:9], vcc, s[8:9]
	v_cmp_eq_u32_e32 vcc, 3, v20
	v_cndmask_b32_e32 v25, v25, v5, vcc
	v_cmp_eq_u32_e32 vcc, 4, v20
	v_cndmask_b32_e32 v25, v25, v6, vcc
	;; [unrolled: 2-line block ×10, first 2 shown]
	v_cmp_eq_u32_e32 vcc, 13, v20
	ds_read_b32 v24, v23
	v_cndmask_b32_e32 v25, v25, v15, vcc
	v_cmp_eq_u32_e32 vcc, 14, v20
	v_cndmask_b32_e32 v25, v25, v16, vcc
	v_cmp_eq_u32_e32 vcc, 15, v20
	;; [unrolled: 2-line block ×4, first 2 shown]
	s_waitcnt vmcnt(0)
	v_cndmask_b32_e32 v25, v25, v19, vcc
	v_add_u32_e32 v23, 4, v23
	s_waitcnt lgkmcnt(0)
	v_fmac_f32_e32 v22, v25, v24
	s_andn2_b64 exec, exec, s[8:9]
	s_cbranch_execnz .LBB17_397
; %bb.398:
	s_or_b64 exec, exec, s[8:9]
.LBB17_399:
	s_or_b64 exec, exec, s[6:7]
	v_mov_b32_e32 v16, 0
	ds_read_b32 v16, v16 offset:56
	s_waitcnt lgkmcnt(0)
	v_mul_f32_e32 v16, v22, v16
.LBB17_400:
	s_or_b64 exec, exec, s[4:5]
	v_cmp_gt_u32_e32 vcc, 15, v0
	s_waitcnt vmcnt(3)
	ds_write_b32 v88, v17
	s_waitcnt lgkmcnt(0)
	; wave barrier
	s_and_saveexec_b64 s[4:5], vcc
	s_cbranch_execz .LBB17_410
; %bb.401:
	s_and_b64 vcc, exec, s[0:1]
	s_cbranch_vccnz .LBB17_403
; %bb.402:
	v_cmp_eq_u32_e32 vcc, 1, v0
	s_waitcnt vmcnt(1)
	v_cndmask_b32_e32 v20, v2, v3, vcc
	v_cmp_eq_u32_e32 vcc, 2, v0
	v_cndmask_b32_e32 v20, v20, v4, vcc
	v_cmp_eq_u32_e32 vcc, 3, v0
	;; [unrolled: 2-line block ×13, first 2 shown]
	ds_read_b32 v21, v88
	v_cndmask_b32_e32 v20, v20, v16, vcc
	v_cmp_eq_u32_e32 vcc, 15, v0
	v_cndmask_b32_e32 v20, v20, v17, vcc
	v_cmp_eq_u32_e32 vcc, 16, v0
	;; [unrolled: 2-line block ×3, first 2 shown]
	s_waitcnt vmcnt(0)
	v_cndmask_b32_e32 v20, v20, v19, vcc
	s_waitcnt lgkmcnt(0)
	v_mul_f32_e32 v22, v20, v21
	s_cbranch_execz .LBB17_404
	s_branch .LBB17_405
.LBB17_403:
                                        ; implicit-def: $vgpr22
.LBB17_404:
	ds_read_b32 v22, v88
.LBB17_405:
	v_cmp_ne_u32_e32 vcc, 14, v0
	s_and_saveexec_b64 s[6:7], vcc
	s_cbranch_execz .LBB17_409
; %bb.406:
	v_mov_b32_e32 v20, 0x54
	v_lshl_add_u32 v23, v0, 2, v20
	v_mov_b32_e32 v21, v1
	s_mov_b64 s[8:9], 0
	v_mov_b32_e32 v20, v0
.LBB17_407:                             ; =>This Inner Loop Header: Depth=1
	v_add_co_u32_e32 v20, vcc, 1, v20
	v_addc_co_u32_e32 v21, vcc, 0, v21, vcc
	v_cmp_eq_u32_e32 vcc, 1, v20
	s_waitcnt vmcnt(1)
	v_cndmask_b32_e32 v25, v2, v3, vcc
	v_cmp_lt_u32_e32 vcc, 13, v20
	v_cmp_eq_u32_e64 s[2:3], 2, v20
	v_cndmask_b32_e64 v25, v25, v4, s[2:3]
	s_or_b64 s[8:9], vcc, s[8:9]
	v_cmp_eq_u32_e32 vcc, 3, v20
	v_cndmask_b32_e32 v25, v25, v5, vcc
	v_cmp_eq_u32_e32 vcc, 4, v20
	v_cndmask_b32_e32 v25, v25, v6, vcc
	;; [unrolled: 2-line block ×10, first 2 shown]
	v_cmp_eq_u32_e32 vcc, 13, v20
	ds_read_b32 v24, v23
	v_cndmask_b32_e32 v25, v25, v15, vcc
	v_cmp_eq_u32_e32 vcc, 14, v20
	v_cndmask_b32_e32 v25, v25, v16, vcc
	v_cmp_eq_u32_e32 vcc, 15, v20
	;; [unrolled: 2-line block ×4, first 2 shown]
	s_waitcnt vmcnt(0)
	v_cndmask_b32_e32 v25, v25, v19, vcc
	v_add_u32_e32 v23, 4, v23
	s_waitcnt lgkmcnt(0)
	v_fmac_f32_e32 v22, v25, v24
	s_andn2_b64 exec, exec, s[8:9]
	s_cbranch_execnz .LBB17_407
; %bb.408:
	s_or_b64 exec, exec, s[8:9]
.LBB17_409:
	s_or_b64 exec, exec, s[6:7]
	v_mov_b32_e32 v17, 0
	ds_read_b32 v17, v17 offset:60
	s_waitcnt lgkmcnt(0)
	v_mul_f32_e32 v17, v22, v17
.LBB17_410:
	s_or_b64 exec, exec, s[4:5]
	v_cmp_gt_u32_e64 s[2:3], 16, v0
	s_waitcnt vmcnt(2)
	ds_write_b32 v88, v18
	s_waitcnt lgkmcnt(0)
	; wave barrier
	s_and_saveexec_b64 s[6:7], s[2:3]
	s_cbranch_execz .LBB17_420
; %bb.411:
	s_and_b64 vcc, exec, s[0:1]
	s_cbranch_vccnz .LBB17_413
; %bb.412:
	v_cmp_eq_u32_e32 vcc, 1, v0
	s_waitcnt vmcnt(1)
	v_cndmask_b32_e32 v20, v2, v3, vcc
	v_cmp_eq_u32_e32 vcc, 2, v0
	v_cndmask_b32_e32 v20, v20, v4, vcc
	v_cmp_eq_u32_e32 vcc, 3, v0
	;; [unrolled: 2-line block ×13, first 2 shown]
	ds_read_b32 v21, v88
	v_cndmask_b32_e32 v20, v20, v16, vcc
	v_cmp_eq_u32_e32 vcc, 15, v0
	v_cndmask_b32_e32 v20, v20, v17, vcc
	v_cmp_eq_u32_e32 vcc, 16, v0
	;; [unrolled: 2-line block ×3, first 2 shown]
	s_waitcnt vmcnt(0)
	v_cndmask_b32_e32 v20, v20, v19, vcc
	s_waitcnt lgkmcnt(0)
	v_mul_f32_e32 v22, v20, v21
	s_cbranch_execz .LBB17_414
	s_branch .LBB17_415
.LBB17_413:
                                        ; implicit-def: $vgpr22
.LBB17_414:
	ds_read_b32 v22, v88
.LBB17_415:
	v_cmp_ne_u32_e32 vcc, 15, v0
	s_and_saveexec_b64 s[8:9], vcc
	s_cbranch_execz .LBB17_419
; %bb.416:
	v_mov_b32_e32 v20, 0x54
	v_lshl_add_u32 v23, v0, 2, v20
	v_mov_b32_e32 v21, v1
	s_mov_b64 s[10:11], 0
	v_mov_b32_e32 v20, v0
.LBB17_417:                             ; =>This Inner Loop Header: Depth=1
	v_add_co_u32_e32 v20, vcc, 1, v20
	v_addc_co_u32_e32 v21, vcc, 0, v21, vcc
	v_cmp_eq_u32_e32 vcc, 1, v20
	s_waitcnt vmcnt(1)
	v_cndmask_b32_e32 v25, v2, v3, vcc
	v_cmp_lt_u32_e32 vcc, 14, v20
	v_cmp_eq_u32_e64 s[4:5], 2, v20
	v_cndmask_b32_e64 v25, v25, v4, s[4:5]
	s_or_b64 s[10:11], vcc, s[10:11]
	v_cmp_eq_u32_e32 vcc, 3, v20
	v_cndmask_b32_e32 v25, v25, v5, vcc
	v_cmp_eq_u32_e32 vcc, 4, v20
	v_cndmask_b32_e32 v25, v25, v6, vcc
	;; [unrolled: 2-line block ×10, first 2 shown]
	v_cmp_eq_u32_e32 vcc, 13, v20
	ds_read_b32 v24, v23
	v_cndmask_b32_e32 v25, v25, v15, vcc
	v_cmp_eq_u32_e32 vcc, 14, v20
	v_cndmask_b32_e32 v25, v25, v16, vcc
	v_cmp_eq_u32_e32 vcc, 15, v20
	;; [unrolled: 2-line block ×4, first 2 shown]
	s_waitcnt vmcnt(0)
	v_cndmask_b32_e32 v25, v25, v19, vcc
	v_add_u32_e32 v23, 4, v23
	s_waitcnt lgkmcnt(0)
	v_fmac_f32_e32 v22, v25, v24
	s_andn2_b64 exec, exec, s[10:11]
	s_cbranch_execnz .LBB17_417
; %bb.418:
	s_or_b64 exec, exec, s[10:11]
.LBB17_419:
	s_or_b64 exec, exec, s[8:9]
	v_mov_b32_e32 v18, 0
	ds_read_b32 v18, v18 offset:64
	s_waitcnt lgkmcnt(0)
	v_mul_f32_e32 v18, v22, v18
.LBB17_420:
	s_or_b64 exec, exec, s[6:7]
	v_cmp_ne_u32_e32 vcc, 17, v0
	s_waitcnt vmcnt(0)
	ds_write_b32 v88, v19
	s_waitcnt lgkmcnt(0)
	; wave barrier
	s_and_saveexec_b64 s[4:5], vcc
	s_cbranch_execz .LBB17_430
; %bb.421:
	s_and_b64 vcc, exec, s[0:1]
	s_cbranch_vccnz .LBB17_423
; %bb.422:
	v_cmp_eq_u32_e32 vcc, 1, v0
	v_cndmask_b32_e32 v20, v2, v3, vcc
	v_cmp_eq_u32_e32 vcc, 2, v0
	v_cndmask_b32_e32 v20, v20, v4, vcc
	v_cmp_eq_u32_e32 vcc, 3, v0
	v_cndmask_b32_e32 v20, v20, v5, vcc
	v_cmp_eq_u32_e32 vcc, 4, v0
	v_cndmask_b32_e32 v20, v20, v6, vcc
	v_cmp_eq_u32_e32 vcc, 5, v0
	v_cndmask_b32_e32 v20, v20, v7, vcc
	v_cmp_eq_u32_e32 vcc, 6, v0
	v_cndmask_b32_e32 v20, v20, v8, vcc
	v_cmp_eq_u32_e32 vcc, 7, v0
	v_cndmask_b32_e32 v20, v20, v9, vcc
	v_cmp_eq_u32_e32 vcc, 8, v0
	v_cndmask_b32_e32 v20, v20, v10, vcc
	v_cmp_eq_u32_e32 vcc, 9, v0
	v_cndmask_b32_e32 v20, v20, v11, vcc
	v_cmp_eq_u32_e32 vcc, 10, v0
	v_cndmask_b32_e32 v20, v20, v12, vcc
	v_cmp_eq_u32_e32 vcc, 11, v0
	v_cndmask_b32_e32 v20, v20, v13, vcc
	v_cmp_eq_u32_e32 vcc, 12, v0
	v_cndmask_b32_e32 v20, v20, v14, vcc
	v_cmp_eq_u32_e32 vcc, 13, v0
	v_cndmask_b32_e32 v20, v20, v15, vcc
	v_cmp_eq_u32_e32 vcc, 14, v0
	ds_read_b32 v21, v88
	v_cndmask_b32_e32 v20, v20, v16, vcc
	v_cmp_eq_u32_e32 vcc, 15, v0
	v_cndmask_b32_e32 v20, v20, v17, vcc
	v_cmp_eq_u32_e32 vcc, 16, v0
	;; [unrolled: 2-line block ×3, first 2 shown]
	v_cndmask_b32_e32 v20, v20, v19, vcc
	s_waitcnt lgkmcnt(0)
	v_mul_f32_e32 v20, v20, v21
	s_cbranch_execz .LBB17_424
	s_branch .LBB17_425
.LBB17_423:
                                        ; implicit-def: $vgpr20
.LBB17_424:
	ds_read_b32 v20, v88
.LBB17_425:
	s_and_saveexec_b64 s[6:7], s[2:3]
	s_cbranch_execz .LBB17_429
; %bb.426:
	v_mov_b32_e32 v21, 0x54
	v_lshl_add_u32 v21, v0, 2, v21
	s_mov_b64 s[2:3], 0
.LBB17_427:                             ; =>This Inner Loop Header: Depth=1
	v_add_co_u32_e32 v0, vcc, 1, v0
	v_addc_co_u32_e32 v1, vcc, 0, v1, vcc
	v_cmp_eq_u32_e32 vcc, 1, v0
	v_cndmask_b32_e32 v23, v2, v3, vcc
	v_cmp_lt_u32_e32 vcc, 15, v0
	v_cmp_eq_u32_e64 s[0:1], 2, v0
	v_cndmask_b32_e64 v23, v23, v4, s[0:1]
	s_or_b64 s[2:3], vcc, s[2:3]
	v_cmp_eq_u32_e32 vcc, 3, v0
	v_cndmask_b32_e32 v23, v23, v5, vcc
	v_cmp_eq_u32_e32 vcc, 4, v0
	v_cndmask_b32_e32 v23, v23, v6, vcc
	;; [unrolled: 2-line block ×10, first 2 shown]
	v_cmp_eq_u32_e32 vcc, 13, v0
	ds_read_b32 v22, v21
	v_cndmask_b32_e32 v23, v23, v15, vcc
	v_cmp_eq_u32_e32 vcc, 14, v0
	v_cndmask_b32_e32 v23, v23, v16, vcc
	v_cmp_eq_u32_e32 vcc, 15, v0
	;; [unrolled: 2-line block ×4, first 2 shown]
	v_cndmask_b32_e32 v23, v23, v19, vcc
	v_add_u32_e32 v21, 4, v21
	s_waitcnt lgkmcnt(0)
	v_fmac_f32_e32 v20, v23, v22
	s_andn2_b64 exec, exec, s[2:3]
	s_cbranch_execnz .LBB17_427
; %bb.428:
	s_or_b64 exec, exec, s[2:3]
.LBB17_429:
	s_or_b64 exec, exec, s[6:7]
	v_mov_b32_e32 v0, 0
	ds_read_b32 v0, v0 offset:68
	s_waitcnt lgkmcnt(0)
	v_mul_f32_e32 v19, v20, v0
.LBB17_430:
	s_or_b64 exec, exec, s[4:5]
	v_mov_b32_e32 v51, v33
	v_mov_b32_e32 v50, v32
	;; [unrolled: 1-line block ×32, first 2 shown]
.LBB17_431:
	global_store_dword v[84:85], v20, off
	global_store_dword v[86:87], v21, off
	;; [unrolled: 1-line block ×18, first 2 shown]
.LBB17_432:
	s_endpgm
	.section	.rodata,"a",@progbits
	.p2align	6, 0x0
	.amdhsa_kernel _ZN9rocsolver6v33100L18trti2_kernel_smallILi18EfPfEEv13rocblas_fill_17rocblas_diagonal_T1_iil
		.amdhsa_group_segment_fixed_size 152
		.amdhsa_private_segment_fixed_size 0
		.amdhsa_kernarg_size 32
		.amdhsa_user_sgpr_count 6
		.amdhsa_user_sgpr_private_segment_buffer 1
		.amdhsa_user_sgpr_dispatch_ptr 0
		.amdhsa_user_sgpr_queue_ptr 0
		.amdhsa_user_sgpr_kernarg_segment_ptr 1
		.amdhsa_user_sgpr_dispatch_id 0
		.amdhsa_user_sgpr_flat_scratch_init 0
		.amdhsa_user_sgpr_private_segment_size 0
		.amdhsa_uses_dynamic_stack 0
		.amdhsa_system_sgpr_private_segment_wavefront_offset 0
		.amdhsa_system_sgpr_workgroup_id_x 1
		.amdhsa_system_sgpr_workgroup_id_y 0
		.amdhsa_system_sgpr_workgroup_id_z 0
		.amdhsa_system_sgpr_workgroup_info 0
		.amdhsa_system_vgpr_workitem_id 0
		.amdhsa_next_free_vgpr 106
		.amdhsa_next_free_sgpr 48
		.amdhsa_reserve_vcc 1
		.amdhsa_reserve_flat_scratch 0
		.amdhsa_float_round_mode_32 0
		.amdhsa_float_round_mode_16_64 0
		.amdhsa_float_denorm_mode_32 3
		.amdhsa_float_denorm_mode_16_64 3
		.amdhsa_dx10_clamp 1
		.amdhsa_ieee_mode 1
		.amdhsa_fp16_overflow 0
		.amdhsa_exception_fp_ieee_invalid_op 0
		.amdhsa_exception_fp_denorm_src 0
		.amdhsa_exception_fp_ieee_div_zero 0
		.amdhsa_exception_fp_ieee_overflow 0
		.amdhsa_exception_fp_ieee_underflow 0
		.amdhsa_exception_fp_ieee_inexact 0
		.amdhsa_exception_int_div_zero 0
	.end_amdhsa_kernel
	.section	.text._ZN9rocsolver6v33100L18trti2_kernel_smallILi18EfPfEEv13rocblas_fill_17rocblas_diagonal_T1_iil,"axG",@progbits,_ZN9rocsolver6v33100L18trti2_kernel_smallILi18EfPfEEv13rocblas_fill_17rocblas_diagonal_T1_iil,comdat
.Lfunc_end17:
	.size	_ZN9rocsolver6v33100L18trti2_kernel_smallILi18EfPfEEv13rocblas_fill_17rocblas_diagonal_T1_iil, .Lfunc_end17-_ZN9rocsolver6v33100L18trti2_kernel_smallILi18EfPfEEv13rocblas_fill_17rocblas_diagonal_T1_iil
                                        ; -- End function
	.set _ZN9rocsolver6v33100L18trti2_kernel_smallILi18EfPfEEv13rocblas_fill_17rocblas_diagonal_T1_iil.num_vgpr, 106
	.set _ZN9rocsolver6v33100L18trti2_kernel_smallILi18EfPfEEv13rocblas_fill_17rocblas_diagonal_T1_iil.num_agpr, 0
	.set _ZN9rocsolver6v33100L18trti2_kernel_smallILi18EfPfEEv13rocblas_fill_17rocblas_diagonal_T1_iil.numbered_sgpr, 48
	.set _ZN9rocsolver6v33100L18trti2_kernel_smallILi18EfPfEEv13rocblas_fill_17rocblas_diagonal_T1_iil.num_named_barrier, 0
	.set _ZN9rocsolver6v33100L18trti2_kernel_smallILi18EfPfEEv13rocblas_fill_17rocblas_diagonal_T1_iil.private_seg_size, 0
	.set _ZN9rocsolver6v33100L18trti2_kernel_smallILi18EfPfEEv13rocblas_fill_17rocblas_diagonal_T1_iil.uses_vcc, 1
	.set _ZN9rocsolver6v33100L18trti2_kernel_smallILi18EfPfEEv13rocblas_fill_17rocblas_diagonal_T1_iil.uses_flat_scratch, 0
	.set _ZN9rocsolver6v33100L18trti2_kernel_smallILi18EfPfEEv13rocblas_fill_17rocblas_diagonal_T1_iil.has_dyn_sized_stack, 0
	.set _ZN9rocsolver6v33100L18trti2_kernel_smallILi18EfPfEEv13rocblas_fill_17rocblas_diagonal_T1_iil.has_recursion, 0
	.set _ZN9rocsolver6v33100L18trti2_kernel_smallILi18EfPfEEv13rocblas_fill_17rocblas_diagonal_T1_iil.has_indirect_call, 0
	.section	.AMDGPU.csdata,"",@progbits
; Kernel info:
; codeLenInByte = 22472
; TotalNumSgprs: 52
; NumVgprs: 106
; ScratchSize: 0
; MemoryBound: 0
; FloatMode: 240
; IeeeMode: 1
; LDSByteSize: 152 bytes/workgroup (compile time only)
; SGPRBlocks: 6
; VGPRBlocks: 26
; NumSGPRsForWavesPerEU: 52
; NumVGPRsForWavesPerEU: 106
; Occupancy: 2
; WaveLimiterHint : 0
; COMPUTE_PGM_RSRC2:SCRATCH_EN: 0
; COMPUTE_PGM_RSRC2:USER_SGPR: 6
; COMPUTE_PGM_RSRC2:TRAP_HANDLER: 0
; COMPUTE_PGM_RSRC2:TGID_X_EN: 1
; COMPUTE_PGM_RSRC2:TGID_Y_EN: 0
; COMPUTE_PGM_RSRC2:TGID_Z_EN: 0
; COMPUTE_PGM_RSRC2:TIDIG_COMP_CNT: 0
	.section	.text._ZN9rocsolver6v33100L18trti2_kernel_smallILi19EfPfEEv13rocblas_fill_17rocblas_diagonal_T1_iil,"axG",@progbits,_ZN9rocsolver6v33100L18trti2_kernel_smallILi19EfPfEEv13rocblas_fill_17rocblas_diagonal_T1_iil,comdat
	.globl	_ZN9rocsolver6v33100L18trti2_kernel_smallILi19EfPfEEv13rocblas_fill_17rocblas_diagonal_T1_iil ; -- Begin function _ZN9rocsolver6v33100L18trti2_kernel_smallILi19EfPfEEv13rocblas_fill_17rocblas_diagonal_T1_iil
	.p2align	8
	.type	_ZN9rocsolver6v33100L18trti2_kernel_smallILi19EfPfEEv13rocblas_fill_17rocblas_diagonal_T1_iil,@function
_ZN9rocsolver6v33100L18trti2_kernel_smallILi19EfPfEEv13rocblas_fill_17rocblas_diagonal_T1_iil: ; @_ZN9rocsolver6v33100L18trti2_kernel_smallILi19EfPfEEv13rocblas_fill_17rocblas_diagonal_T1_iil
; %bb.0:
	v_cmp_gt_u32_e32 vcc, 19, v0
	s_and_saveexec_b64 s[0:1], vcc
	s_cbranch_execz .LBB18_458
; %bb.1:
	s_load_dwordx8 s[40:47], s[4:5], 0x0
	s_ashr_i32 s2, s6, 31
	v_lshlrev_b32_e32 v21, 2, v0
	v_mov_b32_e32 v22, -1.0
	s_waitcnt lgkmcnt(0)
	s_mul_hi_u32 s3, s46, s6
	s_mul_i32 s2, s46, s2
	s_add_i32 s2, s3, s2
	s_mul_i32 s3, s47, s6
	s_add_i32 s3, s2, s3
	s_mul_i32 s2, s46, s6
	s_ashr_i32 s1, s44, 31
	s_lshl_b64 s[2:3], s[2:3], 2
	s_mov_b32 s0, s44
	s_add_u32 s2, s42, s2
	s_addc_u32 s3, s43, s3
	s_lshl_b64 s[0:1], s[0:1], 2
	s_add_u32 s0, s2, s0
	s_addc_u32 s1, s3, s1
	s_add_i32 s2, s45, s45
	v_add_u32_e32 v1, s2, v0
	v_ashrrev_i32_e32 v2, 31, v1
	v_lshlrev_b64 v[2:3], 2, v[1:2]
	v_add_u32_e32 v1, s45, v1
	v_mov_b32_e32 v4, s1
	v_add_co_u32_e32 v53, vcc, s0, v2
	v_ashrrev_i32_e32 v2, 31, v1
	v_addc_co_u32_e32 v54, vcc, v4, v3, vcc
	v_lshlrev_b64 v[2:3], 2, v[1:2]
	v_add_u32_e32 v1, s45, v1
	v_add_co_u32_e32 v55, vcc, s0, v2
	v_ashrrev_i32_e32 v2, 31, v1
	v_addc_co_u32_e32 v56, vcc, v4, v3, vcc
	v_lshlrev_b64 v[2:3], 2, v[1:2]
	v_add_u32_e32 v1, s45, v1
	;; [unrolled: 5-line block ×15, first 2 shown]
	v_add_co_u32_e32 v83, vcc, s0, v2
	v_ashrrev_i32_e32 v2, 31, v1
	v_lshlrev_b64 v[1:2], 2, v[1:2]
	v_addc_co_u32_e32 v84, vcc, v4, v3, vcc
	v_mov_b32_e32 v3, s1
	v_add_co_u32_e32 v85, vcc, s0, v1
	v_addc_co_u32_e32 v86, vcc, v3, v2, vcc
	v_mov_b32_e32 v1, s1
	v_add_co_u32_e32 v87, vcc, s0, v21
	s_ashr_i32 s3, s45, 31
	s_mov_b32 s2, s45
	v_addc_co_u32_e32 v88, vcc, 0, v1, vcc
	s_lshl_b64 s[2:3], s[2:3], 2
	v_mov_b32_e32 v1, s3
	v_add_co_u32_e32 v89, vcc, s2, v87
	v_addc_co_u32_e32 v90, vcc, v88, v1, vcc
	global_load_dword v3, v[89:90], off
	global_load_dword v4, v[53:54], off
	;; [unrolled: 1-line block ×16, first 2 shown]
	global_load_dword v2, v21, s[0:1]
	global_load_dword v19, v[83:84], off
	global_load_dword v20, v[85:86], off
	s_cmpk_lg_i32 s41, 0x84
	v_mov_b32_e32 v1, 0
	s_cselect_b64 s[42:43], -1, 0
	s_cmpk_eq_i32 s41, 0x84
	v_cmp_eq_u32_e64 s[0:1], 0, v0
	s_cbranch_scc1 .LBB18_3
; %bb.2:
	v_cmp_eq_u32_e64 s[2:3], 1, v0
	s_waitcnt vmcnt(2)
	v_cndmask_b32_e64 v22, v2, v3, s[2:3]
	v_cmp_eq_u32_e64 s[4:5], 2, v0
	v_cndmask_b32_e64 v22, v22, v4, s[4:5]
	v_cmp_eq_u32_e64 s[6:7], 3, v0
	;; [unrolled: 2-line block ×16, first 2 shown]
	s_waitcnt vmcnt(1)
	v_cndmask_b32_e64 v22, v22, v19, s[36:37]
	v_cmp_eq_u32_e64 s[38:39], 18, v0
	s_waitcnt vmcnt(0)
	v_cndmask_b32_e64 v22, v22, v20, s[38:39]
	v_div_scale_f32 v23, s[44:45], v22, v22, 1.0
	v_div_scale_f32 v24, vcc, 1.0, v22, 1.0
	v_rcp_f32_e32 v25, v23
	v_fma_f32 v26, -v23, v25, 1.0
	v_fmac_f32_e32 v25, v26, v25
	v_mul_f32_e32 v26, v24, v25
	v_fma_f32 v27, -v23, v26, v24
	v_fmac_f32_e32 v26, v27, v25
	v_fma_f32 v23, -v23, v26, v24
	v_div_fmas_f32 v23, v23, v25, v26
	v_div_fixup_f32 v22, v23, v22, 1.0
	v_cndmask_b32_e64 v20, v20, v22, s[38:39]
	v_cndmask_b32_e64 v19, v19, v22, s[36:37]
	v_cndmask_b32_e64 v18, v18, v22, s[34:35]
	v_cndmask_b32_e64 v17, v17, v22, s[30:31]
	v_cndmask_b32_e64 v16, v16, v22, s[28:29]
	v_cndmask_b32_e64 v15, v15, v22, s[26:27]
	v_cndmask_b32_e64 v14, v14, v22, s[24:25]
	v_cndmask_b32_e64 v13, v13, v22, s[22:23]
	v_cndmask_b32_e64 v12, v12, v22, s[20:21]
	v_cndmask_b32_e64 v11, v11, v22, s[18:19]
	v_cndmask_b32_e64 v10, v10, v22, s[16:17]
	v_cndmask_b32_e64 v9, v9, v22, s[14:15]
	v_cndmask_b32_e64 v8, v8, v22, s[12:13]
	v_cndmask_b32_e64 v7, v7, v22, s[10:11]
	v_cndmask_b32_e64 v6, v6, v22, s[8:9]
	v_cndmask_b32_e64 v5, v5, v22, s[6:7]
	v_cndmask_b32_e64 v4, v4, v22, s[4:5]
	v_cndmask_b32_e64 v3, v3, v22, s[2:3]
	v_cndmask_b32_e64 v2, v2, v22, s[0:1]
	v_xor_b32_e32 v22, 0x80000000, v22
.LBB18_3:
	s_cmpk_eq_i32 s40, 0x79
	v_add_u32_e32 v91, 0x50, v21
	ds_write_b32 v21, v22
	s_cbranch_scc1 .LBB18_7
; %bb.4:
	s_waitcnt vmcnt(0)
	v_mov_b32_e32 v52, v33
	v_mov_b32_e32 v51, v32
	;; [unrolled: 1-line block ×32, first 2 shown]
	v_cmp_eq_u32_e64 s[2:3], 18, v0
	ds_write_b32 v91, v19
	s_waitcnt lgkmcnt(0)
	; wave barrier
	s_and_saveexec_b64 s[0:1], s[2:3]
	s_cbranch_execz .LBB18_11
; %bb.5:
	s_and_b64 vcc, exec, s[42:43]
	s_cbranch_vccz .LBB18_8
; %bb.6:
	v_cmp_eq_u32_e32 vcc, 1, v0
	v_cndmask_b32_e32 v21, v2, v3, vcc
	v_cmp_eq_u32_e32 vcc, 2, v0
	v_cndmask_b32_e32 v21, v21, v4, vcc
	;; [unrolled: 2-line block ×14, first 2 shown]
	v_cmp_eq_u32_e32 vcc, 15, v0
	ds_read_b32 v22, v91
	v_cndmask_b32_e32 v21, v21, v17, vcc
	v_cmp_eq_u32_e32 vcc, 16, v0
	v_cndmask_b32_e32 v21, v21, v18, vcc
	v_cmp_eq_u32_e32 vcc, 17, v0
	;; [unrolled: 2-line block ×3, first 2 shown]
	v_cndmask_b32_e32 v21, v21, v20, vcc
	s_waitcnt lgkmcnt(0)
	v_mul_f32_e32 v25, v21, v22
	s_cbranch_execz .LBB18_9
	s_branch .LBB18_10
.LBB18_7:
                                        ; implicit-def: $vgpr21_vgpr22_vgpr23_vgpr24_vgpr25_vgpr26_vgpr27_vgpr28_vgpr29_vgpr30_vgpr31_vgpr32_vgpr33_vgpr34_vgpr35_vgpr36_vgpr37_vgpr38_vgpr39_vgpr40_vgpr41_vgpr42_vgpr43_vgpr44_vgpr45_vgpr46_vgpr47_vgpr48_vgpr49_vgpr50_vgpr51_vgpr52
	s_cbranch_execnz .LBB18_274
	s_branch .LBB18_457
.LBB18_8:
                                        ; implicit-def: $vgpr25
.LBB18_9:
	ds_read_b32 v25, v91
.LBB18_10:
	v_mov_b32_e32 v21, 0
	ds_read_b32 v26, v21 offset:68
	v_mov_b32_e32 v21, v2
	v_mov_b32_e32 v22, v3
	;; [unrolled: 1-line block ×4, first 2 shown]
	s_waitcnt lgkmcnt(0)
	v_mul_f32_e32 v38, v25, v26
	v_mov_b32_e32 v25, v6
	v_mov_b32_e32 v26, v7
	;; [unrolled: 1-line block ×14, first 2 shown]
.LBB18_11:
	s_or_b64 exec, exec, s[0:1]
	v_cmp_lt_u32_e64 s[0:1], 16, v0
	ds_write_b32 v91, v37
	s_waitcnt lgkmcnt(0)
	; wave barrier
	s_and_saveexec_b64 s[4:5], s[0:1]
	s_cbranch_execz .LBB18_17
; %bb.12:
	s_andn2_b64 vcc, exec, s[42:43]
	s_cbranch_vccnz .LBB18_14
; %bb.13:
	v_cmp_eq_u32_e32 vcc, 1, v0
	v_cndmask_b32_e32 v40, v21, v22, vcc
	v_cmp_eq_u32_e32 vcc, 2, v0
	v_cndmask_b32_e32 v40, v40, v23, vcc
	;; [unrolled: 2-line block ×16, first 2 shown]
	ds_read_b32 v40, v91
	v_cmp_eq_u32_e32 vcc, 17, v0
	v_cndmask_b32_e32 v37, v37, v38, vcc
	v_cmp_eq_u32_e32 vcc, 18, v0
	v_cndmask_b32_e32 v37, v37, v39, vcc
	s_waitcnt lgkmcnt(0)
	v_mul_f32_e32 v37, v37, v40
	s_cbranch_execz .LBB18_15
	s_branch .LBB18_16
.LBB18_14:
                                        ; implicit-def: $vgpr37
.LBB18_15:
	ds_read_b32 v37, v91
.LBB18_16:
	v_mov_b32_e32 v40, 0
	ds_read2_b32 v[40:41], v40 offset0:16 offset1:37
	s_waitcnt lgkmcnt(0)
	v_fma_f32 v41, v38, v41, v37
	v_cndmask_b32_e64 v37, v37, v41, s[2:3]
	v_mul_f32_e32 v37, v37, v40
.LBB18_17:
	s_or_b64 exec, exec, s[4:5]
	v_cmp_lt_u32_e64 s[2:3], 15, v0
	ds_write_b32 v91, v36
	s_waitcnt lgkmcnt(0)
	; wave barrier
	s_and_saveexec_b64 s[4:5], s[2:3]
	s_cbranch_execz .LBB18_33
; %bb.18:
	s_andn2_b64 vcc, exec, s[42:43]
	s_cbranch_vccnz .LBB18_20
; %bb.19:
	v_cmp_eq_u32_e32 vcc, 1, v0
	v_cndmask_b32_e32 v92, v21, v22, vcc
	v_cmp_eq_u32_e32 vcc, 2, v0
	v_cndmask_b32_e32 v92, v92, v23, vcc
	;; [unrolled: 2-line block ×14, first 2 shown]
	v_cmp_eq_u32_e32 vcc, 15, v0
	ds_read_b32 v93, v91
	v_cndmask_b32_e32 v92, v92, v36, vcc
	v_cmp_eq_u32_e32 vcc, 16, v0
	v_cndmask_b32_e32 v92, v92, v37, vcc
	v_cmp_eq_u32_e32 vcc, 17, v0
	;; [unrolled: 2-line block ×3, first 2 shown]
	v_cndmask_b32_e32 v92, v92, v39, vcc
	s_waitcnt lgkmcnt(0)
	v_mul_f32_e32 v92, v92, v93
	s_cbranch_execz .LBB18_21
	s_branch .LBB18_22
.LBB18_20:
                                        ; implicit-def: $vgpr92
.LBB18_21:
	ds_read_b32 v92, v91
.LBB18_22:
	s_and_saveexec_b64 s[6:7], s[0:1]
	s_cbranch_execz .LBB18_32
; %bb.23:
	v_subrev_u32_e32 v93, 17, v0
	v_cmp_lt_u32_e32 vcc, 6, v93
	v_mov_b32_e32 v93, 16
	s_and_saveexec_b64 s[0:1], vcc
	s_cbranch_execz .LBB18_27
; %bb.24:
	v_and_b32_e32 v93, 24, v0
	v_sub_u32_e32 v94, 0, v93
	s_mov_b64 s[8:9], 23
	s_movk_i32 s12, 0x90
	s_mov_b64 s[10:11], 0
.LBB18_25:                              ; =>This Inner Loop Header: Depth=1
	s_add_i32 s13, s8, -7
	v_mov_b32_e32 v93, s12
	s_add_i32 s14, s8, -6
	s_set_gpr_idx_on s13, gpr_idx(SRC0)
	v_mov_b32_e32 v103, v21
	s_set_gpr_idx_off
	s_add_i32 s15, s8, -5
	ds_read_b128 v[95:98], v93
	ds_read_b128 v[99:102], v93 offset:16
	s_set_gpr_idx_on s14, gpr_idx(SRC0)
	v_mov_b32_e32 v93, v21
	s_set_gpr_idx_off
	s_add_i32 s16, s8, -4
	s_set_gpr_idx_on s15, gpr_idx(SRC0)
	v_mov_b32_e32 v104, v21
	s_set_gpr_idx_off
	s_add_i32 s17, s8, -3
	;; [unrolled: 4-line block ×4, first 2 shown]
	s_waitcnt lgkmcnt(1)
	v_fmac_f32_e32 v92, v103, v95
	s_set_gpr_idx_on s18, gpr_idx(SRC0)
	v_mov_b32_e32 v95, v21
	s_set_gpr_idx_off
	v_fmac_f32_e32 v92, v93, v96
	s_set_gpr_idx_on s19, gpr_idx(SRC0)
	v_mov_b32_e32 v96, v21
	s_set_gpr_idx_off
	;; [unrolled: 4-line block ×3, first 2 shown]
	v_fmac_f32_e32 v92, v105, v98
	s_add_u32 s8, s8, 8
	s_waitcnt lgkmcnt(0)
	v_fmac_f32_e32 v92, v106, v99
	v_add_u32_e32 v93, s8, v94
	v_fmac_f32_e32 v92, v95, v100
	s_addc_u32 s9, s9, 0
	s_add_i32 s12, s12, 32
	s_add_i32 s13, s8, -7
	v_cmp_eq_u32_e32 vcc, 7, v93
	v_fmac_f32_e32 v92, v96, v101
	v_mov_b32_e32 v93, s13
	s_or_b64 s[10:11], vcc, s[10:11]
	v_fmac_f32_e32 v92, v97, v102
	s_andn2_b64 exec, exec, s[10:11]
	s_cbranch_execnz .LBB18_25
; %bb.26:
	s_or_b64 exec, exec, s[10:11]
.LBB18_27:
	s_or_b64 exec, exec, s[0:1]
	v_and_b32_e32 v40, 7, v0
	v_cmp_ne_u32_e32 vcc, 0, v40
	s_and_saveexec_b64 s[8:9], vcc
	s_cbranch_execz .LBB18_31
; %bb.28:
	v_mov_b32_e32 v41, 0x50
	v_lshl_add_u32 v41, v93, 2, v41
	v_mov_b32_e32 v42, 0
	s_mov_b64 s[10:11], 0
.LBB18_29:                              ; =>This Inner Loop Header: Depth=1
	v_cmp_eq_u32_e32 vcc, 1, v93
	v_cndmask_b32_e32 v43, v21, v22, vcc
	v_add_u32_e32 v40, -1, v40
	v_cmp_eq_u32_e32 vcc, 2, v93
	v_cndmask_b32_e32 v43, v43, v23, vcc
	v_cmp_eq_u32_e32 vcc, 0, v40
	v_cmp_eq_u32_e64 s[0:1], 3, v93
	v_cndmask_b32_e64 v43, v43, v24, s[0:1]
	s_or_b64 s[10:11], vcc, s[10:11]
	v_cmp_eq_u32_e32 vcc, 4, v93
	v_cndmask_b32_e32 v43, v43, v25, vcc
	v_cmp_eq_u32_e32 vcc, 5, v93
	v_cndmask_b32_e32 v43, v43, v26, vcc
	;; [unrolled: 2-line block ×10, first 2 shown]
	v_cmp_eq_u32_e32 vcc, 14, v93
	ds_read_b32 v44, v41
	v_cndmask_b32_e32 v43, v43, v35, vcc
	v_cmp_eq_u32_e32 vcc, 15, v93
	v_cndmask_b32_e32 v43, v43, v36, vcc
	v_cmp_eq_u32_e32 vcc, 16, v93
	;; [unrolled: 2-line block ×4, first 2 shown]
	v_add_co_u32_e64 v93, s[0:1], 1, v93
	v_cndmask_b32_e32 v43, v43, v39, vcc
	v_add_u32_e32 v41, 4, v41
	v_addc_co_u32_e64 v42, s[0:1], 0, v42, s[0:1]
	s_waitcnt lgkmcnt(0)
	v_fmac_f32_e32 v92, v43, v44
	s_andn2_b64 exec, exec, s[10:11]
	s_cbranch_execnz .LBB18_29
; %bb.30:
	s_or_b64 exec, exec, s[10:11]
.LBB18_31:
	s_or_b64 exec, exec, s[8:9]
.LBB18_32:
	s_or_b64 exec, exec, s[6:7]
	v_mov_b32_e32 v36, 0
	ds_read_b32 v36, v36 offset:60
	s_waitcnt lgkmcnt(0)
	v_mul_f32_e32 v36, v92, v36
.LBB18_33:
	s_or_b64 exec, exec, s[4:5]
	v_cmp_lt_u32_e64 s[0:1], 14, v0
	ds_write_b32 v91, v35
	s_waitcnt lgkmcnt(0)
	; wave barrier
	s_and_saveexec_b64 s[4:5], s[0:1]
	s_cbranch_execz .LBB18_49
; %bb.34:
	s_andn2_b64 vcc, exec, s[42:43]
	s_cbranch_vccnz .LBB18_36
; %bb.35:
	v_cmp_eq_u32_e32 vcc, 1, v0
	v_cndmask_b32_e32 v92, v21, v22, vcc
	v_cmp_eq_u32_e32 vcc, 2, v0
	v_cndmask_b32_e32 v92, v92, v23, vcc
	;; [unrolled: 2-line block ×14, first 2 shown]
	v_cmp_eq_u32_e32 vcc, 15, v0
	ds_read_b32 v93, v91
	v_cndmask_b32_e32 v92, v92, v36, vcc
	v_cmp_eq_u32_e32 vcc, 16, v0
	v_cndmask_b32_e32 v92, v92, v37, vcc
	v_cmp_eq_u32_e32 vcc, 17, v0
	;; [unrolled: 2-line block ×3, first 2 shown]
	v_cndmask_b32_e32 v92, v92, v39, vcc
	s_waitcnt lgkmcnt(0)
	v_mul_f32_e32 v92, v92, v93
	s_cbranch_execz .LBB18_37
	s_branch .LBB18_38
.LBB18_36:
                                        ; implicit-def: $vgpr92
.LBB18_37:
	ds_read_b32 v92, v91
.LBB18_38:
	s_and_saveexec_b64 s[6:7], s[2:3]
	s_cbranch_execz .LBB18_48
; %bb.39:
	v_add_u32_e32 v93, -16, v0
	v_add_u32_e32 v94, -15, v0
	v_cmp_lt_u32_e32 vcc, 6, v93
	v_mov_b32_e32 v93, 15
	s_and_saveexec_b64 s[2:3], vcc
	s_cbranch_execz .LBB18_43
; %bb.40:
	v_and_b32_e32 v93, -8, v94
	v_sub_u32_e32 v95, 0, v93
	s_mov_b64 s[8:9], 22
	s_movk_i32 s12, 0x8c
	s_mov_b64 s[10:11], 0
.LBB18_41:                              ; =>This Inner Loop Header: Depth=1
	s_add_i32 s13, s8, -7
	v_mov_b32_e32 v93, s12
	s_add_i32 s14, s8, -6
	s_set_gpr_idx_on s13, gpr_idx(SRC0)
	v_mov_b32_e32 v102, v21
	s_set_gpr_idx_off
	ds_read2_b32 v[96:97], v93 offset1:1
	s_add_i32 s15, s8, -5
	s_set_gpr_idx_on s14, gpr_idx(SRC0)
	v_mov_b32_e32 v103, v21
	s_set_gpr_idx_off
	s_add_i32 s16, s8, -4
	s_set_gpr_idx_on s15, gpr_idx(SRC0)
	v_mov_b32_e32 v104, v21
	s_set_gpr_idx_off
	ds_read2_b32 v[98:99], v93 offset0:2 offset1:3
	s_add_i32 s17, s8, -3
	s_set_gpr_idx_on s16, gpr_idx(SRC0)
	v_mov_b32_e32 v105, v21
	s_set_gpr_idx_off
	s_add_i32 s18, s8, -2
	s_set_gpr_idx_on s17, gpr_idx(SRC0)
	v_mov_b32_e32 v106, v21
	s_set_gpr_idx_off
	ds_read2_b32 v[100:101], v93 offset0:4 offset1:5
	s_add_i32 s19, s8, -1
	s_waitcnt lgkmcnt(2)
	v_fmac_f32_e32 v92, v102, v96
	s_set_gpr_idx_on s18, gpr_idx(SRC0)
	v_mov_b32_e32 v102, v21
	s_set_gpr_idx_off
	v_fmac_f32_e32 v92, v103, v97
	s_set_gpr_idx_on s19, gpr_idx(SRC0)
	v_mov_b32_e32 v103, v21
	s_set_gpr_idx_off
	ds_read2_b32 v[96:97], v93 offset0:6 offset1:7
	s_waitcnt lgkmcnt(2)
	v_fmac_f32_e32 v92, v104, v98
	s_set_gpr_idx_on s8, gpr_idx(SRC0)
	v_mov_b32_e32 v98, v21
	s_set_gpr_idx_off
	v_fmac_f32_e32 v92, v105, v99
	s_add_u32 s8, s8, 8
	s_waitcnt lgkmcnt(1)
	v_fmac_f32_e32 v92, v106, v100
	v_add_u32_e32 v93, s8, v95
	v_fmac_f32_e32 v92, v102, v101
	s_addc_u32 s9, s9, 0
	s_add_i32 s12, s12, 32
	s_add_i32 s13, s8, -7
	v_cmp_eq_u32_e32 vcc, 22, v93
	s_waitcnt lgkmcnt(0)
	v_fmac_f32_e32 v92, v103, v96
	v_mov_b32_e32 v93, s13
	s_or_b64 s[10:11], vcc, s[10:11]
	v_fmac_f32_e32 v92, v98, v97
	s_andn2_b64 exec, exec, s[10:11]
	s_cbranch_execnz .LBB18_41
; %bb.42:
	s_or_b64 exec, exec, s[10:11]
.LBB18_43:
	s_or_b64 exec, exec, s[2:3]
	v_and_b32_e32 v40, 7, v94
	v_cmp_ne_u32_e32 vcc, 0, v40
	s_and_saveexec_b64 s[8:9], vcc
	s_cbranch_execz .LBB18_47
; %bb.44:
	v_mov_b32_e32 v41, 0x50
	v_lshl_add_u32 v41, v93, 2, v41
	v_mov_b32_e32 v42, 0
	s_mov_b64 s[10:11], 0
.LBB18_45:                              ; =>This Inner Loop Header: Depth=1
	v_cmp_eq_u32_e32 vcc, 1, v93
	v_cndmask_b32_e32 v43, v21, v22, vcc
	v_add_u32_e32 v40, -1, v40
	v_cmp_eq_u32_e32 vcc, 2, v93
	v_cndmask_b32_e32 v43, v43, v23, vcc
	v_cmp_eq_u32_e32 vcc, 0, v40
	v_cmp_eq_u32_e64 s[2:3], 3, v93
	v_cndmask_b32_e64 v43, v43, v24, s[2:3]
	s_or_b64 s[10:11], vcc, s[10:11]
	v_cmp_eq_u32_e32 vcc, 4, v93
	v_cndmask_b32_e32 v43, v43, v25, vcc
	v_cmp_eq_u32_e32 vcc, 5, v93
	v_cndmask_b32_e32 v43, v43, v26, vcc
	;; [unrolled: 2-line block ×10, first 2 shown]
	v_cmp_eq_u32_e32 vcc, 14, v93
	ds_read_b32 v44, v41
	v_cndmask_b32_e32 v43, v43, v35, vcc
	v_cmp_eq_u32_e32 vcc, 15, v93
	v_cndmask_b32_e32 v43, v43, v36, vcc
	v_cmp_eq_u32_e32 vcc, 16, v93
	;; [unrolled: 2-line block ×4, first 2 shown]
	v_add_co_u32_e64 v93, s[2:3], 1, v93
	v_cndmask_b32_e32 v43, v43, v39, vcc
	v_add_u32_e32 v41, 4, v41
	v_addc_co_u32_e64 v42, s[2:3], 0, v42, s[2:3]
	s_waitcnt lgkmcnt(0)
	v_fmac_f32_e32 v92, v43, v44
	s_andn2_b64 exec, exec, s[10:11]
	s_cbranch_execnz .LBB18_45
; %bb.46:
	s_or_b64 exec, exec, s[10:11]
.LBB18_47:
	s_or_b64 exec, exec, s[8:9]
.LBB18_48:
	s_or_b64 exec, exec, s[6:7]
	v_mov_b32_e32 v35, 0
	ds_read_b32 v35, v35 offset:56
	s_waitcnt lgkmcnt(0)
	v_mul_f32_e32 v35, v92, v35
.LBB18_49:
	s_or_b64 exec, exec, s[4:5]
	v_cmp_lt_u32_e64 s[2:3], 13, v0
	ds_write_b32 v91, v34
	s_waitcnt lgkmcnt(0)
	; wave barrier
	s_and_saveexec_b64 s[4:5], s[2:3]
	s_cbranch_execz .LBB18_65
; %bb.50:
	s_andn2_b64 vcc, exec, s[42:43]
	s_cbranch_vccnz .LBB18_52
; %bb.51:
	v_cmp_eq_u32_e32 vcc, 1, v0
	v_cndmask_b32_e32 v92, v21, v22, vcc
	v_cmp_eq_u32_e32 vcc, 2, v0
	v_cndmask_b32_e32 v92, v92, v23, vcc
	;; [unrolled: 2-line block ×14, first 2 shown]
	v_cmp_eq_u32_e32 vcc, 15, v0
	ds_read_b32 v93, v91
	v_cndmask_b32_e32 v92, v92, v36, vcc
	v_cmp_eq_u32_e32 vcc, 16, v0
	v_cndmask_b32_e32 v92, v92, v37, vcc
	v_cmp_eq_u32_e32 vcc, 17, v0
	;; [unrolled: 2-line block ×3, first 2 shown]
	v_cndmask_b32_e32 v92, v92, v39, vcc
	s_waitcnt lgkmcnt(0)
	v_mul_f32_e32 v92, v92, v93
	s_cbranch_execz .LBB18_53
	s_branch .LBB18_54
.LBB18_52:
                                        ; implicit-def: $vgpr92
.LBB18_53:
	ds_read_b32 v92, v91
.LBB18_54:
	s_and_saveexec_b64 s[6:7], s[0:1]
	s_cbranch_execz .LBB18_64
; %bb.55:
	v_add_u32_e32 v93, -15, v0
	v_add_u32_e32 v94, -14, v0
	v_cmp_lt_u32_e32 vcc, 6, v93
	v_mov_b32_e32 v93, 14
	s_and_saveexec_b64 s[0:1], vcc
	s_cbranch_execz .LBB18_59
; %bb.56:
	v_and_b32_e32 v93, -8, v94
	v_sub_u32_e32 v95, 0, v93
	s_mov_b64 s[8:9], 21
	s_movk_i32 s12, 0x88
	s_mov_b64 s[10:11], 0
.LBB18_57:                              ; =>This Inner Loop Header: Depth=1
	s_add_i32 s13, s8, -7
	v_mov_b32_e32 v93, s12
	s_add_i32 s14, s8, -6
	s_set_gpr_idx_on s13, gpr_idx(SRC0)
	v_mov_b32_e32 v104, v21
	s_set_gpr_idx_off
	ds_read2_b64 v[96:99], v93 offset1:1
	s_add_i32 s15, s8, -5
	s_set_gpr_idx_on s14, gpr_idx(SRC0)
	v_mov_b32_e32 v105, v21
	s_set_gpr_idx_off
	s_add_i32 s16, s8, -4
	s_set_gpr_idx_on s15, gpr_idx(SRC0)
	v_mov_b32_e32 v106, v21
	s_set_gpr_idx_off
	;; [unrolled: 4-line block ×4, first 2 shown]
	ds_read2_b64 v[100:103], v93 offset0:2 offset1:3
	s_add_i32 s19, s8, -1
	s_waitcnt lgkmcnt(1)
	v_fmac_f32_e32 v92, v104, v96
	s_set_gpr_idx_on s18, gpr_idx(SRC0)
	v_mov_b32_e32 v96, v21
	s_set_gpr_idx_off
	v_fmac_f32_e32 v92, v105, v97
	s_set_gpr_idx_on s19, gpr_idx(SRC0)
	v_mov_b32_e32 v97, v21
	s_set_gpr_idx_off
	;; [unrolled: 4-line block ×3, first 2 shown]
	v_fmac_f32_e32 v92, v107, v99
	s_add_u32 s8, s8, 8
	s_waitcnt lgkmcnt(0)
	v_fmac_f32_e32 v92, v108, v100
	v_add_u32_e32 v93, s8, v95
	v_fmac_f32_e32 v92, v96, v101
	s_addc_u32 s9, s9, 0
	s_add_i32 s12, s12, 32
	s_add_i32 s13, s8, -7
	v_cmp_eq_u32_e32 vcc, 21, v93
	v_fmac_f32_e32 v92, v97, v102
	v_mov_b32_e32 v93, s13
	s_or_b64 s[10:11], vcc, s[10:11]
	v_fmac_f32_e32 v92, v98, v103
	s_andn2_b64 exec, exec, s[10:11]
	s_cbranch_execnz .LBB18_57
; %bb.58:
	s_or_b64 exec, exec, s[10:11]
.LBB18_59:
	s_or_b64 exec, exec, s[0:1]
	v_and_b32_e32 v40, 7, v94
	v_cmp_ne_u32_e32 vcc, 0, v40
	s_and_saveexec_b64 s[8:9], vcc
	s_cbranch_execz .LBB18_63
; %bb.60:
	v_mov_b32_e32 v41, 0x50
	v_lshl_add_u32 v41, v93, 2, v41
	v_mov_b32_e32 v42, 0
	s_mov_b64 s[10:11], 0
.LBB18_61:                              ; =>This Inner Loop Header: Depth=1
	v_cmp_eq_u32_e32 vcc, 1, v93
	v_cndmask_b32_e32 v43, v21, v22, vcc
	v_add_u32_e32 v40, -1, v40
	v_cmp_eq_u32_e32 vcc, 2, v93
	v_cndmask_b32_e32 v43, v43, v23, vcc
	v_cmp_eq_u32_e32 vcc, 0, v40
	v_cmp_eq_u32_e64 s[0:1], 3, v93
	v_cndmask_b32_e64 v43, v43, v24, s[0:1]
	s_or_b64 s[10:11], vcc, s[10:11]
	v_cmp_eq_u32_e32 vcc, 4, v93
	v_cndmask_b32_e32 v43, v43, v25, vcc
	v_cmp_eq_u32_e32 vcc, 5, v93
	v_cndmask_b32_e32 v43, v43, v26, vcc
	;; [unrolled: 2-line block ×10, first 2 shown]
	v_cmp_eq_u32_e32 vcc, 14, v93
	ds_read_b32 v44, v41
	v_cndmask_b32_e32 v43, v43, v35, vcc
	v_cmp_eq_u32_e32 vcc, 15, v93
	v_cndmask_b32_e32 v43, v43, v36, vcc
	v_cmp_eq_u32_e32 vcc, 16, v93
	;; [unrolled: 2-line block ×4, first 2 shown]
	v_add_co_u32_e64 v93, s[0:1], 1, v93
	v_cndmask_b32_e32 v43, v43, v39, vcc
	v_add_u32_e32 v41, 4, v41
	v_addc_co_u32_e64 v42, s[0:1], 0, v42, s[0:1]
	s_waitcnt lgkmcnt(0)
	v_fmac_f32_e32 v92, v43, v44
	s_andn2_b64 exec, exec, s[10:11]
	s_cbranch_execnz .LBB18_61
; %bb.62:
	s_or_b64 exec, exec, s[10:11]
.LBB18_63:
	s_or_b64 exec, exec, s[8:9]
.LBB18_64:
	s_or_b64 exec, exec, s[6:7]
	v_mov_b32_e32 v34, 0
	ds_read_b32 v34, v34 offset:52
	s_waitcnt lgkmcnt(0)
	v_mul_f32_e32 v34, v92, v34
.LBB18_65:
	s_or_b64 exec, exec, s[4:5]
	v_cmp_lt_u32_e64 s[0:1], 12, v0
	ds_write_b32 v91, v33
	s_waitcnt lgkmcnt(0)
	; wave barrier
	s_and_saveexec_b64 s[4:5], s[0:1]
	s_cbranch_execz .LBB18_81
; %bb.66:
	s_andn2_b64 vcc, exec, s[42:43]
	s_cbranch_vccnz .LBB18_68
; %bb.67:
	v_cmp_eq_u32_e32 vcc, 1, v0
	v_cndmask_b32_e32 v92, v21, v22, vcc
	v_cmp_eq_u32_e32 vcc, 2, v0
	v_cndmask_b32_e32 v92, v92, v23, vcc
	;; [unrolled: 2-line block ×14, first 2 shown]
	v_cmp_eq_u32_e32 vcc, 15, v0
	ds_read_b32 v93, v91
	v_cndmask_b32_e32 v92, v92, v36, vcc
	v_cmp_eq_u32_e32 vcc, 16, v0
	v_cndmask_b32_e32 v92, v92, v37, vcc
	v_cmp_eq_u32_e32 vcc, 17, v0
	v_cndmask_b32_e32 v92, v92, v38, vcc
	v_cmp_eq_u32_e32 vcc, 18, v0
	v_cndmask_b32_e32 v92, v92, v39, vcc
	s_waitcnt lgkmcnt(0)
	v_mul_f32_e32 v92, v92, v93
	s_cbranch_execz .LBB18_69
	s_branch .LBB18_70
.LBB18_68:
                                        ; implicit-def: $vgpr92
.LBB18_69:
	ds_read_b32 v92, v91
.LBB18_70:
	s_and_saveexec_b64 s[6:7], s[2:3]
	s_cbranch_execz .LBB18_80
; %bb.71:
	v_add_u32_e32 v93, -14, v0
	v_add_u32_e32 v94, -13, v0
	v_cmp_lt_u32_e32 vcc, 6, v93
	v_mov_b32_e32 v93, 13
	s_and_saveexec_b64 s[2:3], vcc
	s_cbranch_execz .LBB18_75
; %bb.72:
	v_and_b32_e32 v93, -8, v94
	v_sub_u32_e32 v95, 0, v93
	s_mov_b64 s[8:9], 20
	s_movk_i32 s12, 0x84
	s_mov_b64 s[10:11], 0
.LBB18_73:                              ; =>This Inner Loop Header: Depth=1
	s_add_i32 s13, s8, -7
	v_mov_b32_e32 v93, s12
	s_add_i32 s14, s8, -6
	s_set_gpr_idx_on s13, gpr_idx(SRC0)
	v_mov_b32_e32 v102, v21
	s_set_gpr_idx_off
	ds_read2_b32 v[96:97], v93 offset1:1
	s_add_i32 s15, s8, -5
	s_set_gpr_idx_on s14, gpr_idx(SRC0)
	v_mov_b32_e32 v103, v21
	s_set_gpr_idx_off
	s_add_i32 s16, s8, -4
	s_set_gpr_idx_on s15, gpr_idx(SRC0)
	v_mov_b32_e32 v104, v21
	s_set_gpr_idx_off
	ds_read2_b32 v[98:99], v93 offset0:2 offset1:3
	s_add_i32 s17, s8, -3
	s_set_gpr_idx_on s16, gpr_idx(SRC0)
	v_mov_b32_e32 v105, v21
	s_set_gpr_idx_off
	s_add_i32 s18, s8, -2
	s_set_gpr_idx_on s17, gpr_idx(SRC0)
	v_mov_b32_e32 v106, v21
	s_set_gpr_idx_off
	ds_read2_b32 v[100:101], v93 offset0:4 offset1:5
	s_add_i32 s19, s8, -1
	s_waitcnt lgkmcnt(2)
	v_fmac_f32_e32 v92, v102, v96
	s_set_gpr_idx_on s18, gpr_idx(SRC0)
	v_mov_b32_e32 v102, v21
	s_set_gpr_idx_off
	v_fmac_f32_e32 v92, v103, v97
	s_set_gpr_idx_on s19, gpr_idx(SRC0)
	v_mov_b32_e32 v103, v21
	s_set_gpr_idx_off
	ds_read2_b32 v[96:97], v93 offset0:6 offset1:7
	s_waitcnt lgkmcnt(2)
	v_fmac_f32_e32 v92, v104, v98
	s_set_gpr_idx_on s8, gpr_idx(SRC0)
	v_mov_b32_e32 v98, v21
	s_set_gpr_idx_off
	v_fmac_f32_e32 v92, v105, v99
	s_add_u32 s8, s8, 8
	s_waitcnt lgkmcnt(1)
	v_fmac_f32_e32 v92, v106, v100
	v_add_u32_e32 v93, s8, v95
	v_fmac_f32_e32 v92, v102, v101
	s_addc_u32 s9, s9, 0
	s_add_i32 s12, s12, 32
	s_add_i32 s13, s8, -7
	v_cmp_eq_u32_e32 vcc, 20, v93
	s_waitcnt lgkmcnt(0)
	v_fmac_f32_e32 v92, v103, v96
	v_mov_b32_e32 v93, s13
	s_or_b64 s[10:11], vcc, s[10:11]
	v_fmac_f32_e32 v92, v98, v97
	s_andn2_b64 exec, exec, s[10:11]
	s_cbranch_execnz .LBB18_73
; %bb.74:
	s_or_b64 exec, exec, s[10:11]
.LBB18_75:
	s_or_b64 exec, exec, s[2:3]
	v_and_b32_e32 v40, 7, v94
	v_cmp_ne_u32_e32 vcc, 0, v40
	s_and_saveexec_b64 s[8:9], vcc
	s_cbranch_execz .LBB18_79
; %bb.76:
	v_mov_b32_e32 v41, 0x50
	v_lshl_add_u32 v41, v93, 2, v41
	v_mov_b32_e32 v42, 0
	s_mov_b64 s[10:11], 0
.LBB18_77:                              ; =>This Inner Loop Header: Depth=1
	v_cmp_eq_u32_e32 vcc, 1, v93
	v_cndmask_b32_e32 v43, v21, v22, vcc
	v_add_u32_e32 v40, -1, v40
	v_cmp_eq_u32_e32 vcc, 2, v93
	v_cndmask_b32_e32 v43, v43, v23, vcc
	v_cmp_eq_u32_e32 vcc, 0, v40
	v_cmp_eq_u32_e64 s[2:3], 3, v93
	v_cndmask_b32_e64 v43, v43, v24, s[2:3]
	s_or_b64 s[10:11], vcc, s[10:11]
	v_cmp_eq_u32_e32 vcc, 4, v93
	v_cndmask_b32_e32 v43, v43, v25, vcc
	v_cmp_eq_u32_e32 vcc, 5, v93
	v_cndmask_b32_e32 v43, v43, v26, vcc
	;; [unrolled: 2-line block ×10, first 2 shown]
	v_cmp_eq_u32_e32 vcc, 14, v93
	ds_read_b32 v44, v41
	v_cndmask_b32_e32 v43, v43, v35, vcc
	v_cmp_eq_u32_e32 vcc, 15, v93
	v_cndmask_b32_e32 v43, v43, v36, vcc
	v_cmp_eq_u32_e32 vcc, 16, v93
	v_cndmask_b32_e32 v43, v43, v37, vcc
	v_cmp_eq_u32_e32 vcc, 17, v93
	v_cndmask_b32_e32 v43, v43, v38, vcc
	v_cmp_eq_u32_e32 vcc, 18, v93
	v_add_co_u32_e64 v93, s[2:3], 1, v93
	v_cndmask_b32_e32 v43, v43, v39, vcc
	v_add_u32_e32 v41, 4, v41
	v_addc_co_u32_e64 v42, s[2:3], 0, v42, s[2:3]
	s_waitcnt lgkmcnt(0)
	v_fmac_f32_e32 v92, v43, v44
	s_andn2_b64 exec, exec, s[10:11]
	s_cbranch_execnz .LBB18_77
; %bb.78:
	s_or_b64 exec, exec, s[10:11]
.LBB18_79:
	s_or_b64 exec, exec, s[8:9]
.LBB18_80:
	s_or_b64 exec, exec, s[6:7]
	v_mov_b32_e32 v33, 0
	ds_read_b32 v33, v33 offset:48
	s_waitcnt lgkmcnt(0)
	v_mul_f32_e32 v33, v92, v33
.LBB18_81:
	s_or_b64 exec, exec, s[4:5]
	v_cmp_lt_u32_e64 s[2:3], 11, v0
	ds_write_b32 v91, v32
	s_waitcnt lgkmcnt(0)
	; wave barrier
	s_and_saveexec_b64 s[4:5], s[2:3]
	s_cbranch_execz .LBB18_97
; %bb.82:
	s_andn2_b64 vcc, exec, s[42:43]
	s_cbranch_vccnz .LBB18_84
; %bb.83:
	v_cmp_eq_u32_e32 vcc, 1, v0
	v_cndmask_b32_e32 v92, v21, v22, vcc
	v_cmp_eq_u32_e32 vcc, 2, v0
	v_cndmask_b32_e32 v92, v92, v23, vcc
	;; [unrolled: 2-line block ×14, first 2 shown]
	v_cmp_eq_u32_e32 vcc, 15, v0
	ds_read_b32 v93, v91
	v_cndmask_b32_e32 v92, v92, v36, vcc
	v_cmp_eq_u32_e32 vcc, 16, v0
	v_cndmask_b32_e32 v92, v92, v37, vcc
	v_cmp_eq_u32_e32 vcc, 17, v0
	;; [unrolled: 2-line block ×3, first 2 shown]
	v_cndmask_b32_e32 v92, v92, v39, vcc
	s_waitcnt lgkmcnt(0)
	v_mul_f32_e32 v92, v92, v93
	s_cbranch_execz .LBB18_85
	s_branch .LBB18_86
.LBB18_84:
                                        ; implicit-def: $vgpr92
.LBB18_85:
	ds_read_b32 v92, v91
.LBB18_86:
	s_and_saveexec_b64 s[6:7], s[0:1]
	s_cbranch_execz .LBB18_96
; %bb.87:
	v_add_u32_e32 v93, -13, v0
	v_add_u32_e32 v94, -12, v0
	v_cmp_lt_u32_e32 vcc, 6, v93
	v_mov_b32_e32 v93, 12
	s_and_saveexec_b64 s[0:1], vcc
	s_cbranch_execz .LBB18_91
; %bb.88:
	v_and_b32_e32 v93, -8, v94
	v_sub_u32_e32 v95, 0, v93
	s_mov_b64 s[8:9], 19
	s_movk_i32 s12, 0x80
	s_mov_b64 s[10:11], 0
.LBB18_89:                              ; =>This Inner Loop Header: Depth=1
	s_add_i32 s13, s8, -7
	v_mov_b32_e32 v93, s12
	s_add_i32 s14, s8, -6
	s_set_gpr_idx_on s13, gpr_idx(SRC0)
	v_mov_b32_e32 v104, v21
	s_set_gpr_idx_off
	s_add_i32 s15, s8, -5
	ds_read_b128 v[96:99], v93
	ds_read_b128 v[100:103], v93 offset:16
	s_set_gpr_idx_on s14, gpr_idx(SRC0)
	v_mov_b32_e32 v93, v21
	s_set_gpr_idx_off
	s_add_i32 s16, s8, -4
	s_set_gpr_idx_on s15, gpr_idx(SRC0)
	v_mov_b32_e32 v105, v21
	s_set_gpr_idx_off
	s_add_i32 s17, s8, -3
	;; [unrolled: 4-line block ×4, first 2 shown]
	s_waitcnt lgkmcnt(1)
	v_fmac_f32_e32 v92, v104, v96
	s_set_gpr_idx_on s18, gpr_idx(SRC0)
	v_mov_b32_e32 v96, v21
	s_set_gpr_idx_off
	v_fmac_f32_e32 v92, v93, v97
	s_set_gpr_idx_on s19, gpr_idx(SRC0)
	v_mov_b32_e32 v97, v21
	s_set_gpr_idx_off
	;; [unrolled: 4-line block ×3, first 2 shown]
	v_fmac_f32_e32 v92, v106, v99
	s_add_u32 s8, s8, 8
	s_waitcnt lgkmcnt(0)
	v_fmac_f32_e32 v92, v107, v100
	v_add_u32_e32 v93, s8, v95
	v_fmac_f32_e32 v92, v96, v101
	s_addc_u32 s9, s9, 0
	s_add_i32 s12, s12, 32
	s_add_i32 s13, s8, -7
	v_cmp_eq_u32_e32 vcc, 19, v93
	v_fmac_f32_e32 v92, v97, v102
	v_mov_b32_e32 v93, s13
	s_or_b64 s[10:11], vcc, s[10:11]
	v_fmac_f32_e32 v92, v98, v103
	s_andn2_b64 exec, exec, s[10:11]
	s_cbranch_execnz .LBB18_89
; %bb.90:
	s_or_b64 exec, exec, s[10:11]
.LBB18_91:
	s_or_b64 exec, exec, s[0:1]
	v_and_b32_e32 v40, 7, v94
	v_cmp_ne_u32_e32 vcc, 0, v40
	s_and_saveexec_b64 s[8:9], vcc
	s_cbranch_execz .LBB18_95
; %bb.92:
	v_mov_b32_e32 v41, 0x50
	v_lshl_add_u32 v41, v93, 2, v41
	v_mov_b32_e32 v42, 0
	s_mov_b64 s[10:11], 0
.LBB18_93:                              ; =>This Inner Loop Header: Depth=1
	v_cmp_eq_u32_e32 vcc, 1, v93
	v_cndmask_b32_e32 v43, v21, v22, vcc
	v_add_u32_e32 v40, -1, v40
	v_cmp_eq_u32_e32 vcc, 2, v93
	v_cndmask_b32_e32 v43, v43, v23, vcc
	v_cmp_eq_u32_e32 vcc, 0, v40
	v_cmp_eq_u32_e64 s[0:1], 3, v93
	v_cndmask_b32_e64 v43, v43, v24, s[0:1]
	s_or_b64 s[10:11], vcc, s[10:11]
	v_cmp_eq_u32_e32 vcc, 4, v93
	v_cndmask_b32_e32 v43, v43, v25, vcc
	v_cmp_eq_u32_e32 vcc, 5, v93
	v_cndmask_b32_e32 v43, v43, v26, vcc
	;; [unrolled: 2-line block ×10, first 2 shown]
	v_cmp_eq_u32_e32 vcc, 14, v93
	ds_read_b32 v44, v41
	v_cndmask_b32_e32 v43, v43, v35, vcc
	v_cmp_eq_u32_e32 vcc, 15, v93
	v_cndmask_b32_e32 v43, v43, v36, vcc
	v_cmp_eq_u32_e32 vcc, 16, v93
	;; [unrolled: 2-line block ×4, first 2 shown]
	v_add_co_u32_e64 v93, s[0:1], 1, v93
	v_cndmask_b32_e32 v43, v43, v39, vcc
	v_add_u32_e32 v41, 4, v41
	v_addc_co_u32_e64 v42, s[0:1], 0, v42, s[0:1]
	s_waitcnt lgkmcnt(0)
	v_fmac_f32_e32 v92, v43, v44
	s_andn2_b64 exec, exec, s[10:11]
	s_cbranch_execnz .LBB18_93
; %bb.94:
	s_or_b64 exec, exec, s[10:11]
.LBB18_95:
	s_or_b64 exec, exec, s[8:9]
.LBB18_96:
	s_or_b64 exec, exec, s[6:7]
	v_mov_b32_e32 v32, 0
	ds_read_b32 v32, v32 offset:44
	s_waitcnt lgkmcnt(0)
	v_mul_f32_e32 v32, v92, v32
.LBB18_97:
	s_or_b64 exec, exec, s[4:5]
	v_cmp_lt_u32_e64 s[0:1], 10, v0
	ds_write_b32 v91, v31
	s_waitcnt lgkmcnt(0)
	; wave barrier
	s_and_saveexec_b64 s[4:5], s[0:1]
	s_cbranch_execz .LBB18_113
; %bb.98:
	s_andn2_b64 vcc, exec, s[42:43]
	s_cbranch_vccnz .LBB18_100
; %bb.99:
	v_cmp_eq_u32_e32 vcc, 1, v0
	v_cndmask_b32_e32 v92, v21, v22, vcc
	v_cmp_eq_u32_e32 vcc, 2, v0
	v_cndmask_b32_e32 v92, v92, v23, vcc
	;; [unrolled: 2-line block ×14, first 2 shown]
	v_cmp_eq_u32_e32 vcc, 15, v0
	ds_read_b32 v93, v91
	v_cndmask_b32_e32 v92, v92, v36, vcc
	v_cmp_eq_u32_e32 vcc, 16, v0
	v_cndmask_b32_e32 v92, v92, v37, vcc
	v_cmp_eq_u32_e32 vcc, 17, v0
	;; [unrolled: 2-line block ×3, first 2 shown]
	v_cndmask_b32_e32 v92, v92, v39, vcc
	s_waitcnt lgkmcnt(0)
	v_mul_f32_e32 v92, v92, v93
	s_cbranch_execz .LBB18_101
	s_branch .LBB18_102
.LBB18_100:
                                        ; implicit-def: $vgpr92
.LBB18_101:
	ds_read_b32 v92, v91
.LBB18_102:
	s_and_saveexec_b64 s[6:7], s[2:3]
	s_cbranch_execz .LBB18_112
; %bb.103:
	v_add_u32_e32 v93, -12, v0
	v_add_u32_e32 v94, -11, v0
	v_cmp_lt_u32_e32 vcc, 6, v93
	v_mov_b32_e32 v93, 11
	s_and_saveexec_b64 s[2:3], vcc
	s_cbranch_execz .LBB18_107
; %bb.104:
	v_and_b32_e32 v93, -8, v94
	v_sub_u32_e32 v95, 0, v93
	s_mov_b64 s[8:9], 18
	s_movk_i32 s12, 0x7c
	s_mov_b64 s[10:11], 0
.LBB18_105:                             ; =>This Inner Loop Header: Depth=1
	s_add_i32 s13, s8, -7
	v_mov_b32_e32 v93, s12
	s_add_i32 s14, s8, -6
	s_set_gpr_idx_on s13, gpr_idx(SRC0)
	v_mov_b32_e32 v102, v21
	s_set_gpr_idx_off
	ds_read2_b32 v[96:97], v93 offset1:1
	s_add_i32 s15, s8, -5
	s_set_gpr_idx_on s14, gpr_idx(SRC0)
	v_mov_b32_e32 v103, v21
	s_set_gpr_idx_off
	s_add_i32 s16, s8, -4
	s_set_gpr_idx_on s15, gpr_idx(SRC0)
	v_mov_b32_e32 v104, v21
	s_set_gpr_idx_off
	ds_read2_b32 v[98:99], v93 offset0:2 offset1:3
	s_add_i32 s17, s8, -3
	s_set_gpr_idx_on s16, gpr_idx(SRC0)
	v_mov_b32_e32 v105, v21
	s_set_gpr_idx_off
	s_add_i32 s18, s8, -2
	s_set_gpr_idx_on s17, gpr_idx(SRC0)
	v_mov_b32_e32 v106, v21
	s_set_gpr_idx_off
	ds_read2_b32 v[100:101], v93 offset0:4 offset1:5
	s_add_i32 s19, s8, -1
	s_waitcnt lgkmcnt(2)
	v_fmac_f32_e32 v92, v102, v96
	s_set_gpr_idx_on s18, gpr_idx(SRC0)
	v_mov_b32_e32 v102, v21
	s_set_gpr_idx_off
	v_fmac_f32_e32 v92, v103, v97
	s_set_gpr_idx_on s19, gpr_idx(SRC0)
	v_mov_b32_e32 v103, v21
	s_set_gpr_idx_off
	ds_read2_b32 v[96:97], v93 offset0:6 offset1:7
	s_waitcnt lgkmcnt(2)
	v_fmac_f32_e32 v92, v104, v98
	s_set_gpr_idx_on s8, gpr_idx(SRC0)
	v_mov_b32_e32 v98, v21
	s_set_gpr_idx_off
	v_fmac_f32_e32 v92, v105, v99
	s_add_u32 s8, s8, 8
	s_waitcnt lgkmcnt(1)
	v_fmac_f32_e32 v92, v106, v100
	v_add_u32_e32 v93, s8, v95
	v_fmac_f32_e32 v92, v102, v101
	s_addc_u32 s9, s9, 0
	s_add_i32 s12, s12, 32
	s_add_i32 s13, s8, -7
	v_cmp_eq_u32_e32 vcc, 18, v93
	s_waitcnt lgkmcnt(0)
	v_fmac_f32_e32 v92, v103, v96
	v_mov_b32_e32 v93, s13
	s_or_b64 s[10:11], vcc, s[10:11]
	v_fmac_f32_e32 v92, v98, v97
	s_andn2_b64 exec, exec, s[10:11]
	s_cbranch_execnz .LBB18_105
; %bb.106:
	s_or_b64 exec, exec, s[10:11]
.LBB18_107:
	s_or_b64 exec, exec, s[2:3]
	v_and_b32_e32 v40, 7, v94
	v_cmp_ne_u32_e32 vcc, 0, v40
	s_and_saveexec_b64 s[8:9], vcc
	s_cbranch_execz .LBB18_111
; %bb.108:
	v_mov_b32_e32 v41, 0x50
	v_lshl_add_u32 v41, v93, 2, v41
	v_mov_b32_e32 v42, 0
	s_mov_b64 s[10:11], 0
.LBB18_109:                             ; =>This Inner Loop Header: Depth=1
	v_cmp_eq_u32_e32 vcc, 1, v93
	v_cndmask_b32_e32 v43, v21, v22, vcc
	v_add_u32_e32 v40, -1, v40
	v_cmp_eq_u32_e32 vcc, 2, v93
	v_cndmask_b32_e32 v43, v43, v23, vcc
	v_cmp_eq_u32_e32 vcc, 0, v40
	v_cmp_eq_u32_e64 s[2:3], 3, v93
	v_cndmask_b32_e64 v43, v43, v24, s[2:3]
	s_or_b64 s[10:11], vcc, s[10:11]
	v_cmp_eq_u32_e32 vcc, 4, v93
	v_cndmask_b32_e32 v43, v43, v25, vcc
	v_cmp_eq_u32_e32 vcc, 5, v93
	v_cndmask_b32_e32 v43, v43, v26, vcc
	v_cmp_eq_u32_e32 vcc, 6, v93
	v_cndmask_b32_e32 v43, v43, v27, vcc
	v_cmp_eq_u32_e32 vcc, 7, v93
	v_cndmask_b32_e32 v43, v43, v28, vcc
	v_cmp_eq_u32_e32 vcc, 8, v93
	v_cndmask_b32_e32 v43, v43, v29, vcc
	v_cmp_eq_u32_e32 vcc, 9, v93
	v_cndmask_b32_e32 v43, v43, v30, vcc
	v_cmp_eq_u32_e32 vcc, 10, v93
	v_cndmask_b32_e32 v43, v43, v31, vcc
	v_cmp_eq_u32_e32 vcc, 11, v93
	v_cndmask_b32_e32 v43, v43, v32, vcc
	v_cmp_eq_u32_e32 vcc, 12, v93
	v_cndmask_b32_e32 v43, v43, v33, vcc
	v_cmp_eq_u32_e32 vcc, 13, v93
	v_cndmask_b32_e32 v43, v43, v34, vcc
	v_cmp_eq_u32_e32 vcc, 14, v93
	ds_read_b32 v44, v41
	v_cndmask_b32_e32 v43, v43, v35, vcc
	v_cmp_eq_u32_e32 vcc, 15, v93
	v_cndmask_b32_e32 v43, v43, v36, vcc
	v_cmp_eq_u32_e32 vcc, 16, v93
	;; [unrolled: 2-line block ×4, first 2 shown]
	v_add_co_u32_e64 v93, s[2:3], 1, v93
	v_cndmask_b32_e32 v43, v43, v39, vcc
	v_add_u32_e32 v41, 4, v41
	v_addc_co_u32_e64 v42, s[2:3], 0, v42, s[2:3]
	s_waitcnt lgkmcnt(0)
	v_fmac_f32_e32 v92, v43, v44
	s_andn2_b64 exec, exec, s[10:11]
	s_cbranch_execnz .LBB18_109
; %bb.110:
	s_or_b64 exec, exec, s[10:11]
.LBB18_111:
	s_or_b64 exec, exec, s[8:9]
.LBB18_112:
	s_or_b64 exec, exec, s[6:7]
	v_mov_b32_e32 v31, 0
	ds_read_b32 v31, v31 offset:40
	s_waitcnt lgkmcnt(0)
	v_mul_f32_e32 v31, v92, v31
.LBB18_113:
	s_or_b64 exec, exec, s[4:5]
	v_cmp_lt_u32_e64 s[2:3], 9, v0
	ds_write_b32 v91, v30
	s_waitcnt lgkmcnt(0)
	; wave barrier
	s_and_saveexec_b64 s[4:5], s[2:3]
	s_cbranch_execz .LBB18_129
; %bb.114:
	s_andn2_b64 vcc, exec, s[42:43]
	s_cbranch_vccnz .LBB18_116
; %bb.115:
	v_cmp_eq_u32_e32 vcc, 1, v0
	v_cndmask_b32_e32 v92, v21, v22, vcc
	v_cmp_eq_u32_e32 vcc, 2, v0
	v_cndmask_b32_e32 v92, v92, v23, vcc
	;; [unrolled: 2-line block ×14, first 2 shown]
	v_cmp_eq_u32_e32 vcc, 15, v0
	ds_read_b32 v93, v91
	v_cndmask_b32_e32 v92, v92, v36, vcc
	v_cmp_eq_u32_e32 vcc, 16, v0
	v_cndmask_b32_e32 v92, v92, v37, vcc
	v_cmp_eq_u32_e32 vcc, 17, v0
	;; [unrolled: 2-line block ×3, first 2 shown]
	v_cndmask_b32_e32 v92, v92, v39, vcc
	s_waitcnt lgkmcnt(0)
	v_mul_f32_e32 v92, v92, v93
	s_cbranch_execz .LBB18_117
	s_branch .LBB18_118
.LBB18_116:
                                        ; implicit-def: $vgpr92
.LBB18_117:
	ds_read_b32 v92, v91
.LBB18_118:
	s_and_saveexec_b64 s[6:7], s[0:1]
	s_cbranch_execz .LBB18_128
; %bb.119:
	v_add_u32_e32 v93, -11, v0
	v_add_u32_e32 v94, -10, v0
	v_cmp_lt_u32_e32 vcc, 6, v93
	v_mov_b32_e32 v93, 10
	s_and_saveexec_b64 s[0:1], vcc
	s_cbranch_execz .LBB18_123
; %bb.120:
	v_and_b32_e32 v93, -8, v94
	v_sub_u32_e32 v95, 0, v93
	s_mov_b64 s[8:9], 17
	s_movk_i32 s12, 0x78
	s_mov_b64 s[10:11], 0
.LBB18_121:                             ; =>This Inner Loop Header: Depth=1
	s_add_i32 s13, s8, -7
	v_mov_b32_e32 v93, s12
	s_add_i32 s14, s8, -6
	s_set_gpr_idx_on s13, gpr_idx(SRC0)
	v_mov_b32_e32 v104, v21
	s_set_gpr_idx_off
	ds_read2_b64 v[96:99], v93 offset1:1
	s_add_i32 s15, s8, -5
	s_set_gpr_idx_on s14, gpr_idx(SRC0)
	v_mov_b32_e32 v105, v21
	s_set_gpr_idx_off
	s_add_i32 s16, s8, -4
	s_set_gpr_idx_on s15, gpr_idx(SRC0)
	v_mov_b32_e32 v106, v21
	s_set_gpr_idx_off
	;; [unrolled: 4-line block ×4, first 2 shown]
	ds_read2_b64 v[100:103], v93 offset0:2 offset1:3
	s_add_i32 s19, s8, -1
	s_waitcnt lgkmcnt(1)
	v_fmac_f32_e32 v92, v104, v96
	s_set_gpr_idx_on s18, gpr_idx(SRC0)
	v_mov_b32_e32 v96, v21
	s_set_gpr_idx_off
	v_fmac_f32_e32 v92, v105, v97
	s_set_gpr_idx_on s19, gpr_idx(SRC0)
	v_mov_b32_e32 v97, v21
	s_set_gpr_idx_off
	;; [unrolled: 4-line block ×3, first 2 shown]
	v_fmac_f32_e32 v92, v107, v99
	s_add_u32 s8, s8, 8
	s_waitcnt lgkmcnt(0)
	v_fmac_f32_e32 v92, v108, v100
	v_add_u32_e32 v93, s8, v95
	v_fmac_f32_e32 v92, v96, v101
	s_addc_u32 s9, s9, 0
	s_add_i32 s12, s12, 32
	s_add_i32 s13, s8, -7
	v_cmp_eq_u32_e32 vcc, 17, v93
	v_fmac_f32_e32 v92, v97, v102
	v_mov_b32_e32 v93, s13
	s_or_b64 s[10:11], vcc, s[10:11]
	v_fmac_f32_e32 v92, v98, v103
	s_andn2_b64 exec, exec, s[10:11]
	s_cbranch_execnz .LBB18_121
; %bb.122:
	s_or_b64 exec, exec, s[10:11]
.LBB18_123:
	s_or_b64 exec, exec, s[0:1]
	v_and_b32_e32 v40, 7, v94
	v_cmp_ne_u32_e32 vcc, 0, v40
	s_and_saveexec_b64 s[8:9], vcc
	s_cbranch_execz .LBB18_127
; %bb.124:
	v_mov_b32_e32 v41, 0x50
	v_lshl_add_u32 v41, v93, 2, v41
	v_mov_b32_e32 v42, 0
	s_mov_b64 s[10:11], 0
.LBB18_125:                             ; =>This Inner Loop Header: Depth=1
	v_cmp_eq_u32_e32 vcc, 1, v93
	v_cndmask_b32_e32 v43, v21, v22, vcc
	v_add_u32_e32 v40, -1, v40
	v_cmp_eq_u32_e32 vcc, 2, v93
	v_cndmask_b32_e32 v43, v43, v23, vcc
	v_cmp_eq_u32_e32 vcc, 0, v40
	v_cmp_eq_u32_e64 s[0:1], 3, v93
	v_cndmask_b32_e64 v43, v43, v24, s[0:1]
	s_or_b64 s[10:11], vcc, s[10:11]
	v_cmp_eq_u32_e32 vcc, 4, v93
	v_cndmask_b32_e32 v43, v43, v25, vcc
	v_cmp_eq_u32_e32 vcc, 5, v93
	v_cndmask_b32_e32 v43, v43, v26, vcc
	;; [unrolled: 2-line block ×10, first 2 shown]
	v_cmp_eq_u32_e32 vcc, 14, v93
	ds_read_b32 v44, v41
	v_cndmask_b32_e32 v43, v43, v35, vcc
	v_cmp_eq_u32_e32 vcc, 15, v93
	v_cndmask_b32_e32 v43, v43, v36, vcc
	v_cmp_eq_u32_e32 vcc, 16, v93
	;; [unrolled: 2-line block ×4, first 2 shown]
	v_add_co_u32_e64 v93, s[0:1], 1, v93
	v_cndmask_b32_e32 v43, v43, v39, vcc
	v_add_u32_e32 v41, 4, v41
	v_addc_co_u32_e64 v42, s[0:1], 0, v42, s[0:1]
	s_waitcnt lgkmcnt(0)
	v_fmac_f32_e32 v92, v43, v44
	s_andn2_b64 exec, exec, s[10:11]
	s_cbranch_execnz .LBB18_125
; %bb.126:
	s_or_b64 exec, exec, s[10:11]
.LBB18_127:
	s_or_b64 exec, exec, s[8:9]
.LBB18_128:
	s_or_b64 exec, exec, s[6:7]
	v_mov_b32_e32 v30, 0
	ds_read_b32 v30, v30 offset:36
	s_waitcnt lgkmcnt(0)
	v_mul_f32_e32 v30, v92, v30
.LBB18_129:
	s_or_b64 exec, exec, s[4:5]
	v_cmp_lt_u32_e64 s[0:1], 8, v0
	ds_write_b32 v91, v29
	s_waitcnt lgkmcnt(0)
	; wave barrier
	s_and_saveexec_b64 s[4:5], s[0:1]
	s_cbranch_execz .LBB18_145
; %bb.130:
	s_andn2_b64 vcc, exec, s[42:43]
	s_cbranch_vccnz .LBB18_132
; %bb.131:
	v_cmp_eq_u32_e32 vcc, 1, v0
	v_cndmask_b32_e32 v92, v21, v22, vcc
	v_cmp_eq_u32_e32 vcc, 2, v0
	v_cndmask_b32_e32 v92, v92, v23, vcc
	;; [unrolled: 2-line block ×14, first 2 shown]
	v_cmp_eq_u32_e32 vcc, 15, v0
	ds_read_b32 v93, v91
	v_cndmask_b32_e32 v92, v92, v36, vcc
	v_cmp_eq_u32_e32 vcc, 16, v0
	v_cndmask_b32_e32 v92, v92, v37, vcc
	v_cmp_eq_u32_e32 vcc, 17, v0
	v_cndmask_b32_e32 v92, v92, v38, vcc
	v_cmp_eq_u32_e32 vcc, 18, v0
	v_cndmask_b32_e32 v92, v92, v39, vcc
	s_waitcnt lgkmcnt(0)
	v_mul_f32_e32 v92, v92, v93
	s_cbranch_execz .LBB18_133
	s_branch .LBB18_134
.LBB18_132:
                                        ; implicit-def: $vgpr92
.LBB18_133:
	ds_read_b32 v92, v91
.LBB18_134:
	s_and_saveexec_b64 s[6:7], s[2:3]
	s_cbranch_execz .LBB18_144
; %bb.135:
	v_add_u32_e32 v93, -10, v0
	v_add_u32_e32 v94, -9, v0
	v_cmp_lt_u32_e32 vcc, 6, v93
	v_mov_b32_e32 v93, 9
	s_and_saveexec_b64 s[2:3], vcc
	s_cbranch_execz .LBB18_139
; %bb.136:
	v_and_b32_e32 v93, -8, v94
	v_sub_u32_e32 v95, 0, v93
	s_mov_b64 s[8:9], 16
	s_movk_i32 s12, 0x74
	s_mov_b64 s[10:11], 0
.LBB18_137:                             ; =>This Inner Loop Header: Depth=1
	s_add_i32 s13, s8, -7
	v_mov_b32_e32 v93, s12
	s_add_i32 s14, s8, -6
	s_set_gpr_idx_on s13, gpr_idx(SRC0)
	v_mov_b32_e32 v102, v21
	s_set_gpr_idx_off
	ds_read2_b32 v[96:97], v93 offset1:1
	s_add_i32 s15, s8, -5
	s_set_gpr_idx_on s14, gpr_idx(SRC0)
	v_mov_b32_e32 v103, v21
	s_set_gpr_idx_off
	s_add_i32 s16, s8, -4
	s_set_gpr_idx_on s15, gpr_idx(SRC0)
	v_mov_b32_e32 v104, v21
	s_set_gpr_idx_off
	ds_read2_b32 v[98:99], v93 offset0:2 offset1:3
	s_add_i32 s17, s8, -3
	s_set_gpr_idx_on s16, gpr_idx(SRC0)
	v_mov_b32_e32 v105, v21
	s_set_gpr_idx_off
	s_add_i32 s18, s8, -2
	s_set_gpr_idx_on s17, gpr_idx(SRC0)
	v_mov_b32_e32 v106, v21
	s_set_gpr_idx_off
	ds_read2_b32 v[100:101], v93 offset0:4 offset1:5
	s_add_i32 s19, s8, -1
	s_waitcnt lgkmcnt(2)
	v_fmac_f32_e32 v92, v102, v96
	s_set_gpr_idx_on s18, gpr_idx(SRC0)
	v_mov_b32_e32 v102, v21
	s_set_gpr_idx_off
	v_fmac_f32_e32 v92, v103, v97
	s_set_gpr_idx_on s19, gpr_idx(SRC0)
	v_mov_b32_e32 v103, v21
	s_set_gpr_idx_off
	ds_read2_b32 v[96:97], v93 offset0:6 offset1:7
	s_waitcnt lgkmcnt(2)
	v_fmac_f32_e32 v92, v104, v98
	s_set_gpr_idx_on s8, gpr_idx(SRC0)
	v_mov_b32_e32 v98, v21
	s_set_gpr_idx_off
	v_fmac_f32_e32 v92, v105, v99
	s_add_u32 s8, s8, 8
	s_waitcnt lgkmcnt(1)
	v_fmac_f32_e32 v92, v106, v100
	v_add_u32_e32 v93, s8, v95
	v_fmac_f32_e32 v92, v102, v101
	s_addc_u32 s9, s9, 0
	s_add_i32 s12, s12, 32
	s_add_i32 s13, s8, -7
	v_cmp_eq_u32_e32 vcc, 16, v93
	s_waitcnt lgkmcnt(0)
	v_fmac_f32_e32 v92, v103, v96
	v_mov_b32_e32 v93, s13
	s_or_b64 s[10:11], vcc, s[10:11]
	v_fmac_f32_e32 v92, v98, v97
	s_andn2_b64 exec, exec, s[10:11]
	s_cbranch_execnz .LBB18_137
; %bb.138:
	s_or_b64 exec, exec, s[10:11]
.LBB18_139:
	s_or_b64 exec, exec, s[2:3]
	v_and_b32_e32 v40, 7, v94
	v_cmp_ne_u32_e32 vcc, 0, v40
	s_and_saveexec_b64 s[8:9], vcc
	s_cbranch_execz .LBB18_143
; %bb.140:
	v_mov_b32_e32 v41, 0x50
	v_lshl_add_u32 v41, v93, 2, v41
	v_mov_b32_e32 v42, 0
	s_mov_b64 s[10:11], 0
.LBB18_141:                             ; =>This Inner Loop Header: Depth=1
	v_cmp_eq_u32_e32 vcc, 1, v93
	v_cndmask_b32_e32 v43, v21, v22, vcc
	v_add_u32_e32 v40, -1, v40
	v_cmp_eq_u32_e32 vcc, 2, v93
	v_cndmask_b32_e32 v43, v43, v23, vcc
	v_cmp_eq_u32_e32 vcc, 0, v40
	v_cmp_eq_u32_e64 s[2:3], 3, v93
	v_cndmask_b32_e64 v43, v43, v24, s[2:3]
	s_or_b64 s[10:11], vcc, s[10:11]
	v_cmp_eq_u32_e32 vcc, 4, v93
	v_cndmask_b32_e32 v43, v43, v25, vcc
	v_cmp_eq_u32_e32 vcc, 5, v93
	v_cndmask_b32_e32 v43, v43, v26, vcc
	;; [unrolled: 2-line block ×10, first 2 shown]
	v_cmp_eq_u32_e32 vcc, 14, v93
	ds_read_b32 v44, v41
	v_cndmask_b32_e32 v43, v43, v35, vcc
	v_cmp_eq_u32_e32 vcc, 15, v93
	v_cndmask_b32_e32 v43, v43, v36, vcc
	v_cmp_eq_u32_e32 vcc, 16, v93
	;; [unrolled: 2-line block ×4, first 2 shown]
	v_add_co_u32_e64 v93, s[2:3], 1, v93
	v_cndmask_b32_e32 v43, v43, v39, vcc
	v_add_u32_e32 v41, 4, v41
	v_addc_co_u32_e64 v42, s[2:3], 0, v42, s[2:3]
	s_waitcnt lgkmcnt(0)
	v_fmac_f32_e32 v92, v43, v44
	s_andn2_b64 exec, exec, s[10:11]
	s_cbranch_execnz .LBB18_141
; %bb.142:
	s_or_b64 exec, exec, s[10:11]
.LBB18_143:
	s_or_b64 exec, exec, s[8:9]
.LBB18_144:
	s_or_b64 exec, exec, s[6:7]
	v_mov_b32_e32 v29, 0
	ds_read_b32 v29, v29 offset:32
	s_waitcnt lgkmcnt(0)
	v_mul_f32_e32 v29, v92, v29
.LBB18_145:
	s_or_b64 exec, exec, s[4:5]
	v_cmp_lt_u32_e64 s[2:3], 7, v0
	ds_write_b32 v91, v28
	s_waitcnt lgkmcnt(0)
	; wave barrier
	s_and_saveexec_b64 s[4:5], s[2:3]
	s_cbranch_execz .LBB18_161
; %bb.146:
	s_andn2_b64 vcc, exec, s[42:43]
	s_cbranch_vccnz .LBB18_148
; %bb.147:
	v_cmp_eq_u32_e32 vcc, 1, v0
	v_cndmask_b32_e32 v92, v21, v22, vcc
	v_cmp_eq_u32_e32 vcc, 2, v0
	v_cndmask_b32_e32 v92, v92, v23, vcc
	;; [unrolled: 2-line block ×14, first 2 shown]
	v_cmp_eq_u32_e32 vcc, 15, v0
	ds_read_b32 v93, v91
	v_cndmask_b32_e32 v92, v92, v36, vcc
	v_cmp_eq_u32_e32 vcc, 16, v0
	v_cndmask_b32_e32 v92, v92, v37, vcc
	v_cmp_eq_u32_e32 vcc, 17, v0
	;; [unrolled: 2-line block ×3, first 2 shown]
	v_cndmask_b32_e32 v92, v92, v39, vcc
	s_waitcnt lgkmcnt(0)
	v_mul_f32_e32 v92, v92, v93
	s_cbranch_execz .LBB18_149
	s_branch .LBB18_150
.LBB18_148:
                                        ; implicit-def: $vgpr92
.LBB18_149:
	ds_read_b32 v92, v91
.LBB18_150:
	s_and_saveexec_b64 s[6:7], s[0:1]
	s_cbranch_execz .LBB18_160
; %bb.151:
	v_add_u32_e32 v93, -9, v0
	v_cmp_lt_u32_e32 vcc, 6, v93
	v_mov_b32_e32 v93, 8
	s_and_saveexec_b64 s[0:1], vcc
	s_cbranch_execz .LBB18_155
; %bb.152:
	v_and_b32_e32 v93, 24, v0
	v_sub_u32_e32 v94, 0, v93
	s_mov_b64 s[8:9], 15
	s_movk_i32 s12, 0x70
	s_mov_b64 s[10:11], 0
.LBB18_153:                             ; =>This Inner Loop Header: Depth=1
	s_add_i32 s13, s8, -7
	v_mov_b32_e32 v93, s12
	s_add_i32 s14, s8, -6
	s_set_gpr_idx_on s13, gpr_idx(SRC0)
	v_mov_b32_e32 v103, v21
	s_set_gpr_idx_off
	s_add_i32 s15, s8, -5
	ds_read_b128 v[95:98], v93
	ds_read_b128 v[99:102], v93 offset:16
	s_set_gpr_idx_on s14, gpr_idx(SRC0)
	v_mov_b32_e32 v93, v21
	s_set_gpr_idx_off
	s_add_i32 s16, s8, -4
	s_set_gpr_idx_on s15, gpr_idx(SRC0)
	v_mov_b32_e32 v104, v21
	s_set_gpr_idx_off
	s_add_i32 s17, s8, -3
	;; [unrolled: 4-line block ×4, first 2 shown]
	s_waitcnt lgkmcnt(1)
	v_fmac_f32_e32 v92, v103, v95
	s_set_gpr_idx_on s18, gpr_idx(SRC0)
	v_mov_b32_e32 v95, v21
	s_set_gpr_idx_off
	v_fmac_f32_e32 v92, v93, v96
	s_set_gpr_idx_on s19, gpr_idx(SRC0)
	v_mov_b32_e32 v96, v21
	s_set_gpr_idx_off
	;; [unrolled: 4-line block ×3, first 2 shown]
	v_fmac_f32_e32 v92, v105, v98
	s_add_u32 s8, s8, 8
	s_waitcnt lgkmcnt(0)
	v_fmac_f32_e32 v92, v106, v99
	v_add_u32_e32 v93, s8, v94
	v_fmac_f32_e32 v92, v95, v100
	s_addc_u32 s9, s9, 0
	s_add_i32 s12, s12, 32
	s_add_i32 s13, s8, -7
	v_cmp_eq_u32_e32 vcc, 7, v93
	v_fmac_f32_e32 v92, v96, v101
	v_mov_b32_e32 v93, s13
	s_or_b64 s[10:11], vcc, s[10:11]
	v_fmac_f32_e32 v92, v97, v102
	s_andn2_b64 exec, exec, s[10:11]
	s_cbranch_execnz .LBB18_153
; %bb.154:
	s_or_b64 exec, exec, s[10:11]
.LBB18_155:
	s_or_b64 exec, exec, s[0:1]
	v_and_b32_e32 v40, 7, v0
	v_cmp_ne_u32_e32 vcc, 0, v40
	s_and_saveexec_b64 s[8:9], vcc
	s_cbranch_execz .LBB18_159
; %bb.156:
	v_mov_b32_e32 v41, 0x50
	v_lshl_add_u32 v41, v93, 2, v41
	v_mov_b32_e32 v42, 0
	s_mov_b64 s[10:11], 0
.LBB18_157:                             ; =>This Inner Loop Header: Depth=1
	v_cmp_eq_u32_e32 vcc, 1, v93
	v_cndmask_b32_e32 v43, v21, v22, vcc
	v_add_u32_e32 v40, -1, v40
	v_cmp_eq_u32_e32 vcc, 2, v93
	v_cndmask_b32_e32 v43, v43, v23, vcc
	v_cmp_eq_u32_e32 vcc, 0, v40
	v_cmp_eq_u32_e64 s[0:1], 3, v93
	v_cndmask_b32_e64 v43, v43, v24, s[0:1]
	s_or_b64 s[10:11], vcc, s[10:11]
	v_cmp_eq_u32_e32 vcc, 4, v93
	v_cndmask_b32_e32 v43, v43, v25, vcc
	v_cmp_eq_u32_e32 vcc, 5, v93
	v_cndmask_b32_e32 v43, v43, v26, vcc
	;; [unrolled: 2-line block ×10, first 2 shown]
	v_cmp_eq_u32_e32 vcc, 14, v93
	ds_read_b32 v44, v41
	v_cndmask_b32_e32 v43, v43, v35, vcc
	v_cmp_eq_u32_e32 vcc, 15, v93
	v_cndmask_b32_e32 v43, v43, v36, vcc
	v_cmp_eq_u32_e32 vcc, 16, v93
	;; [unrolled: 2-line block ×4, first 2 shown]
	v_add_co_u32_e64 v93, s[0:1], 1, v93
	v_cndmask_b32_e32 v43, v43, v39, vcc
	v_add_u32_e32 v41, 4, v41
	v_addc_co_u32_e64 v42, s[0:1], 0, v42, s[0:1]
	s_waitcnt lgkmcnt(0)
	v_fmac_f32_e32 v92, v43, v44
	s_andn2_b64 exec, exec, s[10:11]
	s_cbranch_execnz .LBB18_157
; %bb.158:
	s_or_b64 exec, exec, s[10:11]
.LBB18_159:
	s_or_b64 exec, exec, s[8:9]
.LBB18_160:
	s_or_b64 exec, exec, s[6:7]
	v_mov_b32_e32 v28, 0
	ds_read_b32 v28, v28 offset:28
	s_waitcnt lgkmcnt(0)
	v_mul_f32_e32 v28, v92, v28
.LBB18_161:
	s_or_b64 exec, exec, s[4:5]
	v_cmp_lt_u32_e64 s[0:1], 6, v0
	ds_write_b32 v91, v27
	s_waitcnt lgkmcnt(0)
	; wave barrier
	s_and_saveexec_b64 s[4:5], s[0:1]
	s_cbranch_execz .LBB18_177
; %bb.162:
	s_andn2_b64 vcc, exec, s[42:43]
	s_cbranch_vccnz .LBB18_164
; %bb.163:
	v_cmp_eq_u32_e32 vcc, 1, v0
	v_cndmask_b32_e32 v92, v21, v22, vcc
	v_cmp_eq_u32_e32 vcc, 2, v0
	v_cndmask_b32_e32 v92, v92, v23, vcc
	;; [unrolled: 2-line block ×14, first 2 shown]
	v_cmp_eq_u32_e32 vcc, 15, v0
	ds_read_b32 v93, v91
	v_cndmask_b32_e32 v92, v92, v36, vcc
	v_cmp_eq_u32_e32 vcc, 16, v0
	v_cndmask_b32_e32 v92, v92, v37, vcc
	v_cmp_eq_u32_e32 vcc, 17, v0
	;; [unrolled: 2-line block ×3, first 2 shown]
	v_cndmask_b32_e32 v92, v92, v39, vcc
	s_waitcnt lgkmcnt(0)
	v_mul_f32_e32 v92, v92, v93
	s_cbranch_execz .LBB18_165
	s_branch .LBB18_166
.LBB18_164:
                                        ; implicit-def: $vgpr92
.LBB18_165:
	ds_read_b32 v92, v91
.LBB18_166:
	s_and_saveexec_b64 s[6:7], s[2:3]
	s_cbranch_execz .LBB18_176
; %bb.167:
	v_add_u32_e32 v93, -8, v0
	v_add_u32_e32 v94, -7, v0
	v_cmp_lt_u32_e32 vcc, 6, v93
	v_mov_b32_e32 v93, 7
	s_and_saveexec_b64 s[2:3], vcc
	s_cbranch_execz .LBB18_171
; %bb.168:
	v_and_b32_e32 v93, -8, v94
	v_sub_u32_e32 v95, 0, v93
	s_mov_b64 s[8:9], 14
	s_movk_i32 s12, 0x6c
	s_mov_b64 s[10:11], 0
.LBB18_169:                             ; =>This Inner Loop Header: Depth=1
	s_add_i32 s13, s8, -7
	v_mov_b32_e32 v93, s12
	s_add_i32 s14, s8, -6
	s_set_gpr_idx_on s13, gpr_idx(SRC0)
	v_mov_b32_e32 v102, v21
	s_set_gpr_idx_off
	ds_read2_b32 v[96:97], v93 offset1:1
	s_add_i32 s15, s8, -5
	s_set_gpr_idx_on s14, gpr_idx(SRC0)
	v_mov_b32_e32 v103, v21
	s_set_gpr_idx_off
	s_add_i32 s16, s8, -4
	s_set_gpr_idx_on s15, gpr_idx(SRC0)
	v_mov_b32_e32 v104, v21
	s_set_gpr_idx_off
	ds_read2_b32 v[98:99], v93 offset0:2 offset1:3
	s_add_i32 s17, s8, -3
	s_set_gpr_idx_on s16, gpr_idx(SRC0)
	v_mov_b32_e32 v105, v21
	s_set_gpr_idx_off
	s_add_i32 s18, s8, -2
	s_set_gpr_idx_on s17, gpr_idx(SRC0)
	v_mov_b32_e32 v106, v21
	s_set_gpr_idx_off
	ds_read2_b32 v[100:101], v93 offset0:4 offset1:5
	s_add_i32 s19, s8, -1
	s_waitcnt lgkmcnt(2)
	v_fmac_f32_e32 v92, v102, v96
	s_set_gpr_idx_on s18, gpr_idx(SRC0)
	v_mov_b32_e32 v102, v21
	s_set_gpr_idx_off
	v_fmac_f32_e32 v92, v103, v97
	s_set_gpr_idx_on s19, gpr_idx(SRC0)
	v_mov_b32_e32 v103, v21
	s_set_gpr_idx_off
	ds_read2_b32 v[96:97], v93 offset0:6 offset1:7
	s_waitcnt lgkmcnt(2)
	v_fmac_f32_e32 v92, v104, v98
	s_set_gpr_idx_on s8, gpr_idx(SRC0)
	v_mov_b32_e32 v98, v21
	s_set_gpr_idx_off
	v_fmac_f32_e32 v92, v105, v99
	s_add_u32 s8, s8, 8
	s_waitcnt lgkmcnt(1)
	v_fmac_f32_e32 v92, v106, v100
	v_add_u32_e32 v93, s8, v95
	v_fmac_f32_e32 v92, v102, v101
	s_addc_u32 s9, s9, 0
	s_add_i32 s12, s12, 32
	s_add_i32 s13, s8, -7
	v_cmp_eq_u32_e32 vcc, 14, v93
	s_waitcnt lgkmcnt(0)
	v_fmac_f32_e32 v92, v103, v96
	v_mov_b32_e32 v93, s13
	s_or_b64 s[10:11], vcc, s[10:11]
	v_fmac_f32_e32 v92, v98, v97
	s_andn2_b64 exec, exec, s[10:11]
	s_cbranch_execnz .LBB18_169
; %bb.170:
	s_or_b64 exec, exec, s[10:11]
.LBB18_171:
	s_or_b64 exec, exec, s[2:3]
	v_and_b32_e32 v40, 7, v94
	v_cmp_ne_u32_e32 vcc, 0, v40
	s_and_saveexec_b64 s[8:9], vcc
	s_cbranch_execz .LBB18_175
; %bb.172:
	v_mov_b32_e32 v41, 0x50
	v_lshl_add_u32 v41, v93, 2, v41
	v_mov_b32_e32 v42, 0
	s_mov_b64 s[10:11], 0
.LBB18_173:                             ; =>This Inner Loop Header: Depth=1
	v_cmp_eq_u32_e32 vcc, 1, v93
	v_cndmask_b32_e32 v43, v21, v22, vcc
	v_add_u32_e32 v40, -1, v40
	v_cmp_eq_u32_e32 vcc, 2, v93
	v_cndmask_b32_e32 v43, v43, v23, vcc
	v_cmp_eq_u32_e32 vcc, 0, v40
	v_cmp_eq_u32_e64 s[2:3], 3, v93
	v_cndmask_b32_e64 v43, v43, v24, s[2:3]
	s_or_b64 s[10:11], vcc, s[10:11]
	v_cmp_eq_u32_e32 vcc, 4, v93
	v_cndmask_b32_e32 v43, v43, v25, vcc
	v_cmp_eq_u32_e32 vcc, 5, v93
	v_cndmask_b32_e32 v43, v43, v26, vcc
	;; [unrolled: 2-line block ×10, first 2 shown]
	v_cmp_eq_u32_e32 vcc, 14, v93
	ds_read_b32 v44, v41
	v_cndmask_b32_e32 v43, v43, v35, vcc
	v_cmp_eq_u32_e32 vcc, 15, v93
	v_cndmask_b32_e32 v43, v43, v36, vcc
	v_cmp_eq_u32_e32 vcc, 16, v93
	;; [unrolled: 2-line block ×4, first 2 shown]
	v_add_co_u32_e64 v93, s[2:3], 1, v93
	v_cndmask_b32_e32 v43, v43, v39, vcc
	v_add_u32_e32 v41, 4, v41
	v_addc_co_u32_e64 v42, s[2:3], 0, v42, s[2:3]
	s_waitcnt lgkmcnt(0)
	v_fmac_f32_e32 v92, v43, v44
	s_andn2_b64 exec, exec, s[10:11]
	s_cbranch_execnz .LBB18_173
; %bb.174:
	s_or_b64 exec, exec, s[10:11]
.LBB18_175:
	s_or_b64 exec, exec, s[8:9]
.LBB18_176:
	s_or_b64 exec, exec, s[6:7]
	v_mov_b32_e32 v27, 0
	ds_read_b32 v27, v27 offset:24
	s_waitcnt lgkmcnt(0)
	v_mul_f32_e32 v27, v92, v27
.LBB18_177:
	s_or_b64 exec, exec, s[4:5]
	v_cmp_lt_u32_e64 s[2:3], 5, v0
	ds_write_b32 v91, v26
	s_waitcnt lgkmcnt(0)
	; wave barrier
	s_and_saveexec_b64 s[4:5], s[2:3]
	s_cbranch_execz .LBB18_193
; %bb.178:
	s_andn2_b64 vcc, exec, s[42:43]
	s_cbranch_vccnz .LBB18_180
; %bb.179:
	v_cmp_eq_u32_e32 vcc, 1, v0
	v_cndmask_b32_e32 v92, v21, v22, vcc
	v_cmp_eq_u32_e32 vcc, 2, v0
	v_cndmask_b32_e32 v92, v92, v23, vcc
	;; [unrolled: 2-line block ×14, first 2 shown]
	v_cmp_eq_u32_e32 vcc, 15, v0
	ds_read_b32 v93, v91
	v_cndmask_b32_e32 v92, v92, v36, vcc
	v_cmp_eq_u32_e32 vcc, 16, v0
	v_cndmask_b32_e32 v92, v92, v37, vcc
	v_cmp_eq_u32_e32 vcc, 17, v0
	;; [unrolled: 2-line block ×3, first 2 shown]
	v_cndmask_b32_e32 v92, v92, v39, vcc
	s_waitcnt lgkmcnt(0)
	v_mul_f32_e32 v92, v92, v93
	s_cbranch_execz .LBB18_181
	s_branch .LBB18_182
.LBB18_180:
                                        ; implicit-def: $vgpr92
.LBB18_181:
	ds_read_b32 v92, v91
.LBB18_182:
	s_and_saveexec_b64 s[6:7], s[0:1]
	s_cbranch_execz .LBB18_192
; %bb.183:
	v_add_u32_e32 v95, -7, v0
	v_add_u32_e32 v94, -6, v0
	v_mov_b32_e32 v93, 6
	v_cmp_lt_u32_e32 vcc, 6, v95
	s_and_saveexec_b64 s[0:1], vcc
	s_cbranch_execz .LBB18_187
; %bb.184:
	v_and_b32_e32 v93, -8, v94
	v_sub_u32_e32 v95, 0, v93
	s_mov_b64 s[8:9], 13
	s_movk_i32 s12, 0x68
	s_mov_b64 s[10:11], 0
.LBB18_185:                             ; =>This Inner Loop Header: Depth=1
	s_add_i32 s13, s8, -7
	v_mov_b32_e32 v93, s12
	s_add_i32 s14, s8, -6
	s_set_gpr_idx_on s13, gpr_idx(SRC0)
	v_mov_b32_e32 v104, v21
	s_set_gpr_idx_off
	ds_read2_b64 v[96:99], v93 offset1:1
	s_add_i32 s15, s8, -5
	s_set_gpr_idx_on s14, gpr_idx(SRC0)
	v_mov_b32_e32 v105, v21
	s_set_gpr_idx_off
	s_add_i32 s16, s8, -4
	s_set_gpr_idx_on s15, gpr_idx(SRC0)
	v_mov_b32_e32 v106, v21
	s_set_gpr_idx_off
	;; [unrolled: 4-line block ×4, first 2 shown]
	ds_read2_b64 v[100:103], v93 offset0:2 offset1:3
	s_add_i32 s19, s8, -1
	s_waitcnt lgkmcnt(1)
	v_fmac_f32_e32 v92, v104, v96
	s_set_gpr_idx_on s18, gpr_idx(SRC0)
	v_mov_b32_e32 v96, v21
	s_set_gpr_idx_off
	v_fmac_f32_e32 v92, v105, v97
	s_set_gpr_idx_on s19, gpr_idx(SRC0)
	v_mov_b32_e32 v97, v21
	s_set_gpr_idx_off
	v_fmac_f32_e32 v92, v106, v98
	s_set_gpr_idx_on s8, gpr_idx(SRC0)
	v_mov_b32_e32 v98, v21
	s_set_gpr_idx_off
	v_fmac_f32_e32 v92, v107, v99
	s_add_u32 s8, s8, 8
	s_waitcnt lgkmcnt(0)
	v_fmac_f32_e32 v92, v108, v100
	v_add_u32_e32 v93, s8, v95
	v_fmac_f32_e32 v92, v96, v101
	s_addc_u32 s9, s9, 0
	s_add_i32 s12, s12, 32
	s_add_i32 s13, s8, -7
	v_cmp_eq_u32_e32 vcc, 13, v93
	v_fmac_f32_e32 v92, v97, v102
	v_mov_b32_e32 v93, s13
	s_or_b64 s[10:11], vcc, s[10:11]
	v_fmac_f32_e32 v92, v98, v103
	s_andn2_b64 exec, exec, s[10:11]
	s_cbranch_execnz .LBB18_185
; %bb.186:
	s_or_b64 exec, exec, s[10:11]
.LBB18_187:
	s_or_b64 exec, exec, s[0:1]
	v_and_b32_e32 v40, 7, v94
	v_cmp_ne_u32_e32 vcc, 0, v40
	s_and_saveexec_b64 s[8:9], vcc
	s_cbranch_execz .LBB18_191
; %bb.188:
	v_mov_b32_e32 v41, 0x50
	v_lshl_add_u32 v41, v93, 2, v41
	v_mov_b32_e32 v42, 0
	s_mov_b64 s[10:11], 0
.LBB18_189:                             ; =>This Inner Loop Header: Depth=1
	v_cmp_eq_u32_e32 vcc, 1, v93
	v_cndmask_b32_e32 v43, v21, v22, vcc
	v_add_u32_e32 v40, -1, v40
	v_cmp_eq_u32_e32 vcc, 2, v93
	v_cndmask_b32_e32 v43, v43, v23, vcc
	v_cmp_eq_u32_e32 vcc, 0, v40
	v_cmp_eq_u32_e64 s[0:1], 3, v93
	v_cndmask_b32_e64 v43, v43, v24, s[0:1]
	s_or_b64 s[10:11], vcc, s[10:11]
	v_cmp_eq_u32_e32 vcc, 4, v93
	v_cndmask_b32_e32 v43, v43, v25, vcc
	v_cmp_eq_u32_e32 vcc, 5, v93
	v_cndmask_b32_e32 v43, v43, v26, vcc
	v_cmp_eq_u32_e32 vcc, 6, v93
	v_cndmask_b32_e32 v43, v43, v27, vcc
	v_cmp_eq_u32_e32 vcc, 7, v93
	v_cndmask_b32_e32 v43, v43, v28, vcc
	v_cmp_eq_u32_e32 vcc, 8, v93
	v_cndmask_b32_e32 v43, v43, v29, vcc
	v_cmp_eq_u32_e32 vcc, 9, v93
	v_cndmask_b32_e32 v43, v43, v30, vcc
	v_cmp_eq_u32_e32 vcc, 10, v93
	v_cndmask_b32_e32 v43, v43, v31, vcc
	v_cmp_eq_u32_e32 vcc, 11, v93
	v_cndmask_b32_e32 v43, v43, v32, vcc
	v_cmp_eq_u32_e32 vcc, 12, v93
	v_cndmask_b32_e32 v43, v43, v33, vcc
	v_cmp_eq_u32_e32 vcc, 13, v93
	v_cndmask_b32_e32 v43, v43, v34, vcc
	v_cmp_eq_u32_e32 vcc, 14, v93
	ds_read_b32 v44, v41
	v_cndmask_b32_e32 v43, v43, v35, vcc
	v_cmp_eq_u32_e32 vcc, 15, v93
	v_cndmask_b32_e32 v43, v43, v36, vcc
	v_cmp_eq_u32_e32 vcc, 16, v93
	;; [unrolled: 2-line block ×4, first 2 shown]
	v_add_co_u32_e64 v93, s[0:1], 1, v93
	v_cndmask_b32_e32 v43, v43, v39, vcc
	v_add_u32_e32 v41, 4, v41
	v_addc_co_u32_e64 v42, s[0:1], 0, v42, s[0:1]
	s_waitcnt lgkmcnt(0)
	v_fmac_f32_e32 v92, v43, v44
	s_andn2_b64 exec, exec, s[10:11]
	s_cbranch_execnz .LBB18_189
; %bb.190:
	s_or_b64 exec, exec, s[10:11]
.LBB18_191:
	s_or_b64 exec, exec, s[8:9]
.LBB18_192:
	s_or_b64 exec, exec, s[6:7]
	v_mov_b32_e32 v26, 0
	ds_read_b32 v26, v26 offset:20
	s_waitcnt lgkmcnt(0)
	v_mul_f32_e32 v26, v92, v26
.LBB18_193:
	s_or_b64 exec, exec, s[4:5]
	v_cmp_lt_u32_e64 s[0:1], 4, v0
	ds_write_b32 v91, v25
	s_waitcnt lgkmcnt(0)
	; wave barrier
	s_and_saveexec_b64 s[4:5], s[0:1]
	s_cbranch_execz .LBB18_209
; %bb.194:
	s_andn2_b64 vcc, exec, s[42:43]
	s_cbranch_vccnz .LBB18_196
; %bb.195:
	v_cmp_eq_u32_e32 vcc, 1, v0
	v_cndmask_b32_e32 v92, v21, v22, vcc
	v_cmp_eq_u32_e32 vcc, 2, v0
	v_cndmask_b32_e32 v92, v92, v23, vcc
	;; [unrolled: 2-line block ×14, first 2 shown]
	v_cmp_eq_u32_e32 vcc, 15, v0
	ds_read_b32 v93, v91
	v_cndmask_b32_e32 v92, v92, v36, vcc
	v_cmp_eq_u32_e32 vcc, 16, v0
	v_cndmask_b32_e32 v92, v92, v37, vcc
	v_cmp_eq_u32_e32 vcc, 17, v0
	;; [unrolled: 2-line block ×3, first 2 shown]
	v_cndmask_b32_e32 v92, v92, v39, vcc
	s_waitcnt lgkmcnt(0)
	v_mul_f32_e32 v92, v92, v93
	s_cbranch_execz .LBB18_197
	s_branch .LBB18_198
.LBB18_196:
                                        ; implicit-def: $vgpr92
.LBB18_197:
	ds_read_b32 v92, v91
.LBB18_198:
	s_and_saveexec_b64 s[6:7], s[2:3]
	s_cbranch_execz .LBB18_208
; %bb.199:
	v_add_u32_e32 v93, -6, v0
	v_add_u32_e32 v94, -5, v0
	v_cmp_lt_u32_e32 vcc, 6, v93
	v_mov_b32_e32 v93, 5
	s_and_saveexec_b64 s[2:3], vcc
	s_cbranch_execz .LBB18_203
; %bb.200:
	v_and_b32_e32 v93, -8, v94
	v_sub_u32_e32 v95, 0, v93
	s_mov_b64 s[8:9], 12
	s_movk_i32 s12, 0x64
	s_mov_b64 s[10:11], 0
.LBB18_201:                             ; =>This Inner Loop Header: Depth=1
	s_add_i32 s13, s8, -7
	v_mov_b32_e32 v93, s12
	s_add_i32 s14, s8, -6
	s_set_gpr_idx_on s13, gpr_idx(SRC0)
	v_mov_b32_e32 v102, v21
	s_set_gpr_idx_off
	ds_read2_b32 v[96:97], v93 offset1:1
	s_add_i32 s15, s8, -5
	s_set_gpr_idx_on s14, gpr_idx(SRC0)
	v_mov_b32_e32 v103, v21
	s_set_gpr_idx_off
	s_add_i32 s16, s8, -4
	s_set_gpr_idx_on s15, gpr_idx(SRC0)
	v_mov_b32_e32 v104, v21
	s_set_gpr_idx_off
	ds_read2_b32 v[98:99], v93 offset0:2 offset1:3
	s_add_i32 s17, s8, -3
	s_set_gpr_idx_on s16, gpr_idx(SRC0)
	v_mov_b32_e32 v105, v21
	s_set_gpr_idx_off
	s_add_i32 s18, s8, -2
	s_set_gpr_idx_on s17, gpr_idx(SRC0)
	v_mov_b32_e32 v106, v21
	s_set_gpr_idx_off
	ds_read2_b32 v[100:101], v93 offset0:4 offset1:5
	s_add_i32 s19, s8, -1
	s_waitcnt lgkmcnt(2)
	v_fmac_f32_e32 v92, v102, v96
	s_set_gpr_idx_on s18, gpr_idx(SRC0)
	v_mov_b32_e32 v102, v21
	s_set_gpr_idx_off
	v_fmac_f32_e32 v92, v103, v97
	s_set_gpr_idx_on s19, gpr_idx(SRC0)
	v_mov_b32_e32 v103, v21
	s_set_gpr_idx_off
	ds_read2_b32 v[96:97], v93 offset0:6 offset1:7
	s_waitcnt lgkmcnt(2)
	v_fmac_f32_e32 v92, v104, v98
	s_set_gpr_idx_on s8, gpr_idx(SRC0)
	v_mov_b32_e32 v98, v21
	s_set_gpr_idx_off
	v_fmac_f32_e32 v92, v105, v99
	s_add_u32 s8, s8, 8
	s_waitcnt lgkmcnt(1)
	v_fmac_f32_e32 v92, v106, v100
	v_add_u32_e32 v93, s8, v95
	v_fmac_f32_e32 v92, v102, v101
	s_addc_u32 s9, s9, 0
	s_add_i32 s12, s12, 32
	s_add_i32 s13, s8, -7
	v_cmp_eq_u32_e32 vcc, 12, v93
	s_waitcnt lgkmcnt(0)
	v_fmac_f32_e32 v92, v103, v96
	v_mov_b32_e32 v93, s13
	s_or_b64 s[10:11], vcc, s[10:11]
	v_fmac_f32_e32 v92, v98, v97
	s_andn2_b64 exec, exec, s[10:11]
	s_cbranch_execnz .LBB18_201
; %bb.202:
	s_or_b64 exec, exec, s[10:11]
.LBB18_203:
	s_or_b64 exec, exec, s[2:3]
	v_and_b32_e32 v40, 7, v94
	v_cmp_ne_u32_e32 vcc, 0, v40
	s_and_saveexec_b64 s[8:9], vcc
	s_cbranch_execz .LBB18_207
; %bb.204:
	v_mov_b32_e32 v41, 0x50
	v_lshl_add_u32 v41, v93, 2, v41
	v_mov_b32_e32 v42, 0
	s_mov_b64 s[10:11], 0
.LBB18_205:                             ; =>This Inner Loop Header: Depth=1
	v_cmp_eq_u32_e32 vcc, 1, v93
	v_cndmask_b32_e32 v43, v21, v22, vcc
	v_add_u32_e32 v40, -1, v40
	v_cmp_eq_u32_e32 vcc, 2, v93
	v_cndmask_b32_e32 v43, v43, v23, vcc
	v_cmp_eq_u32_e32 vcc, 0, v40
	v_cmp_eq_u32_e64 s[2:3], 3, v93
	v_cndmask_b32_e64 v43, v43, v24, s[2:3]
	s_or_b64 s[10:11], vcc, s[10:11]
	v_cmp_eq_u32_e32 vcc, 4, v93
	v_cndmask_b32_e32 v43, v43, v25, vcc
	v_cmp_eq_u32_e32 vcc, 5, v93
	v_cndmask_b32_e32 v43, v43, v26, vcc
	;; [unrolled: 2-line block ×10, first 2 shown]
	v_cmp_eq_u32_e32 vcc, 14, v93
	ds_read_b32 v44, v41
	v_cndmask_b32_e32 v43, v43, v35, vcc
	v_cmp_eq_u32_e32 vcc, 15, v93
	v_cndmask_b32_e32 v43, v43, v36, vcc
	v_cmp_eq_u32_e32 vcc, 16, v93
	;; [unrolled: 2-line block ×4, first 2 shown]
	v_add_co_u32_e64 v93, s[2:3], 1, v93
	v_cndmask_b32_e32 v43, v43, v39, vcc
	v_add_u32_e32 v41, 4, v41
	v_addc_co_u32_e64 v42, s[2:3], 0, v42, s[2:3]
	s_waitcnt lgkmcnt(0)
	v_fmac_f32_e32 v92, v43, v44
	s_andn2_b64 exec, exec, s[10:11]
	s_cbranch_execnz .LBB18_205
; %bb.206:
	s_or_b64 exec, exec, s[10:11]
.LBB18_207:
	s_or_b64 exec, exec, s[8:9]
.LBB18_208:
	s_or_b64 exec, exec, s[6:7]
	v_mov_b32_e32 v25, 0
	ds_read_b32 v25, v25 offset:16
	s_waitcnt lgkmcnt(0)
	v_mul_f32_e32 v25, v92, v25
.LBB18_209:
	s_or_b64 exec, exec, s[4:5]
	v_cmp_lt_u32_e64 s[2:3], 3, v0
	ds_write_b32 v91, v24
	s_waitcnt lgkmcnt(0)
	; wave barrier
	s_and_saveexec_b64 s[4:5], s[2:3]
	s_cbranch_execz .LBB18_225
; %bb.210:
	s_andn2_b64 vcc, exec, s[42:43]
	s_cbranch_vccnz .LBB18_212
; %bb.211:
	v_cmp_eq_u32_e32 vcc, 1, v0
	v_cndmask_b32_e32 v92, v21, v22, vcc
	v_cmp_eq_u32_e32 vcc, 2, v0
	v_cndmask_b32_e32 v92, v92, v23, vcc
	;; [unrolled: 2-line block ×14, first 2 shown]
	v_cmp_eq_u32_e32 vcc, 15, v0
	ds_read_b32 v93, v91
	v_cndmask_b32_e32 v92, v92, v36, vcc
	v_cmp_eq_u32_e32 vcc, 16, v0
	v_cndmask_b32_e32 v92, v92, v37, vcc
	v_cmp_eq_u32_e32 vcc, 17, v0
	;; [unrolled: 2-line block ×3, first 2 shown]
	v_cndmask_b32_e32 v92, v92, v39, vcc
	s_waitcnt lgkmcnt(0)
	v_mul_f32_e32 v92, v92, v93
	s_cbranch_execz .LBB18_213
	s_branch .LBB18_214
.LBB18_212:
                                        ; implicit-def: $vgpr92
.LBB18_213:
	ds_read_b32 v92, v91
.LBB18_214:
	s_and_saveexec_b64 s[6:7], s[0:1]
	s_cbranch_execz .LBB18_224
; %bb.215:
	v_add_u32_e32 v93, -5, v0
	v_add_u32_e32 v94, -4, v0
	v_cmp_lt_u32_e32 vcc, 6, v93
	v_mov_b32_e32 v93, 4
	s_and_saveexec_b64 s[0:1], vcc
	s_cbranch_execz .LBB18_219
; %bb.216:
	v_and_b32_e32 v93, -8, v94
	v_sub_u32_e32 v95, 0, v93
	s_mov_b64 s[8:9], 5
	s_movk_i32 s12, 0x60
	s_mov_b64 s[10:11], 0
.LBB18_217:                             ; =>This Inner Loop Header: Depth=1
	s_add_i32 s13, s8, -1
	v_mov_b32_e32 v93, s12
	s_set_gpr_idx_on s13, gpr_idx(SRC0)
	v_mov_b32_e32 v104, v21
	s_set_gpr_idx_off
	s_add_i32 s14, s8, 1
	ds_read_b128 v[96:99], v93
	ds_read_b128 v[100:103], v93 offset:16
	s_set_gpr_idx_on s8, gpr_idx(SRC0)
	v_mov_b32_e32 v105, v21
	s_set_gpr_idx_off
	s_add_i32 s15, s8, 2
	s_set_gpr_idx_on s14, gpr_idx(SRC0)
	v_mov_b32_e32 v106, v21
	s_set_gpr_idx_off
	s_add_i32 s16, s8, 3
	;; [unrolled: 4-line block ×4, first 2 shown]
	s_waitcnt lgkmcnt(1)
	v_fmac_f32_e32 v92, v104, v96
	s_set_gpr_idx_on s17, gpr_idx(SRC0)
	v_mov_b32_e32 v96, v21
	s_set_gpr_idx_off
	s_add_i32 s19, s8, 6
	v_fmac_f32_e32 v92, v105, v97
	s_set_gpr_idx_on s18, gpr_idx(SRC0)
	v_mov_b32_e32 v97, v21
	s_set_gpr_idx_off
	v_fmac_f32_e32 v92, v106, v98
	s_set_gpr_idx_on s19, gpr_idx(SRC0)
	v_mov_b32_e32 v98, v21
	s_set_gpr_idx_off
	v_fmac_f32_e32 v92, v107, v99
	s_add_u32 s8, s8, 8
	s_waitcnt lgkmcnt(0)
	v_fmac_f32_e32 v92, v108, v100
	v_add_u32_e32 v93, s8, v95
	v_fmac_f32_e32 v92, v96, v101
	s_addc_u32 s9, s9, 0
	s_add_i32 s12, s12, 32
	s_add_i32 s13, s8, -1
	v_cmp_eq_u32_e32 vcc, 5, v93
	v_fmac_f32_e32 v92, v97, v102
	v_mov_b32_e32 v93, s13
	s_or_b64 s[10:11], vcc, s[10:11]
	v_fmac_f32_e32 v92, v98, v103
	s_andn2_b64 exec, exec, s[10:11]
	s_cbranch_execnz .LBB18_217
; %bb.218:
	s_or_b64 exec, exec, s[10:11]
.LBB18_219:
	s_or_b64 exec, exec, s[0:1]
	v_and_b32_e32 v40, 7, v94
	v_cmp_ne_u32_e32 vcc, 0, v40
	s_and_saveexec_b64 s[8:9], vcc
	s_cbranch_execz .LBB18_223
; %bb.220:
	v_mov_b32_e32 v41, 0x50
	v_lshl_add_u32 v41, v93, 2, v41
	v_mov_b32_e32 v42, 0
	s_mov_b64 s[10:11], 0
.LBB18_221:                             ; =>This Inner Loop Header: Depth=1
	v_cmp_eq_u32_e32 vcc, 1, v93
	v_cndmask_b32_e32 v43, v21, v22, vcc
	v_add_u32_e32 v40, -1, v40
	v_cmp_eq_u32_e32 vcc, 2, v93
	v_cndmask_b32_e32 v43, v43, v23, vcc
	v_cmp_eq_u32_e32 vcc, 0, v40
	v_cmp_eq_u32_e64 s[0:1], 3, v93
	v_cndmask_b32_e64 v43, v43, v24, s[0:1]
	s_or_b64 s[10:11], vcc, s[10:11]
	v_cmp_eq_u32_e32 vcc, 4, v93
	v_cndmask_b32_e32 v43, v43, v25, vcc
	v_cmp_eq_u32_e32 vcc, 5, v93
	v_cndmask_b32_e32 v43, v43, v26, vcc
	v_cmp_eq_u32_e32 vcc, 6, v93
	v_cndmask_b32_e32 v43, v43, v27, vcc
	v_cmp_eq_u32_e32 vcc, 7, v93
	v_cndmask_b32_e32 v43, v43, v28, vcc
	v_cmp_eq_u32_e32 vcc, 8, v93
	v_cndmask_b32_e32 v43, v43, v29, vcc
	v_cmp_eq_u32_e32 vcc, 9, v93
	v_cndmask_b32_e32 v43, v43, v30, vcc
	v_cmp_eq_u32_e32 vcc, 10, v93
	v_cndmask_b32_e32 v43, v43, v31, vcc
	v_cmp_eq_u32_e32 vcc, 11, v93
	v_cndmask_b32_e32 v43, v43, v32, vcc
	v_cmp_eq_u32_e32 vcc, 12, v93
	v_cndmask_b32_e32 v43, v43, v33, vcc
	v_cmp_eq_u32_e32 vcc, 13, v93
	v_cndmask_b32_e32 v43, v43, v34, vcc
	v_cmp_eq_u32_e32 vcc, 14, v93
	ds_read_b32 v44, v41
	v_cndmask_b32_e32 v43, v43, v35, vcc
	v_cmp_eq_u32_e32 vcc, 15, v93
	v_cndmask_b32_e32 v43, v43, v36, vcc
	v_cmp_eq_u32_e32 vcc, 16, v93
	;; [unrolled: 2-line block ×4, first 2 shown]
	v_add_co_u32_e64 v93, s[0:1], 1, v93
	v_cndmask_b32_e32 v43, v43, v39, vcc
	v_add_u32_e32 v41, 4, v41
	v_addc_co_u32_e64 v42, s[0:1], 0, v42, s[0:1]
	s_waitcnt lgkmcnt(0)
	v_fmac_f32_e32 v92, v43, v44
	s_andn2_b64 exec, exec, s[10:11]
	s_cbranch_execnz .LBB18_221
; %bb.222:
	s_or_b64 exec, exec, s[10:11]
.LBB18_223:
	s_or_b64 exec, exec, s[8:9]
.LBB18_224:
	s_or_b64 exec, exec, s[6:7]
	v_mov_b32_e32 v24, 0
	ds_read_b32 v24, v24 offset:12
	s_waitcnt lgkmcnt(0)
	v_mul_f32_e32 v24, v92, v24
.LBB18_225:
	s_or_b64 exec, exec, s[4:5]
	v_cmp_lt_u32_e64 s[0:1], 2, v0
	ds_write_b32 v91, v23
	s_waitcnt lgkmcnt(0)
	; wave barrier
	s_and_saveexec_b64 s[4:5], s[0:1]
	s_cbranch_execz .LBB18_241
; %bb.226:
	s_andn2_b64 vcc, exec, s[42:43]
	s_cbranch_vccnz .LBB18_228
; %bb.227:
	v_cmp_eq_u32_e32 vcc, 1, v0
	v_cndmask_b32_e32 v92, v21, v22, vcc
	v_cmp_eq_u32_e32 vcc, 2, v0
	v_cndmask_b32_e32 v92, v92, v23, vcc
	;; [unrolled: 2-line block ×14, first 2 shown]
	v_cmp_eq_u32_e32 vcc, 15, v0
	ds_read_b32 v93, v91
	v_cndmask_b32_e32 v92, v92, v36, vcc
	v_cmp_eq_u32_e32 vcc, 16, v0
	v_cndmask_b32_e32 v92, v92, v37, vcc
	v_cmp_eq_u32_e32 vcc, 17, v0
	;; [unrolled: 2-line block ×3, first 2 shown]
	v_cndmask_b32_e32 v92, v92, v39, vcc
	s_waitcnt lgkmcnt(0)
	v_mul_f32_e32 v92, v92, v93
	s_cbranch_execz .LBB18_229
	s_branch .LBB18_230
.LBB18_228:
                                        ; implicit-def: $vgpr92
.LBB18_229:
	ds_read_b32 v92, v91
.LBB18_230:
	s_and_saveexec_b64 s[6:7], s[2:3]
	s_cbranch_execz .LBB18_240
; %bb.231:
	v_add_u32_e32 v93, -4, v0
	v_add_u32_e32 v94, -3, v0
	v_cmp_lt_u32_e32 vcc, 6, v93
	v_mov_b32_e32 v93, 3
	s_and_saveexec_b64 s[2:3], vcc
	s_cbranch_execz .LBB18_235
; %bb.232:
	v_and_b32_e32 v93, -8, v94
	v_sub_u32_e32 v95, 0, v93
	s_mov_b64 s[8:9], 10
	s_movk_i32 s12, 0x5c
	s_mov_b64 s[10:11], 0
.LBB18_233:                             ; =>This Inner Loop Header: Depth=1
	s_add_i32 s13, s8, -7
	v_mov_b32_e32 v93, s12
	s_add_i32 s14, s8, -6
	s_set_gpr_idx_on s13, gpr_idx(SRC0)
	v_mov_b32_e32 v102, v21
	s_set_gpr_idx_off
	ds_read2_b32 v[96:97], v93 offset1:1
	s_add_i32 s15, s8, -5
	s_set_gpr_idx_on s14, gpr_idx(SRC0)
	v_mov_b32_e32 v103, v21
	s_set_gpr_idx_off
	s_add_i32 s16, s8, -4
	s_set_gpr_idx_on s15, gpr_idx(SRC0)
	v_mov_b32_e32 v104, v21
	s_set_gpr_idx_off
	ds_read2_b32 v[98:99], v93 offset0:2 offset1:3
	s_add_i32 s17, s8, -3
	s_set_gpr_idx_on s16, gpr_idx(SRC0)
	v_mov_b32_e32 v105, v21
	s_set_gpr_idx_off
	s_add_i32 s18, s8, -2
	s_set_gpr_idx_on s17, gpr_idx(SRC0)
	v_mov_b32_e32 v106, v21
	s_set_gpr_idx_off
	ds_read2_b32 v[100:101], v93 offset0:4 offset1:5
	s_add_i32 s19, s8, -1
	s_waitcnt lgkmcnt(2)
	v_fmac_f32_e32 v92, v102, v96
	s_set_gpr_idx_on s18, gpr_idx(SRC0)
	v_mov_b32_e32 v102, v21
	s_set_gpr_idx_off
	v_fmac_f32_e32 v92, v103, v97
	s_set_gpr_idx_on s19, gpr_idx(SRC0)
	v_mov_b32_e32 v103, v21
	s_set_gpr_idx_off
	ds_read2_b32 v[96:97], v93 offset0:6 offset1:7
	s_waitcnt lgkmcnt(2)
	v_fmac_f32_e32 v92, v104, v98
	s_set_gpr_idx_on s8, gpr_idx(SRC0)
	v_mov_b32_e32 v98, v21
	s_set_gpr_idx_off
	v_fmac_f32_e32 v92, v105, v99
	s_add_u32 s8, s8, 8
	s_waitcnt lgkmcnt(1)
	v_fmac_f32_e32 v92, v106, v100
	v_add_u32_e32 v93, s8, v95
	v_fmac_f32_e32 v92, v102, v101
	s_addc_u32 s9, s9, 0
	s_add_i32 s12, s12, 32
	s_add_i32 s13, s8, -7
	v_cmp_eq_u32_e32 vcc, 10, v93
	s_waitcnt lgkmcnt(0)
	v_fmac_f32_e32 v92, v103, v96
	v_mov_b32_e32 v93, s13
	s_or_b64 s[10:11], vcc, s[10:11]
	v_fmac_f32_e32 v92, v98, v97
	s_andn2_b64 exec, exec, s[10:11]
	s_cbranch_execnz .LBB18_233
; %bb.234:
	s_or_b64 exec, exec, s[10:11]
.LBB18_235:
	s_or_b64 exec, exec, s[2:3]
	v_and_b32_e32 v40, 7, v94
	v_cmp_ne_u32_e32 vcc, 0, v40
	s_and_saveexec_b64 s[8:9], vcc
	s_cbranch_execz .LBB18_239
; %bb.236:
	v_mov_b32_e32 v41, 0x50
	v_lshl_add_u32 v41, v93, 2, v41
	v_mov_b32_e32 v42, 0
	s_mov_b64 s[10:11], 0
.LBB18_237:                             ; =>This Inner Loop Header: Depth=1
	v_cmp_eq_u32_e32 vcc, 1, v93
	v_cndmask_b32_e32 v43, v21, v22, vcc
	v_add_u32_e32 v40, -1, v40
	v_cmp_eq_u32_e32 vcc, 2, v93
	v_cndmask_b32_e32 v43, v43, v23, vcc
	v_cmp_eq_u32_e32 vcc, 0, v40
	v_cmp_eq_u32_e64 s[2:3], 3, v93
	v_cndmask_b32_e64 v43, v43, v24, s[2:3]
	s_or_b64 s[10:11], vcc, s[10:11]
	v_cmp_eq_u32_e32 vcc, 4, v93
	v_cndmask_b32_e32 v43, v43, v25, vcc
	v_cmp_eq_u32_e32 vcc, 5, v93
	v_cndmask_b32_e32 v43, v43, v26, vcc
	;; [unrolled: 2-line block ×10, first 2 shown]
	v_cmp_eq_u32_e32 vcc, 14, v93
	ds_read_b32 v44, v41
	v_cndmask_b32_e32 v43, v43, v35, vcc
	v_cmp_eq_u32_e32 vcc, 15, v93
	v_cndmask_b32_e32 v43, v43, v36, vcc
	v_cmp_eq_u32_e32 vcc, 16, v93
	v_cndmask_b32_e32 v43, v43, v37, vcc
	v_cmp_eq_u32_e32 vcc, 17, v93
	v_cndmask_b32_e32 v43, v43, v38, vcc
	v_cmp_eq_u32_e32 vcc, 18, v93
	v_add_co_u32_e64 v93, s[2:3], 1, v93
	v_cndmask_b32_e32 v43, v43, v39, vcc
	v_add_u32_e32 v41, 4, v41
	v_addc_co_u32_e64 v42, s[2:3], 0, v42, s[2:3]
	s_waitcnt lgkmcnt(0)
	v_fmac_f32_e32 v92, v43, v44
	s_andn2_b64 exec, exec, s[10:11]
	s_cbranch_execnz .LBB18_237
; %bb.238:
	s_or_b64 exec, exec, s[10:11]
.LBB18_239:
	s_or_b64 exec, exec, s[8:9]
.LBB18_240:
	s_or_b64 exec, exec, s[6:7]
	v_mov_b32_e32 v23, 0
	ds_read_b32 v23, v23 offset:8
	s_waitcnt lgkmcnt(0)
	v_mul_f32_e32 v23, v92, v23
.LBB18_241:
	s_or_b64 exec, exec, s[4:5]
	v_cmp_lt_u32_e64 s[2:3], 1, v0
	ds_write_b32 v91, v22
	s_waitcnt lgkmcnt(0)
	; wave barrier
	s_and_saveexec_b64 s[4:5], s[2:3]
	s_cbranch_execz .LBB18_257
; %bb.242:
	s_andn2_b64 vcc, exec, s[42:43]
	s_cbranch_vccnz .LBB18_244
; %bb.243:
	v_cmp_eq_u32_e32 vcc, 1, v0
	v_cndmask_b32_e32 v92, v21, v22, vcc
	v_cmp_eq_u32_e32 vcc, 2, v0
	v_cndmask_b32_e32 v92, v92, v23, vcc
	;; [unrolled: 2-line block ×14, first 2 shown]
	v_cmp_eq_u32_e32 vcc, 15, v0
	ds_read_b32 v93, v91
	v_cndmask_b32_e32 v92, v92, v36, vcc
	v_cmp_eq_u32_e32 vcc, 16, v0
	v_cndmask_b32_e32 v92, v92, v37, vcc
	v_cmp_eq_u32_e32 vcc, 17, v0
	v_cndmask_b32_e32 v92, v92, v38, vcc
	v_cmp_eq_u32_e32 vcc, 18, v0
	v_cndmask_b32_e32 v92, v92, v39, vcc
	s_waitcnt lgkmcnt(0)
	v_mul_f32_e32 v92, v92, v93
	s_cbranch_execz .LBB18_245
	s_branch .LBB18_246
.LBB18_244:
                                        ; implicit-def: $vgpr92
.LBB18_245:
	ds_read_b32 v92, v91
.LBB18_246:
	s_and_saveexec_b64 s[6:7], s[0:1]
	s_cbranch_execz .LBB18_256
; %bb.247:
	v_add_u32_e32 v93, -3, v0
	v_add_u32_e32 v94, -2, v0
	v_cmp_lt_u32_e32 vcc, 6, v93
	v_mov_b32_e32 v93, 2
	s_and_saveexec_b64 s[0:1], vcc
	s_cbranch_execz .LBB18_251
; %bb.248:
	v_and_b32_e32 v93, -8, v94
	v_sub_u32_e32 v95, 0, v93
	s_mov_b64 s[8:9], 9
	s_movk_i32 s12, 0x58
	s_mov_b64 s[10:11], 0
.LBB18_249:                             ; =>This Inner Loop Header: Depth=1
	s_add_i32 s13, s8, -7
	v_mov_b32_e32 v93, s12
	s_add_i32 s14, s8, -6
	s_set_gpr_idx_on s13, gpr_idx(SRC0)
	v_mov_b32_e32 v104, v21
	s_set_gpr_idx_off
	ds_read2_b64 v[96:99], v93 offset1:1
	s_add_i32 s15, s8, -5
	s_set_gpr_idx_on s14, gpr_idx(SRC0)
	v_mov_b32_e32 v105, v21
	s_set_gpr_idx_off
	s_add_i32 s16, s8, -4
	s_set_gpr_idx_on s15, gpr_idx(SRC0)
	v_mov_b32_e32 v106, v21
	s_set_gpr_idx_off
	;; [unrolled: 4-line block ×4, first 2 shown]
	ds_read2_b64 v[100:103], v93 offset0:2 offset1:3
	s_add_i32 s19, s8, -1
	s_waitcnt lgkmcnt(1)
	v_fmac_f32_e32 v92, v104, v96
	s_set_gpr_idx_on s18, gpr_idx(SRC0)
	v_mov_b32_e32 v96, v21
	s_set_gpr_idx_off
	v_fmac_f32_e32 v92, v105, v97
	s_set_gpr_idx_on s19, gpr_idx(SRC0)
	v_mov_b32_e32 v97, v21
	s_set_gpr_idx_off
	v_fmac_f32_e32 v92, v106, v98
	s_set_gpr_idx_on s8, gpr_idx(SRC0)
	v_mov_b32_e32 v98, v21
	s_set_gpr_idx_off
	v_fmac_f32_e32 v92, v107, v99
	s_add_u32 s8, s8, 8
	s_waitcnt lgkmcnt(0)
	v_fmac_f32_e32 v92, v108, v100
	v_add_u32_e32 v93, s8, v95
	v_fmac_f32_e32 v92, v96, v101
	s_addc_u32 s9, s9, 0
	s_add_i32 s12, s12, 32
	s_add_i32 s13, s8, -7
	v_cmp_eq_u32_e32 vcc, 9, v93
	v_fmac_f32_e32 v92, v97, v102
	v_mov_b32_e32 v93, s13
	s_or_b64 s[10:11], vcc, s[10:11]
	v_fmac_f32_e32 v92, v98, v103
	s_andn2_b64 exec, exec, s[10:11]
	s_cbranch_execnz .LBB18_249
; %bb.250:
	s_or_b64 exec, exec, s[10:11]
.LBB18_251:
	s_or_b64 exec, exec, s[0:1]
	v_and_b32_e32 v40, 7, v94
	v_cmp_ne_u32_e32 vcc, 0, v40
	s_and_saveexec_b64 s[8:9], vcc
	s_cbranch_execz .LBB18_255
; %bb.252:
	v_mov_b32_e32 v41, 0x50
	v_lshl_add_u32 v41, v93, 2, v41
	v_mov_b32_e32 v42, 0
	s_mov_b64 s[10:11], 0
.LBB18_253:                             ; =>This Inner Loop Header: Depth=1
	v_cmp_eq_u32_e32 vcc, 1, v93
	v_cndmask_b32_e32 v43, v21, v22, vcc
	v_add_u32_e32 v40, -1, v40
	v_cmp_eq_u32_e32 vcc, 2, v93
	v_cndmask_b32_e32 v43, v43, v23, vcc
	v_cmp_eq_u32_e32 vcc, 0, v40
	v_cmp_eq_u32_e64 s[0:1], 3, v93
	v_cndmask_b32_e64 v43, v43, v24, s[0:1]
	s_or_b64 s[10:11], vcc, s[10:11]
	v_cmp_eq_u32_e32 vcc, 4, v93
	v_cndmask_b32_e32 v43, v43, v25, vcc
	v_cmp_eq_u32_e32 vcc, 5, v93
	v_cndmask_b32_e32 v43, v43, v26, vcc
	;; [unrolled: 2-line block ×10, first 2 shown]
	v_cmp_eq_u32_e32 vcc, 14, v93
	ds_read_b32 v44, v41
	v_cndmask_b32_e32 v43, v43, v35, vcc
	v_cmp_eq_u32_e32 vcc, 15, v93
	v_cndmask_b32_e32 v43, v43, v36, vcc
	v_cmp_eq_u32_e32 vcc, 16, v93
	;; [unrolled: 2-line block ×4, first 2 shown]
	v_add_co_u32_e64 v93, s[0:1], 1, v93
	v_cndmask_b32_e32 v43, v43, v39, vcc
	v_add_u32_e32 v41, 4, v41
	v_addc_co_u32_e64 v42, s[0:1], 0, v42, s[0:1]
	s_waitcnt lgkmcnt(0)
	v_fmac_f32_e32 v92, v43, v44
	s_andn2_b64 exec, exec, s[10:11]
	s_cbranch_execnz .LBB18_253
; %bb.254:
	s_or_b64 exec, exec, s[10:11]
.LBB18_255:
	s_or_b64 exec, exec, s[8:9]
.LBB18_256:
	s_or_b64 exec, exec, s[6:7]
	v_mov_b32_e32 v22, 0
	ds_read_b32 v22, v22 offset:4
	s_waitcnt lgkmcnt(0)
	v_mul_f32_e32 v22, v92, v22
.LBB18_257:
	s_or_b64 exec, exec, s[4:5]
	v_cmp_ne_u32_e32 vcc, 0, v0
	ds_write_b32 v91, v21
	s_waitcnt lgkmcnt(0)
	; wave barrier
	s_and_saveexec_b64 s[4:5], vcc
	s_cbranch_execz .LBB18_273
; %bb.258:
	s_andn2_b64 vcc, exec, s[42:43]
	s_cbranch_vccnz .LBB18_260
; %bb.259:
	v_cmp_eq_u32_e32 vcc, 1, v0
	v_cndmask_b32_e32 v92, v21, v22, vcc
	v_cmp_eq_u32_e32 vcc, 2, v0
	v_cndmask_b32_e32 v92, v92, v23, vcc
	v_cmp_eq_u32_e32 vcc, 3, v0
	v_cndmask_b32_e32 v92, v92, v24, vcc
	v_cmp_eq_u32_e32 vcc, 4, v0
	v_cndmask_b32_e32 v92, v92, v25, vcc
	v_cmp_eq_u32_e32 vcc, 5, v0
	v_cndmask_b32_e32 v92, v92, v26, vcc
	v_cmp_eq_u32_e32 vcc, 6, v0
	v_cndmask_b32_e32 v92, v92, v27, vcc
	v_cmp_eq_u32_e32 vcc, 7, v0
	v_cndmask_b32_e32 v92, v92, v28, vcc
	v_cmp_eq_u32_e32 vcc, 8, v0
	v_cndmask_b32_e32 v92, v92, v29, vcc
	v_cmp_eq_u32_e32 vcc, 9, v0
	v_cndmask_b32_e32 v92, v92, v30, vcc
	v_cmp_eq_u32_e32 vcc, 10, v0
	v_cndmask_b32_e32 v92, v92, v31, vcc
	v_cmp_eq_u32_e32 vcc, 11, v0
	v_cndmask_b32_e32 v92, v92, v32, vcc
	v_cmp_eq_u32_e32 vcc, 12, v0
	v_cndmask_b32_e32 v92, v92, v33, vcc
	v_cmp_eq_u32_e32 vcc, 13, v0
	v_cndmask_b32_e32 v92, v92, v34, vcc
	v_cmp_eq_u32_e32 vcc, 14, v0
	v_cndmask_b32_e32 v92, v92, v35, vcc
	v_cmp_eq_u32_e32 vcc, 15, v0
	ds_read_b32 v93, v91
	v_cndmask_b32_e32 v92, v92, v36, vcc
	v_cmp_eq_u32_e32 vcc, 16, v0
	v_cndmask_b32_e32 v92, v92, v37, vcc
	v_cmp_eq_u32_e32 vcc, 17, v0
	;; [unrolled: 2-line block ×3, first 2 shown]
	v_cndmask_b32_e32 v92, v92, v39, vcc
	s_waitcnt lgkmcnt(0)
	v_mul_f32_e32 v92, v92, v93
	s_cbranch_execz .LBB18_261
	s_branch .LBB18_262
.LBB18_260:
                                        ; implicit-def: $vgpr92
.LBB18_261:
	ds_read_b32 v92, v91
.LBB18_262:
	s_and_saveexec_b64 s[6:7], s[2:3]
	s_cbranch_execz .LBB18_272
; %bb.263:
	v_add_u32_e32 v93, -2, v0
	v_add_u32_e32 v94, -1, v0
	v_cmp_lt_u32_e32 vcc, 6, v93
	v_mov_b32_e32 v93, 1
	s_and_saveexec_b64 s[0:1], vcc
	s_cbranch_execz .LBB18_267
; %bb.264:
	v_and_b32_e32 v93, -8, v94
	v_sub_u32_e32 v95, 0, v93
	s_mov_b64 s[2:3], 8
	s_movk_i32 s10, 0x54
	s_mov_b64 s[8:9], 0
.LBB18_265:                             ; =>This Inner Loop Header: Depth=1
	s_add_i32 s11, s2, -7
	v_mov_b32_e32 v93, s10
	s_add_i32 s12, s2, -6
	s_set_gpr_idx_on s11, gpr_idx(SRC0)
	v_mov_b32_e32 v102, v21
	s_set_gpr_idx_off
	ds_read2_b32 v[96:97], v93 offset1:1
	s_add_i32 s13, s2, -5
	s_set_gpr_idx_on s12, gpr_idx(SRC0)
	v_mov_b32_e32 v103, v21
	s_set_gpr_idx_off
	s_add_i32 s14, s2, -4
	s_set_gpr_idx_on s13, gpr_idx(SRC0)
	v_mov_b32_e32 v104, v21
	s_set_gpr_idx_off
	ds_read2_b32 v[98:99], v93 offset0:2 offset1:3
	s_add_i32 s15, s2, -3
	s_set_gpr_idx_on s14, gpr_idx(SRC0)
	v_mov_b32_e32 v105, v21
	s_set_gpr_idx_off
	s_add_i32 s16, s2, -2
	s_set_gpr_idx_on s15, gpr_idx(SRC0)
	v_mov_b32_e32 v106, v21
	s_set_gpr_idx_off
	ds_read2_b32 v[100:101], v93 offset0:4 offset1:5
	s_add_i32 s17, s2, -1
	s_waitcnt lgkmcnt(2)
	v_fmac_f32_e32 v92, v102, v96
	s_set_gpr_idx_on s16, gpr_idx(SRC0)
	v_mov_b32_e32 v102, v21
	s_set_gpr_idx_off
	v_fmac_f32_e32 v92, v103, v97
	s_set_gpr_idx_on s17, gpr_idx(SRC0)
	v_mov_b32_e32 v103, v21
	s_set_gpr_idx_off
	ds_read2_b32 v[96:97], v93 offset0:6 offset1:7
	s_waitcnt lgkmcnt(2)
	v_fmac_f32_e32 v92, v104, v98
	s_set_gpr_idx_on s2, gpr_idx(SRC0)
	v_mov_b32_e32 v98, v21
	s_set_gpr_idx_off
	v_fmac_f32_e32 v92, v105, v99
	s_add_u32 s2, s2, 8
	s_waitcnt lgkmcnt(1)
	v_fmac_f32_e32 v92, v106, v100
	v_add_u32_e32 v93, s2, v95
	v_fmac_f32_e32 v92, v102, v101
	s_addc_u32 s3, s3, 0
	s_add_i32 s10, s10, 32
	s_add_i32 s11, s2, -7
	v_cmp_eq_u32_e32 vcc, 8, v93
	s_waitcnt lgkmcnt(0)
	v_fmac_f32_e32 v92, v103, v96
	v_mov_b32_e32 v93, s11
	s_or_b64 s[8:9], vcc, s[8:9]
	v_fmac_f32_e32 v92, v98, v97
	s_andn2_b64 exec, exec, s[8:9]
	s_cbranch_execnz .LBB18_265
; %bb.266:
	s_or_b64 exec, exec, s[8:9]
.LBB18_267:
	s_or_b64 exec, exec, s[0:1]
	v_and_b32_e32 v40, 7, v94
	v_cmp_ne_u32_e32 vcc, 0, v40
	s_and_saveexec_b64 s[2:3], vcc
	s_cbranch_execz .LBB18_271
; %bb.268:
	v_mov_b32_e32 v41, 0x50
	v_lshl_add_u32 v41, v93, 2, v41
	v_mov_b32_e32 v42, 0
	s_mov_b64 s[8:9], 0
.LBB18_269:                             ; =>This Inner Loop Header: Depth=1
	v_cmp_eq_u32_e32 vcc, 1, v93
	v_cndmask_b32_e32 v43, v21, v22, vcc
	v_add_u32_e32 v40, -1, v40
	v_cmp_eq_u32_e32 vcc, 2, v93
	v_cndmask_b32_e32 v43, v43, v23, vcc
	v_cmp_eq_u32_e32 vcc, 0, v40
	v_cmp_eq_u32_e64 s[0:1], 3, v93
	v_cndmask_b32_e64 v43, v43, v24, s[0:1]
	s_or_b64 s[8:9], vcc, s[8:9]
	v_cmp_eq_u32_e32 vcc, 4, v93
	v_cndmask_b32_e32 v43, v43, v25, vcc
	v_cmp_eq_u32_e32 vcc, 5, v93
	v_cndmask_b32_e32 v43, v43, v26, vcc
	;; [unrolled: 2-line block ×10, first 2 shown]
	v_cmp_eq_u32_e32 vcc, 14, v93
	ds_read_b32 v44, v41
	v_cndmask_b32_e32 v43, v43, v35, vcc
	v_cmp_eq_u32_e32 vcc, 15, v93
	v_cndmask_b32_e32 v43, v43, v36, vcc
	v_cmp_eq_u32_e32 vcc, 16, v93
	v_cndmask_b32_e32 v43, v43, v37, vcc
	v_cmp_eq_u32_e32 vcc, 17, v93
	v_cndmask_b32_e32 v43, v43, v38, vcc
	v_cmp_eq_u32_e32 vcc, 18, v93
	v_add_co_u32_e64 v93, s[0:1], 1, v93
	v_cndmask_b32_e32 v43, v43, v39, vcc
	v_add_u32_e32 v41, 4, v41
	v_addc_co_u32_e64 v42, s[0:1], 0, v42, s[0:1]
	s_waitcnt lgkmcnt(0)
	v_fmac_f32_e32 v92, v43, v44
	s_andn2_b64 exec, exec, s[8:9]
	s_cbranch_execnz .LBB18_269
; %bb.270:
	s_or_b64 exec, exec, s[8:9]
.LBB18_271:
	s_or_b64 exec, exec, s[2:3]
.LBB18_272:
	s_or_b64 exec, exec, s[6:7]
	v_mov_b32_e32 v21, 0
	ds_read_b32 v21, v21
	s_waitcnt lgkmcnt(0)
	v_mul_f32_e32 v21, v92, v21
.LBB18_273:
	s_or_b64 exec, exec, s[4:5]
	s_branch .LBB18_457
.LBB18_274:
	v_cmp_eq_u32_e64 s[2:3], 0, v0
	s_waitcnt vmcnt(18)
	ds_write_b32 v91, v3
	s_waitcnt lgkmcnt(0)
	; wave barrier
	s_and_saveexec_b64 s[0:1], s[2:3]
	s_cbranch_execz .LBB18_280
; %bb.275:
	s_and_b64 vcc, exec, s[42:43]
	s_cbranch_vccz .LBB18_277
; %bb.276:
	v_cmp_eq_u32_e32 vcc, 1, v0
	s_waitcnt vmcnt(2)
	v_cndmask_b32_e32 v3, v2, v3, vcc
	v_cmp_eq_u32_e32 vcc, 2, v0
	v_cndmask_b32_e32 v3, v3, v4, vcc
	v_cmp_eq_u32_e32 vcc, 3, v0
	;; [unrolled: 2-line block ×14, first 2 shown]
	ds_read_b32 v21, v91
	v_cndmask_b32_e32 v3, v3, v17, vcc
	v_cmp_eq_u32_e32 vcc, 16, v0
	v_cndmask_b32_e32 v3, v3, v18, vcc
	v_cmp_eq_u32_e32 vcc, 17, v0
	s_waitcnt vmcnt(1)
	v_cndmask_b32_e32 v3, v3, v19, vcc
	v_cmp_eq_u32_e32 vcc, 18, v0
	s_waitcnt vmcnt(0)
	v_cndmask_b32_e32 v3, v3, v20, vcc
	s_waitcnt lgkmcnt(0)
	v_mul_f32_e32 v3, v3, v21
	s_cbranch_execz .LBB18_278
	s_branch .LBB18_279
.LBB18_277:
                                        ; implicit-def: $vgpr3
.LBB18_278:
	ds_read_b32 v3, v91
.LBB18_279:
	v_mov_b32_e32 v21, 0
	ds_read_b32 v21, v21 offset:4
	s_waitcnt lgkmcnt(0)
	v_mul_f32_e32 v3, v3, v21
.LBB18_280:
	s_or_b64 exec, exec, s[0:1]
	v_cndmask_b32_e64 v21, 0, 1, s[42:43]
	v_cmp_gt_u32_e32 vcc, 2, v0
	v_cmp_ne_u32_e64 s[0:1], 1, v21
	s_waitcnt vmcnt(17)
	ds_write_b32 v91, v4
	s_waitcnt lgkmcnt(0)
	; wave barrier
	s_and_saveexec_b64 s[4:5], vcc
	s_cbranch_execz .LBB18_286
; %bb.281:
	s_and_b64 vcc, exec, s[0:1]
	s_cbranch_vccnz .LBB18_283
; %bb.282:
	v_cmp_eq_u32_e32 vcc, 1, v0
	s_waitcnt vmcnt(2)
	v_cndmask_b32_e32 v21, v2, v3, vcc
	v_cmp_eq_u32_e32 vcc, 2, v0
	v_cndmask_b32_e32 v4, v21, v4, vcc
	v_cmp_eq_u32_e32 vcc, 3, v0
	;; [unrolled: 2-line block ×14, first 2 shown]
	ds_read_b32 v21, v91
	v_cndmask_b32_e32 v4, v4, v17, vcc
	v_cmp_eq_u32_e32 vcc, 16, v0
	v_cndmask_b32_e32 v4, v4, v18, vcc
	v_cmp_eq_u32_e32 vcc, 17, v0
	s_waitcnt vmcnt(1)
	v_cndmask_b32_e32 v4, v4, v19, vcc
	v_cmp_eq_u32_e32 vcc, 18, v0
	s_waitcnt vmcnt(0)
	v_cndmask_b32_e32 v4, v4, v20, vcc
	s_waitcnt lgkmcnt(0)
	v_mul_f32_e32 v4, v4, v21
	s_cbranch_execz .LBB18_284
	s_branch .LBB18_285
.LBB18_283:
                                        ; implicit-def: $vgpr4
.LBB18_284:
	ds_read_b32 v4, v91
.LBB18_285:
	v_mov_b32_e32 v21, 0
	ds_read2_b32 v[21:22], v21 offset0:2 offset1:21
	s_waitcnt lgkmcnt(0)
	v_fma_f32 v22, v3, v22, v4
	v_cndmask_b32_e64 v4, v4, v22, s[2:3]
	v_mul_f32_e32 v4, v4, v21
.LBB18_286:
	s_or_b64 exec, exec, s[4:5]
	v_add_u32_e32 v23, 1, v0
	v_cmp_gt_u32_e64 s[4:5], 3, v0
	s_waitcnt vmcnt(16)
	ds_write_b32 v91, v5
	s_waitcnt lgkmcnt(0)
	; wave barrier
	s_and_saveexec_b64 s[6:7], s[4:5]
	s_cbranch_execz .LBB18_294
; %bb.287:
	s_and_b64 vcc, exec, s[0:1]
	s_cbranch_vccnz .LBB18_289
; %bb.288:
	v_cmp_eq_u32_e32 vcc, 1, v0
	s_waitcnt vmcnt(2)
	v_cndmask_b32_e32 v21, v2, v3, vcc
	v_cmp_eq_u32_e32 vcc, 2, v0
	v_cndmask_b32_e32 v21, v21, v4, vcc
	v_cmp_eq_u32_e32 vcc, 3, v0
	;; [unrolled: 2-line block ×14, first 2 shown]
	ds_read_b32 v22, v91
	v_cndmask_b32_e32 v21, v21, v17, vcc
	v_cmp_eq_u32_e32 vcc, 16, v0
	v_cndmask_b32_e32 v21, v21, v18, vcc
	v_cmp_eq_u32_e32 vcc, 17, v0
	s_waitcnt vmcnt(1)
	v_cndmask_b32_e32 v21, v21, v19, vcc
	v_cmp_eq_u32_e32 vcc, 18, v0
	s_waitcnt vmcnt(0)
	v_cndmask_b32_e32 v21, v21, v20, vcc
	s_waitcnt lgkmcnt(0)
	v_mul_f32_e32 v21, v21, v22
	s_cbranch_execz .LBB18_290
	s_branch .LBB18_291
.LBB18_289:
                                        ; implicit-def: $vgpr21
.LBB18_290:
	ds_read_b32 v21, v91
.LBB18_291:
	v_cmp_ne_u32_e32 vcc, 2, v0
	s_and_saveexec_b64 s[8:9], vcc
	s_cbranch_execz .LBB18_293
; %bb.292:
	v_cmp_eq_u32_e32 vcc, 1, v23
	s_waitcnt vmcnt(2)
	v_cndmask_b32_e32 v22, v2, v3, vcc
	v_cmp_eq_u32_e32 vcc, 2, v23
	v_cndmask_b32_e32 v22, v22, v4, vcc
	v_cmp_eq_u32_e32 vcc, 3, v23
	;; [unrolled: 2-line block ×14, first 2 shown]
	v_mov_b32_e32 v22, 0
	v_cndmask_b32_e32 v5, v5, v17, vcc
	v_cmp_eq_u32_e32 vcc, 16, v23
	ds_read_b32 v24, v91 offset:4
	ds_read_b32 v22, v22 offset:88
	v_cndmask_b32_e32 v5, v5, v18, vcc
	v_cmp_eq_u32_e32 vcc, 17, v23
	s_waitcnt vmcnt(1)
	v_cndmask_b32_e32 v5, v5, v19, vcc
	v_cmp_eq_u32_e32 vcc, 18, v23
	s_waitcnt vmcnt(0)
	v_cndmask_b32_e32 v5, v5, v20, vcc
	s_waitcnt lgkmcnt(1)
	v_fmac_f32_e32 v21, v5, v24
	s_waitcnt lgkmcnt(0)
	v_fma_f32 v5, v4, v22, v21
	v_cndmask_b32_e64 v21, v21, v5, s[2:3]
.LBB18_293:
	s_or_b64 exec, exec, s[8:9]
	v_mov_b32_e32 v5, 0
	ds_read_b32 v5, v5 offset:12
	s_waitcnt lgkmcnt(0)
	v_mul_f32_e32 v5, v21, v5
.LBB18_294:
	s_or_b64 exec, exec, s[6:7]
	v_cmp_gt_u32_e32 vcc, 4, v0
	s_waitcnt vmcnt(15)
	ds_write_b32 v91, v6
	s_waitcnt lgkmcnt(0)
	; wave barrier
	s_and_saveexec_b64 s[8:9], vcc
	s_cbranch_execz .LBB18_304
; %bb.295:
	s_and_b64 vcc, exec, s[0:1]
	s_cbranch_vccnz .LBB18_297
; %bb.296:
	v_cmp_eq_u32_e32 vcc, 1, v0
	s_waitcnt vmcnt(2)
	v_cndmask_b32_e32 v21, v2, v3, vcc
	v_cmp_eq_u32_e32 vcc, 2, v0
	v_cndmask_b32_e32 v21, v21, v4, vcc
	v_cmp_eq_u32_e32 vcc, 3, v0
	;; [unrolled: 2-line block ×14, first 2 shown]
	ds_read_b32 v22, v91
	v_cndmask_b32_e32 v21, v21, v17, vcc
	v_cmp_eq_u32_e32 vcc, 16, v0
	v_cndmask_b32_e32 v21, v21, v18, vcc
	v_cmp_eq_u32_e32 vcc, 17, v0
	s_waitcnt vmcnt(1)
	v_cndmask_b32_e32 v21, v21, v19, vcc
	v_cmp_eq_u32_e32 vcc, 18, v0
	s_waitcnt vmcnt(0)
	v_cndmask_b32_e32 v21, v21, v20, vcc
	s_waitcnt lgkmcnt(0)
	v_mul_f32_e32 v24, v21, v22
	s_cbranch_execz .LBB18_298
	s_branch .LBB18_299
.LBB18_297:
                                        ; implicit-def: $vgpr24
.LBB18_298:
	ds_read_b32 v24, v91
.LBB18_299:
	v_cmp_ne_u32_e32 vcc, 3, v0
	s_and_saveexec_b64 s[10:11], vcc
	s_cbranch_execz .LBB18_303
; %bb.300:
	v_mov_b32_e32 v21, 0x54
	v_lshl_add_u32 v25, v0, 2, v21
	v_mov_b32_e32 v22, v1
	s_mov_b64 s[12:13], 0
	v_mov_b32_e32 v21, v0
.LBB18_301:                             ; =>This Inner Loop Header: Depth=1
	v_add_co_u32_e32 v21, vcc, 1, v21
	v_addc_co_u32_e32 v22, vcc, 0, v22, vcc
	v_cmp_eq_u32_e32 vcc, 1, v21
	s_waitcnt vmcnt(2)
	v_cndmask_b32_e32 v27, v2, v3, vcc
	v_cmp_lt_u32_e32 vcc, 2, v21
	v_cmp_eq_u32_e64 s[6:7], 2, v21
	v_cndmask_b32_e64 v27, v27, v4, s[6:7]
	s_or_b64 s[12:13], vcc, s[12:13]
	v_cmp_eq_u32_e32 vcc, 3, v21
	v_cndmask_b32_e32 v27, v27, v5, vcc
	v_cmp_eq_u32_e32 vcc, 4, v21
	v_cndmask_b32_e32 v27, v27, v6, vcc
	;; [unrolled: 2-line block ×11, first 2 shown]
	v_cmp_eq_u32_e32 vcc, 14, v21
	ds_read_b32 v26, v25
	v_cndmask_b32_e32 v27, v27, v16, vcc
	v_cmp_eq_u32_e32 vcc, 15, v21
	v_cndmask_b32_e32 v27, v27, v17, vcc
	v_cmp_eq_u32_e32 vcc, 16, v21
	;; [unrolled: 2-line block ×3, first 2 shown]
	s_waitcnt vmcnt(1)
	v_cndmask_b32_e32 v27, v27, v19, vcc
	v_cmp_eq_u32_e32 vcc, 18, v21
	s_waitcnt vmcnt(0)
	v_cndmask_b32_e32 v27, v27, v20, vcc
	v_add_u32_e32 v25, 4, v25
	s_waitcnt lgkmcnt(0)
	v_fmac_f32_e32 v24, v27, v26
	s_andn2_b64 exec, exec, s[12:13]
	s_cbranch_execnz .LBB18_301
; %bb.302:
	s_or_b64 exec, exec, s[12:13]
.LBB18_303:
	s_or_b64 exec, exec, s[10:11]
	v_mov_b32_e32 v6, 0
	ds_read_b32 v6, v6 offset:16
	s_waitcnt lgkmcnt(0)
	v_mul_f32_e32 v6, v24, v6
.LBB18_304:
	s_or_b64 exec, exec, s[8:9]
	v_cmp_gt_u32_e64 s[6:7], 5, v0
	s_waitcnt vmcnt(14)
	ds_write_b32 v91, v7
	s_waitcnt lgkmcnt(0)
	; wave barrier
	s_and_saveexec_b64 s[10:11], s[6:7]
	s_cbranch_execz .LBB18_314
; %bb.305:
	s_and_b64 vcc, exec, s[0:1]
	s_cbranch_vccnz .LBB18_307
; %bb.306:
	v_cmp_eq_u32_e32 vcc, 1, v0
	s_waitcnt vmcnt(2)
	v_cndmask_b32_e32 v21, v2, v3, vcc
	v_cmp_eq_u32_e32 vcc, 2, v0
	v_cndmask_b32_e32 v21, v21, v4, vcc
	v_cmp_eq_u32_e32 vcc, 3, v0
	v_cndmask_b32_e32 v21, v21, v5, vcc
	v_cmp_eq_u32_e32 vcc, 4, v0
	v_cndmask_b32_e32 v21, v21, v6, vcc
	v_cmp_eq_u32_e32 vcc, 5, v0
	v_cndmask_b32_e32 v21, v21, v7, vcc
	v_cmp_eq_u32_e32 vcc, 6, v0
	v_cndmask_b32_e32 v21, v21, v8, vcc
	v_cmp_eq_u32_e32 vcc, 7, v0
	v_cndmask_b32_e32 v21, v21, v9, vcc
	v_cmp_eq_u32_e32 vcc, 8, v0
	v_cndmask_b32_e32 v21, v21, v10, vcc
	v_cmp_eq_u32_e32 vcc, 9, v0
	v_cndmask_b32_e32 v21, v21, v11, vcc
	v_cmp_eq_u32_e32 vcc, 10, v0
	v_cndmask_b32_e32 v21, v21, v12, vcc
	v_cmp_eq_u32_e32 vcc, 11, v0
	v_cndmask_b32_e32 v21, v21, v13, vcc
	v_cmp_eq_u32_e32 vcc, 12, v0
	v_cndmask_b32_e32 v21, v21, v14, vcc
	v_cmp_eq_u32_e32 vcc, 13, v0
	v_cndmask_b32_e32 v21, v21, v15, vcc
	v_cmp_eq_u32_e32 vcc, 14, v0
	v_cndmask_b32_e32 v21, v21, v16, vcc
	v_cmp_eq_u32_e32 vcc, 15, v0
	ds_read_b32 v22, v91
	v_cndmask_b32_e32 v21, v21, v17, vcc
	v_cmp_eq_u32_e32 vcc, 16, v0
	v_cndmask_b32_e32 v21, v21, v18, vcc
	v_cmp_eq_u32_e32 vcc, 17, v0
	s_waitcnt vmcnt(1)
	v_cndmask_b32_e32 v21, v21, v19, vcc
	v_cmp_eq_u32_e32 vcc, 18, v0
	s_waitcnt vmcnt(0)
	v_cndmask_b32_e32 v21, v21, v20, vcc
	s_waitcnt lgkmcnt(0)
	v_mul_f32_e32 v24, v21, v22
	s_cbranch_execz .LBB18_308
	s_branch .LBB18_309
.LBB18_307:
                                        ; implicit-def: $vgpr24
.LBB18_308:
	ds_read_b32 v24, v91
.LBB18_309:
	v_cmp_ne_u32_e32 vcc, 4, v0
	s_and_saveexec_b64 s[12:13], vcc
	s_cbranch_execz .LBB18_313
; %bb.310:
	v_mov_b32_e32 v21, 0x54
	v_lshl_add_u32 v25, v0, 2, v21
	v_mov_b32_e32 v22, v1
	s_mov_b64 s[14:15], 0
	v_mov_b32_e32 v21, v0
.LBB18_311:                             ; =>This Inner Loop Header: Depth=1
	v_add_co_u32_e32 v21, vcc, 1, v21
	v_addc_co_u32_e32 v22, vcc, 0, v22, vcc
	v_cmp_eq_u32_e32 vcc, 1, v21
	s_waitcnt vmcnt(2)
	v_cndmask_b32_e32 v27, v2, v3, vcc
	v_cmp_lt_u32_e32 vcc, 3, v21
	v_cmp_eq_u32_e64 s[8:9], 2, v21
	v_cndmask_b32_e64 v27, v27, v4, s[8:9]
	s_or_b64 s[14:15], vcc, s[14:15]
	v_cmp_eq_u32_e32 vcc, 3, v21
	v_cndmask_b32_e32 v27, v27, v5, vcc
	v_cmp_eq_u32_e32 vcc, 4, v21
	v_cndmask_b32_e32 v27, v27, v6, vcc
	;; [unrolled: 2-line block ×11, first 2 shown]
	v_cmp_eq_u32_e32 vcc, 14, v21
	ds_read_b32 v26, v25
	v_cndmask_b32_e32 v27, v27, v16, vcc
	v_cmp_eq_u32_e32 vcc, 15, v21
	v_cndmask_b32_e32 v27, v27, v17, vcc
	v_cmp_eq_u32_e32 vcc, 16, v21
	;; [unrolled: 2-line block ×3, first 2 shown]
	s_waitcnt vmcnt(1)
	v_cndmask_b32_e32 v27, v27, v19, vcc
	v_cmp_eq_u32_e32 vcc, 18, v21
	s_waitcnt vmcnt(0)
	v_cndmask_b32_e32 v27, v27, v20, vcc
	v_add_u32_e32 v25, 4, v25
	s_waitcnt lgkmcnt(0)
	v_fmac_f32_e32 v24, v27, v26
	s_andn2_b64 exec, exec, s[14:15]
	s_cbranch_execnz .LBB18_311
; %bb.312:
	s_or_b64 exec, exec, s[14:15]
.LBB18_313:
	s_or_b64 exec, exec, s[12:13]
	v_mov_b32_e32 v7, 0
	ds_read_b32 v7, v7 offset:20
	s_waitcnt lgkmcnt(0)
	v_mul_f32_e32 v7, v24, v7
.LBB18_314:
	s_or_b64 exec, exec, s[10:11]
	v_cmp_gt_u32_e32 vcc, 6, v0
	s_waitcnt vmcnt(13)
	ds_write_b32 v91, v8
	s_waitcnt lgkmcnt(0)
	; wave barrier
	s_and_saveexec_b64 s[10:11], vcc
	s_cbranch_execz .LBB18_324
; %bb.315:
	s_and_b64 vcc, exec, s[0:1]
	s_cbranch_vccnz .LBB18_317
; %bb.316:
	v_cmp_eq_u32_e32 vcc, 1, v0
	s_waitcnt vmcnt(2)
	v_cndmask_b32_e32 v21, v2, v3, vcc
	v_cmp_eq_u32_e32 vcc, 2, v0
	v_cndmask_b32_e32 v21, v21, v4, vcc
	v_cmp_eq_u32_e32 vcc, 3, v0
	;; [unrolled: 2-line block ×14, first 2 shown]
	ds_read_b32 v22, v91
	v_cndmask_b32_e32 v21, v21, v17, vcc
	v_cmp_eq_u32_e32 vcc, 16, v0
	v_cndmask_b32_e32 v21, v21, v18, vcc
	v_cmp_eq_u32_e32 vcc, 17, v0
	s_waitcnt vmcnt(1)
	v_cndmask_b32_e32 v21, v21, v19, vcc
	v_cmp_eq_u32_e32 vcc, 18, v0
	s_waitcnt vmcnt(0)
	v_cndmask_b32_e32 v21, v21, v20, vcc
	s_waitcnt lgkmcnt(0)
	v_mul_f32_e32 v24, v21, v22
	s_cbranch_execz .LBB18_318
	s_branch .LBB18_319
.LBB18_317:
                                        ; implicit-def: $vgpr24
.LBB18_318:
	ds_read_b32 v24, v91
.LBB18_319:
	v_cmp_ne_u32_e32 vcc, 5, v0
	s_and_saveexec_b64 s[12:13], vcc
	s_cbranch_execz .LBB18_323
; %bb.320:
	v_mov_b32_e32 v21, 0x54
	v_lshl_add_u32 v25, v0, 2, v21
	v_mov_b32_e32 v22, v1
	s_mov_b64 s[14:15], 0
	v_mov_b32_e32 v21, v0
.LBB18_321:                             ; =>This Inner Loop Header: Depth=1
	v_add_co_u32_e32 v21, vcc, 1, v21
	v_addc_co_u32_e32 v22, vcc, 0, v22, vcc
	v_cmp_eq_u32_e32 vcc, 1, v21
	s_waitcnt vmcnt(2)
	v_cndmask_b32_e32 v27, v2, v3, vcc
	v_cmp_lt_u32_e32 vcc, 4, v21
	v_cmp_eq_u32_e64 s[8:9], 2, v21
	v_cndmask_b32_e64 v27, v27, v4, s[8:9]
	s_or_b64 s[14:15], vcc, s[14:15]
	v_cmp_eq_u32_e32 vcc, 3, v21
	v_cndmask_b32_e32 v27, v27, v5, vcc
	v_cmp_eq_u32_e32 vcc, 4, v21
	v_cndmask_b32_e32 v27, v27, v6, vcc
	;; [unrolled: 2-line block ×11, first 2 shown]
	v_cmp_eq_u32_e32 vcc, 14, v21
	ds_read_b32 v26, v25
	v_cndmask_b32_e32 v27, v27, v16, vcc
	v_cmp_eq_u32_e32 vcc, 15, v21
	v_cndmask_b32_e32 v27, v27, v17, vcc
	v_cmp_eq_u32_e32 vcc, 16, v21
	;; [unrolled: 2-line block ×3, first 2 shown]
	s_waitcnt vmcnt(1)
	v_cndmask_b32_e32 v27, v27, v19, vcc
	v_cmp_eq_u32_e32 vcc, 18, v21
	s_waitcnt vmcnt(0)
	v_cndmask_b32_e32 v27, v27, v20, vcc
	v_add_u32_e32 v25, 4, v25
	s_waitcnt lgkmcnt(0)
	v_fmac_f32_e32 v24, v27, v26
	s_andn2_b64 exec, exec, s[14:15]
	s_cbranch_execnz .LBB18_321
; %bb.322:
	s_or_b64 exec, exec, s[14:15]
.LBB18_323:
	s_or_b64 exec, exec, s[12:13]
	v_mov_b32_e32 v8, 0
	ds_read_b32 v8, v8 offset:24
	s_waitcnt lgkmcnt(0)
	v_mul_f32_e32 v8, v24, v8
.LBB18_324:
	s_or_b64 exec, exec, s[10:11]
	v_cmp_gt_u32_e64 s[8:9], 7, v0
	s_waitcnt vmcnt(12)
	ds_write_b32 v91, v9
	s_waitcnt lgkmcnt(0)
	; wave barrier
	s_and_saveexec_b64 s[12:13], s[8:9]
	s_cbranch_execz .LBB18_334
; %bb.325:
	s_and_b64 vcc, exec, s[0:1]
	s_cbranch_vccnz .LBB18_327
; %bb.326:
	v_cmp_eq_u32_e32 vcc, 1, v0
	s_waitcnt vmcnt(2)
	v_cndmask_b32_e32 v21, v2, v3, vcc
	v_cmp_eq_u32_e32 vcc, 2, v0
	v_cndmask_b32_e32 v21, v21, v4, vcc
	v_cmp_eq_u32_e32 vcc, 3, v0
	;; [unrolled: 2-line block ×14, first 2 shown]
	ds_read_b32 v22, v91
	v_cndmask_b32_e32 v21, v21, v17, vcc
	v_cmp_eq_u32_e32 vcc, 16, v0
	v_cndmask_b32_e32 v21, v21, v18, vcc
	v_cmp_eq_u32_e32 vcc, 17, v0
	s_waitcnt vmcnt(1)
	v_cndmask_b32_e32 v21, v21, v19, vcc
	v_cmp_eq_u32_e32 vcc, 18, v0
	s_waitcnt vmcnt(0)
	v_cndmask_b32_e32 v21, v21, v20, vcc
	s_waitcnt lgkmcnt(0)
	v_mul_f32_e32 v24, v21, v22
	s_cbranch_execz .LBB18_328
	s_branch .LBB18_329
.LBB18_327:
                                        ; implicit-def: $vgpr24
.LBB18_328:
	ds_read_b32 v24, v91
.LBB18_329:
	v_cmp_ne_u32_e32 vcc, 6, v0
	s_and_saveexec_b64 s[14:15], vcc
	s_cbranch_execz .LBB18_333
; %bb.330:
	v_mov_b32_e32 v21, 0x54
	v_lshl_add_u32 v25, v0, 2, v21
	v_mov_b32_e32 v22, v1
	s_mov_b64 s[16:17], 0
	v_mov_b32_e32 v21, v0
.LBB18_331:                             ; =>This Inner Loop Header: Depth=1
	v_add_co_u32_e32 v21, vcc, 1, v21
	v_addc_co_u32_e32 v22, vcc, 0, v22, vcc
	v_cmp_eq_u32_e32 vcc, 1, v21
	s_waitcnt vmcnt(2)
	v_cndmask_b32_e32 v27, v2, v3, vcc
	v_cmp_lt_u32_e32 vcc, 5, v21
	v_cmp_eq_u32_e64 s[10:11], 2, v21
	v_cndmask_b32_e64 v27, v27, v4, s[10:11]
	s_or_b64 s[16:17], vcc, s[16:17]
	v_cmp_eq_u32_e32 vcc, 3, v21
	v_cndmask_b32_e32 v27, v27, v5, vcc
	v_cmp_eq_u32_e32 vcc, 4, v21
	v_cndmask_b32_e32 v27, v27, v6, vcc
	;; [unrolled: 2-line block ×11, first 2 shown]
	v_cmp_eq_u32_e32 vcc, 14, v21
	ds_read_b32 v26, v25
	v_cndmask_b32_e32 v27, v27, v16, vcc
	v_cmp_eq_u32_e32 vcc, 15, v21
	v_cndmask_b32_e32 v27, v27, v17, vcc
	v_cmp_eq_u32_e32 vcc, 16, v21
	;; [unrolled: 2-line block ×3, first 2 shown]
	s_waitcnt vmcnt(1)
	v_cndmask_b32_e32 v27, v27, v19, vcc
	v_cmp_eq_u32_e32 vcc, 18, v21
	s_waitcnt vmcnt(0)
	v_cndmask_b32_e32 v27, v27, v20, vcc
	v_add_u32_e32 v25, 4, v25
	s_waitcnt lgkmcnt(0)
	v_fmac_f32_e32 v24, v27, v26
	s_andn2_b64 exec, exec, s[16:17]
	s_cbranch_execnz .LBB18_331
; %bb.332:
	s_or_b64 exec, exec, s[16:17]
.LBB18_333:
	s_or_b64 exec, exec, s[14:15]
	v_mov_b32_e32 v9, 0
	ds_read_b32 v9, v9 offset:28
	s_waitcnt lgkmcnt(0)
	v_mul_f32_e32 v9, v24, v9
.LBB18_334:
	s_or_b64 exec, exec, s[12:13]
	v_cmp_gt_u32_e32 vcc, 8, v0
	s_waitcnt vmcnt(11)
	ds_write_b32 v91, v10
	s_waitcnt lgkmcnt(0)
	; wave barrier
	s_and_saveexec_b64 s[12:13], vcc
	s_cbranch_execz .LBB18_344
; %bb.335:
	s_and_b64 vcc, exec, s[0:1]
	s_cbranch_vccnz .LBB18_337
; %bb.336:
	v_cmp_eq_u32_e32 vcc, 1, v0
	s_waitcnt vmcnt(2)
	v_cndmask_b32_e32 v21, v2, v3, vcc
	v_cmp_eq_u32_e32 vcc, 2, v0
	v_cndmask_b32_e32 v21, v21, v4, vcc
	v_cmp_eq_u32_e32 vcc, 3, v0
	v_cndmask_b32_e32 v21, v21, v5, vcc
	v_cmp_eq_u32_e32 vcc, 4, v0
	v_cndmask_b32_e32 v21, v21, v6, vcc
	v_cmp_eq_u32_e32 vcc, 5, v0
	v_cndmask_b32_e32 v21, v21, v7, vcc
	v_cmp_eq_u32_e32 vcc, 6, v0
	v_cndmask_b32_e32 v21, v21, v8, vcc
	v_cmp_eq_u32_e32 vcc, 7, v0
	v_cndmask_b32_e32 v21, v21, v9, vcc
	v_cmp_eq_u32_e32 vcc, 8, v0
	v_cndmask_b32_e32 v21, v21, v10, vcc
	v_cmp_eq_u32_e32 vcc, 9, v0
	v_cndmask_b32_e32 v21, v21, v11, vcc
	v_cmp_eq_u32_e32 vcc, 10, v0
	v_cndmask_b32_e32 v21, v21, v12, vcc
	v_cmp_eq_u32_e32 vcc, 11, v0
	v_cndmask_b32_e32 v21, v21, v13, vcc
	v_cmp_eq_u32_e32 vcc, 12, v0
	v_cndmask_b32_e32 v21, v21, v14, vcc
	v_cmp_eq_u32_e32 vcc, 13, v0
	v_cndmask_b32_e32 v21, v21, v15, vcc
	v_cmp_eq_u32_e32 vcc, 14, v0
	v_cndmask_b32_e32 v21, v21, v16, vcc
	v_cmp_eq_u32_e32 vcc, 15, v0
	ds_read_b32 v22, v91
	v_cndmask_b32_e32 v21, v21, v17, vcc
	v_cmp_eq_u32_e32 vcc, 16, v0
	v_cndmask_b32_e32 v21, v21, v18, vcc
	v_cmp_eq_u32_e32 vcc, 17, v0
	s_waitcnt vmcnt(1)
	v_cndmask_b32_e32 v21, v21, v19, vcc
	v_cmp_eq_u32_e32 vcc, 18, v0
	s_waitcnt vmcnt(0)
	v_cndmask_b32_e32 v21, v21, v20, vcc
	s_waitcnt lgkmcnt(0)
	v_mul_f32_e32 v24, v21, v22
	s_cbranch_execz .LBB18_338
	s_branch .LBB18_339
.LBB18_337:
                                        ; implicit-def: $vgpr24
.LBB18_338:
	ds_read_b32 v24, v91
.LBB18_339:
	v_cmp_ne_u32_e32 vcc, 7, v0
	s_and_saveexec_b64 s[14:15], vcc
	s_cbranch_execz .LBB18_343
; %bb.340:
	v_mov_b32_e32 v21, 0x54
	v_lshl_add_u32 v25, v0, 2, v21
	v_mov_b32_e32 v22, v1
	s_mov_b64 s[16:17], 0
	v_mov_b32_e32 v21, v0
.LBB18_341:                             ; =>This Inner Loop Header: Depth=1
	v_add_co_u32_e32 v21, vcc, 1, v21
	v_addc_co_u32_e32 v22, vcc, 0, v22, vcc
	v_cmp_eq_u32_e32 vcc, 1, v21
	s_waitcnt vmcnt(2)
	v_cndmask_b32_e32 v27, v2, v3, vcc
	v_cmp_lt_u32_e32 vcc, 6, v21
	v_cmp_eq_u32_e64 s[10:11], 2, v21
	v_cndmask_b32_e64 v27, v27, v4, s[10:11]
	s_or_b64 s[16:17], vcc, s[16:17]
	v_cmp_eq_u32_e32 vcc, 3, v21
	v_cndmask_b32_e32 v27, v27, v5, vcc
	v_cmp_eq_u32_e32 vcc, 4, v21
	v_cndmask_b32_e32 v27, v27, v6, vcc
	;; [unrolled: 2-line block ×11, first 2 shown]
	v_cmp_eq_u32_e32 vcc, 14, v21
	ds_read_b32 v26, v25
	v_cndmask_b32_e32 v27, v27, v16, vcc
	v_cmp_eq_u32_e32 vcc, 15, v21
	v_cndmask_b32_e32 v27, v27, v17, vcc
	v_cmp_eq_u32_e32 vcc, 16, v21
	;; [unrolled: 2-line block ×3, first 2 shown]
	s_waitcnt vmcnt(1)
	v_cndmask_b32_e32 v27, v27, v19, vcc
	v_cmp_eq_u32_e32 vcc, 18, v21
	s_waitcnt vmcnt(0)
	v_cndmask_b32_e32 v27, v27, v20, vcc
	v_add_u32_e32 v25, 4, v25
	s_waitcnt lgkmcnt(0)
	v_fmac_f32_e32 v24, v27, v26
	s_andn2_b64 exec, exec, s[16:17]
	s_cbranch_execnz .LBB18_341
; %bb.342:
	s_or_b64 exec, exec, s[16:17]
.LBB18_343:
	s_or_b64 exec, exec, s[14:15]
	v_mov_b32_e32 v10, 0
	ds_read_b32 v10, v10 offset:32
	s_waitcnt lgkmcnt(0)
	v_mul_f32_e32 v10, v24, v10
.LBB18_344:
	s_or_b64 exec, exec, s[12:13]
	v_cmp_gt_u32_e32 vcc, 9, v0
	s_waitcnt vmcnt(10)
	ds_write_b32 v91, v11
	s_waitcnt lgkmcnt(0)
	; wave barrier
	s_and_saveexec_b64 s[10:11], vcc
	s_cbranch_execz .LBB18_366
; %bb.345:
	s_and_b64 vcc, exec, s[0:1]
	s_cbranch_vccnz .LBB18_347
; %bb.346:
	v_cmp_eq_u32_e32 vcc, 1, v0
	s_waitcnt vmcnt(2)
	v_cndmask_b32_e32 v21, v2, v3, vcc
	v_cmp_eq_u32_e32 vcc, 2, v0
	v_cndmask_b32_e32 v21, v21, v4, vcc
	v_cmp_eq_u32_e32 vcc, 3, v0
	;; [unrolled: 2-line block ×14, first 2 shown]
	ds_read_b32 v22, v91
	v_cndmask_b32_e32 v21, v21, v17, vcc
	v_cmp_eq_u32_e32 vcc, 16, v0
	v_cndmask_b32_e32 v21, v21, v18, vcc
	v_cmp_eq_u32_e32 vcc, 17, v0
	s_waitcnt vmcnt(1)
	v_cndmask_b32_e32 v21, v21, v19, vcc
	v_cmp_eq_u32_e32 vcc, 18, v0
	s_waitcnt vmcnt(0)
	v_cndmask_b32_e32 v21, v21, v20, vcc
	s_waitcnt lgkmcnt(0)
	v_mul_f32_e32 v21, v21, v22
	s_cbranch_execz .LBB18_348
	s_branch .LBB18_349
.LBB18_347:
                                        ; implicit-def: $vgpr21
.LBB18_348:
	ds_read_b32 v21, v91
.LBB18_349:
	v_cmp_ne_u32_e32 vcc, 8, v0
	s_and_saveexec_b64 s[12:13], vcc
	s_cbranch_execz .LBB18_365
; %bb.350:
	v_cmp_eq_u32_e32 vcc, 1, v23
	s_waitcnt vmcnt(2)
	v_cndmask_b32_e32 v22, v2, v3, vcc
	v_cmp_eq_u32_e32 vcc, 2, v23
	v_cndmask_b32_e32 v22, v22, v4, vcc
	v_cmp_eq_u32_e32 vcc, 3, v23
	;; [unrolled: 2-line block ×14, first 2 shown]
	ds_read_b32 v24, v91 offset:4
	v_cndmask_b32_e32 v22, v22, v17, vcc
	v_cmp_eq_u32_e32 vcc, 16, v23
	v_cndmask_b32_e32 v22, v22, v18, vcc
	v_cmp_eq_u32_e32 vcc, 17, v23
	s_waitcnt vmcnt(1)
	v_cndmask_b32_e32 v22, v22, v19, vcc
	v_cmp_eq_u32_e32 vcc, 18, v23
	s_waitcnt vmcnt(0)
	v_cndmask_b32_e32 v22, v22, v20, vcc
	s_waitcnt lgkmcnt(0)
	v_fmac_f32_e32 v21, v22, v24
	s_and_saveexec_b64 s[14:15], s[8:9]
	s_cbranch_execz .LBB18_364
; %bb.351:
	v_add_u32_e32 v22, 2, v0
	v_cmp_eq_u32_e32 vcc, 1, v22
	v_cndmask_b32_e32 v23, v2, v3, vcc
	v_cmp_eq_u32_e32 vcc, 2, v22
	v_cndmask_b32_e32 v23, v23, v4, vcc
	;; [unrolled: 2-line block ×14, first 2 shown]
	v_cmp_eq_u32_e32 vcc, 15, v22
	ds_read_b32 v24, v91 offset:8
	v_cndmask_b32_e32 v23, v23, v17, vcc
	v_cmp_eq_u32_e32 vcc, 16, v22
	v_cndmask_b32_e32 v23, v23, v18, vcc
	v_cmp_eq_u32_e32 vcc, 17, v22
	;; [unrolled: 2-line block ×3, first 2 shown]
	v_cndmask_b32_e32 v22, v23, v20, vcc
	s_waitcnt lgkmcnt(0)
	v_fmac_f32_e32 v21, v22, v24
	v_cmp_ne_u32_e32 vcc, 6, v0
	s_and_saveexec_b64 s[8:9], vcc
	s_cbranch_execz .LBB18_363
; %bb.352:
	v_add_u32_e32 v22, 3, v0
	v_cmp_eq_u32_e32 vcc, 1, v22
	v_cndmask_b32_e32 v23, v2, v3, vcc
	v_cmp_eq_u32_e32 vcc, 2, v22
	v_cndmask_b32_e32 v23, v23, v4, vcc
	;; [unrolled: 2-line block ×14, first 2 shown]
	v_cmp_eq_u32_e32 vcc, 15, v22
	ds_read_b32 v24, v91 offset:12
	v_cndmask_b32_e32 v23, v23, v17, vcc
	v_cmp_eq_u32_e32 vcc, 16, v22
	v_cndmask_b32_e32 v23, v23, v18, vcc
	v_cmp_eq_u32_e32 vcc, 17, v22
	;; [unrolled: 2-line block ×3, first 2 shown]
	v_cndmask_b32_e32 v22, v23, v20, vcc
	s_waitcnt lgkmcnt(0)
	v_fmac_f32_e32 v21, v22, v24
	s_and_saveexec_b64 s[16:17], s[6:7]
	s_cbranch_execz .LBB18_362
; %bb.353:
	v_add_u32_e32 v22, 4, v0
	v_cmp_eq_u32_e32 vcc, 1, v22
	v_cndmask_b32_e32 v23, v2, v3, vcc
	v_cmp_eq_u32_e32 vcc, 2, v22
	v_cndmask_b32_e32 v23, v23, v4, vcc
	;; [unrolled: 2-line block ×14, first 2 shown]
	v_cmp_eq_u32_e32 vcc, 15, v22
	ds_read_b32 v24, v91 offset:16
	v_cndmask_b32_e32 v23, v23, v17, vcc
	v_cmp_eq_u32_e32 vcc, 16, v22
	v_cndmask_b32_e32 v23, v23, v18, vcc
	v_cmp_eq_u32_e32 vcc, 17, v22
	;; [unrolled: 2-line block ×3, first 2 shown]
	v_cndmask_b32_e32 v22, v23, v20, vcc
	s_waitcnt lgkmcnt(0)
	v_fmac_f32_e32 v21, v22, v24
	v_cmp_ne_u32_e32 vcc, 4, v0
	s_and_saveexec_b64 s[6:7], vcc
	s_cbranch_execz .LBB18_361
; %bb.354:
	v_add_u32_e32 v22, 5, v0
	v_cmp_eq_u32_e32 vcc, 1, v22
	v_cndmask_b32_e32 v23, v2, v3, vcc
	v_cmp_eq_u32_e32 vcc, 2, v22
	v_cndmask_b32_e32 v23, v23, v4, vcc
	;; [unrolled: 2-line block ×14, first 2 shown]
	v_cmp_eq_u32_e32 vcc, 15, v22
	ds_read_b32 v24, v91 offset:20
	v_cndmask_b32_e32 v23, v23, v17, vcc
	v_cmp_eq_u32_e32 vcc, 16, v22
	v_cndmask_b32_e32 v23, v23, v18, vcc
	v_cmp_eq_u32_e32 vcc, 17, v22
	v_cndmask_b32_e32 v23, v23, v19, vcc
	v_cmp_eq_u32_e32 vcc, 18, v22
	v_cndmask_b32_e32 v22, v23, v20, vcc
	s_waitcnt lgkmcnt(0)
	v_fmac_f32_e32 v21, v22, v24
	s_and_saveexec_b64 s[18:19], s[4:5]
	s_cbranch_execz .LBB18_360
; %bb.355:
	v_add_u32_e32 v22, 6, v0
	v_cmp_eq_u32_e32 vcc, 1, v22
	v_cndmask_b32_e32 v23, v2, v3, vcc
	v_cmp_eq_u32_e32 vcc, 2, v22
	v_cndmask_b32_e32 v23, v23, v4, vcc
	;; [unrolled: 2-line block ×14, first 2 shown]
	v_cmp_eq_u32_e32 vcc, 15, v22
	ds_read_b32 v24, v91 offset:24
	v_cndmask_b32_e32 v23, v23, v17, vcc
	v_cmp_eq_u32_e32 vcc, 16, v22
	v_cndmask_b32_e32 v23, v23, v18, vcc
	v_cmp_eq_u32_e32 vcc, 17, v22
	;; [unrolled: 2-line block ×3, first 2 shown]
	v_cndmask_b32_e32 v22, v23, v20, vcc
	s_waitcnt lgkmcnt(0)
	v_fmac_f32_e32 v21, v22, v24
	v_cmp_ne_u32_e32 vcc, 2, v0
	s_and_saveexec_b64 s[4:5], vcc
	s_cbranch_execz .LBB18_359
; %bb.356:
	v_add_u32_e32 v22, 7, v0
	v_cmp_eq_u32_e32 vcc, 1, v22
	v_cndmask_b32_e32 v23, v2, v3, vcc
	v_cmp_eq_u32_e32 vcc, 2, v22
	v_cndmask_b32_e32 v23, v23, v4, vcc
	;; [unrolled: 2-line block ×14, first 2 shown]
	v_cmp_eq_u32_e32 vcc, 15, v22
	ds_read_b32 v23, v91 offset:28
	v_cndmask_b32_e32 v11, v11, v17, vcc
	v_cmp_eq_u32_e32 vcc, 16, v22
	v_cndmask_b32_e32 v11, v11, v18, vcc
	v_cmp_eq_u32_e32 vcc, 17, v22
	;; [unrolled: 2-line block ×3, first 2 shown]
	v_cndmask_b32_e32 v11, v11, v20, vcc
	s_waitcnt lgkmcnt(0)
	v_fmac_f32_e32 v21, v11, v23
	s_and_saveexec_b64 s[20:21], s[2:3]
	s_cbranch_execz .LBB18_358
; %bb.357:
	ds_read_b32 v11, v91 offset:32
	s_waitcnt lgkmcnt(0)
	v_fmac_f32_e32 v21, v10, v11
.LBB18_358:
	s_or_b64 exec, exec, s[20:21]
.LBB18_359:
	s_or_b64 exec, exec, s[4:5]
.LBB18_360:
	s_or_b64 exec, exec, s[18:19]
.LBB18_361:
	s_or_b64 exec, exec, s[6:7]
.LBB18_362:
	s_or_b64 exec, exec, s[16:17]
.LBB18_363:
	s_or_b64 exec, exec, s[8:9]
.LBB18_364:
	s_or_b64 exec, exec, s[14:15]
.LBB18_365:
	s_or_b64 exec, exec, s[12:13]
	v_mov_b32_e32 v11, 0
	ds_read_b32 v11, v11 offset:36
	s_waitcnt lgkmcnt(0)
	v_mul_f32_e32 v11, v21, v11
.LBB18_366:
	s_or_b64 exec, exec, s[10:11]
	v_cmp_gt_u32_e32 vcc, 10, v0
	s_waitcnt vmcnt(9)
	ds_write_b32 v91, v12
	s_waitcnt lgkmcnt(0)
	; wave barrier
	s_and_saveexec_b64 s[4:5], vcc
	s_cbranch_execz .LBB18_376
; %bb.367:
	s_and_b64 vcc, exec, s[0:1]
	s_cbranch_vccnz .LBB18_369
; %bb.368:
	v_cmp_eq_u32_e32 vcc, 1, v0
	s_waitcnt vmcnt(2)
	v_cndmask_b32_e32 v21, v2, v3, vcc
	v_cmp_eq_u32_e32 vcc, 2, v0
	v_cndmask_b32_e32 v21, v21, v4, vcc
	v_cmp_eq_u32_e32 vcc, 3, v0
	;; [unrolled: 2-line block ×14, first 2 shown]
	ds_read_b32 v22, v91
	v_cndmask_b32_e32 v21, v21, v17, vcc
	v_cmp_eq_u32_e32 vcc, 16, v0
	v_cndmask_b32_e32 v21, v21, v18, vcc
	v_cmp_eq_u32_e32 vcc, 17, v0
	s_waitcnt vmcnt(1)
	v_cndmask_b32_e32 v21, v21, v19, vcc
	v_cmp_eq_u32_e32 vcc, 18, v0
	s_waitcnt vmcnt(0)
	v_cndmask_b32_e32 v21, v21, v20, vcc
	s_waitcnt lgkmcnt(0)
	v_mul_f32_e32 v23, v21, v22
	s_cbranch_execz .LBB18_370
	s_branch .LBB18_371
.LBB18_369:
                                        ; implicit-def: $vgpr23
.LBB18_370:
	ds_read_b32 v23, v91
.LBB18_371:
	v_cmp_ne_u32_e32 vcc, 9, v0
	s_and_saveexec_b64 s[6:7], vcc
	s_cbranch_execz .LBB18_375
; %bb.372:
	v_mov_b32_e32 v21, 0x54
	v_lshl_add_u32 v24, v0, 2, v21
	v_mov_b32_e32 v22, v1
	s_mov_b64 s[8:9], 0
	v_mov_b32_e32 v21, v0
.LBB18_373:                             ; =>This Inner Loop Header: Depth=1
	v_add_co_u32_e32 v21, vcc, 1, v21
	v_addc_co_u32_e32 v22, vcc, 0, v22, vcc
	v_cmp_eq_u32_e32 vcc, 1, v21
	s_waitcnt vmcnt(2)
	v_cndmask_b32_e32 v26, v2, v3, vcc
	v_cmp_lt_u32_e32 vcc, 8, v21
	v_cmp_eq_u32_e64 s[2:3], 2, v21
	v_cndmask_b32_e64 v26, v26, v4, s[2:3]
	s_or_b64 s[8:9], vcc, s[8:9]
	v_cmp_eq_u32_e32 vcc, 3, v21
	v_cndmask_b32_e32 v26, v26, v5, vcc
	v_cmp_eq_u32_e32 vcc, 4, v21
	v_cndmask_b32_e32 v26, v26, v6, vcc
	;; [unrolled: 2-line block ×11, first 2 shown]
	v_cmp_eq_u32_e32 vcc, 14, v21
	ds_read_b32 v25, v24
	v_cndmask_b32_e32 v26, v26, v16, vcc
	v_cmp_eq_u32_e32 vcc, 15, v21
	v_cndmask_b32_e32 v26, v26, v17, vcc
	v_cmp_eq_u32_e32 vcc, 16, v21
	;; [unrolled: 2-line block ×3, first 2 shown]
	s_waitcnt vmcnt(1)
	v_cndmask_b32_e32 v26, v26, v19, vcc
	v_cmp_eq_u32_e32 vcc, 18, v21
	s_waitcnt vmcnt(0)
	v_cndmask_b32_e32 v26, v26, v20, vcc
	v_add_u32_e32 v24, 4, v24
	s_waitcnt lgkmcnt(0)
	v_fmac_f32_e32 v23, v26, v25
	s_andn2_b64 exec, exec, s[8:9]
	s_cbranch_execnz .LBB18_373
; %bb.374:
	s_or_b64 exec, exec, s[8:9]
.LBB18_375:
	s_or_b64 exec, exec, s[6:7]
	v_mov_b32_e32 v12, 0
	ds_read_b32 v12, v12 offset:40
	s_waitcnt lgkmcnt(0)
	v_mul_f32_e32 v12, v23, v12
.LBB18_376:
	s_or_b64 exec, exec, s[4:5]
	v_cmp_gt_u32_e32 vcc, 11, v0
	s_waitcnt vmcnt(8)
	ds_write_b32 v91, v13
	s_waitcnt lgkmcnt(0)
	; wave barrier
	s_and_saveexec_b64 s[4:5], vcc
	s_cbranch_execz .LBB18_386
; %bb.377:
	s_and_b64 vcc, exec, s[0:1]
	s_cbranch_vccnz .LBB18_379
; %bb.378:
	v_cmp_eq_u32_e32 vcc, 1, v0
	s_waitcnt vmcnt(2)
	v_cndmask_b32_e32 v21, v2, v3, vcc
	v_cmp_eq_u32_e32 vcc, 2, v0
	v_cndmask_b32_e32 v21, v21, v4, vcc
	v_cmp_eq_u32_e32 vcc, 3, v0
	;; [unrolled: 2-line block ×14, first 2 shown]
	ds_read_b32 v22, v91
	v_cndmask_b32_e32 v21, v21, v17, vcc
	v_cmp_eq_u32_e32 vcc, 16, v0
	v_cndmask_b32_e32 v21, v21, v18, vcc
	v_cmp_eq_u32_e32 vcc, 17, v0
	s_waitcnt vmcnt(1)
	v_cndmask_b32_e32 v21, v21, v19, vcc
	v_cmp_eq_u32_e32 vcc, 18, v0
	s_waitcnt vmcnt(0)
	v_cndmask_b32_e32 v21, v21, v20, vcc
	s_waitcnt lgkmcnt(0)
	v_mul_f32_e32 v23, v21, v22
	s_cbranch_execz .LBB18_380
	s_branch .LBB18_381
.LBB18_379:
                                        ; implicit-def: $vgpr23
.LBB18_380:
	ds_read_b32 v23, v91
.LBB18_381:
	v_cmp_ne_u32_e32 vcc, 10, v0
	s_and_saveexec_b64 s[6:7], vcc
	s_cbranch_execz .LBB18_385
; %bb.382:
	v_mov_b32_e32 v21, 0x54
	v_lshl_add_u32 v24, v0, 2, v21
	v_mov_b32_e32 v22, v1
	s_mov_b64 s[8:9], 0
	v_mov_b32_e32 v21, v0
.LBB18_383:                             ; =>This Inner Loop Header: Depth=1
	v_add_co_u32_e32 v21, vcc, 1, v21
	v_addc_co_u32_e32 v22, vcc, 0, v22, vcc
	v_cmp_eq_u32_e32 vcc, 1, v21
	s_waitcnt vmcnt(2)
	v_cndmask_b32_e32 v26, v2, v3, vcc
	v_cmp_lt_u32_e32 vcc, 9, v21
	v_cmp_eq_u32_e64 s[2:3], 2, v21
	v_cndmask_b32_e64 v26, v26, v4, s[2:3]
	s_or_b64 s[8:9], vcc, s[8:9]
	v_cmp_eq_u32_e32 vcc, 3, v21
	v_cndmask_b32_e32 v26, v26, v5, vcc
	v_cmp_eq_u32_e32 vcc, 4, v21
	v_cndmask_b32_e32 v26, v26, v6, vcc
	;; [unrolled: 2-line block ×11, first 2 shown]
	v_cmp_eq_u32_e32 vcc, 14, v21
	ds_read_b32 v25, v24
	v_cndmask_b32_e32 v26, v26, v16, vcc
	v_cmp_eq_u32_e32 vcc, 15, v21
	v_cndmask_b32_e32 v26, v26, v17, vcc
	v_cmp_eq_u32_e32 vcc, 16, v21
	;; [unrolled: 2-line block ×3, first 2 shown]
	s_waitcnt vmcnt(1)
	v_cndmask_b32_e32 v26, v26, v19, vcc
	v_cmp_eq_u32_e32 vcc, 18, v21
	s_waitcnt vmcnt(0)
	v_cndmask_b32_e32 v26, v26, v20, vcc
	v_add_u32_e32 v24, 4, v24
	s_waitcnt lgkmcnt(0)
	v_fmac_f32_e32 v23, v26, v25
	s_andn2_b64 exec, exec, s[8:9]
	s_cbranch_execnz .LBB18_383
; %bb.384:
	s_or_b64 exec, exec, s[8:9]
.LBB18_385:
	s_or_b64 exec, exec, s[6:7]
	v_mov_b32_e32 v13, 0
	ds_read_b32 v13, v13 offset:44
	s_waitcnt lgkmcnt(0)
	v_mul_f32_e32 v13, v23, v13
.LBB18_386:
	s_or_b64 exec, exec, s[4:5]
	v_cmp_gt_u32_e32 vcc, 12, v0
	s_waitcnt vmcnt(7)
	ds_write_b32 v91, v14
	s_waitcnt lgkmcnt(0)
	; wave barrier
	s_and_saveexec_b64 s[4:5], vcc
	s_cbranch_execz .LBB18_396
; %bb.387:
	s_and_b64 vcc, exec, s[0:1]
	s_cbranch_vccnz .LBB18_389
; %bb.388:
	v_cmp_eq_u32_e32 vcc, 1, v0
	s_waitcnt vmcnt(2)
	v_cndmask_b32_e32 v21, v2, v3, vcc
	v_cmp_eq_u32_e32 vcc, 2, v0
	v_cndmask_b32_e32 v21, v21, v4, vcc
	v_cmp_eq_u32_e32 vcc, 3, v0
	;; [unrolled: 2-line block ×14, first 2 shown]
	ds_read_b32 v22, v91
	v_cndmask_b32_e32 v21, v21, v17, vcc
	v_cmp_eq_u32_e32 vcc, 16, v0
	v_cndmask_b32_e32 v21, v21, v18, vcc
	v_cmp_eq_u32_e32 vcc, 17, v0
	s_waitcnt vmcnt(1)
	v_cndmask_b32_e32 v21, v21, v19, vcc
	v_cmp_eq_u32_e32 vcc, 18, v0
	s_waitcnt vmcnt(0)
	v_cndmask_b32_e32 v21, v21, v20, vcc
	s_waitcnt lgkmcnt(0)
	v_mul_f32_e32 v23, v21, v22
	s_cbranch_execz .LBB18_390
	s_branch .LBB18_391
.LBB18_389:
                                        ; implicit-def: $vgpr23
.LBB18_390:
	ds_read_b32 v23, v91
.LBB18_391:
	v_cmp_ne_u32_e32 vcc, 11, v0
	s_and_saveexec_b64 s[6:7], vcc
	s_cbranch_execz .LBB18_395
; %bb.392:
	v_mov_b32_e32 v21, 0x54
	v_lshl_add_u32 v24, v0, 2, v21
	v_mov_b32_e32 v22, v1
	s_mov_b64 s[8:9], 0
	v_mov_b32_e32 v21, v0
.LBB18_393:                             ; =>This Inner Loop Header: Depth=1
	v_add_co_u32_e32 v21, vcc, 1, v21
	v_addc_co_u32_e32 v22, vcc, 0, v22, vcc
	v_cmp_eq_u32_e32 vcc, 1, v21
	s_waitcnt vmcnt(2)
	v_cndmask_b32_e32 v26, v2, v3, vcc
	v_cmp_lt_u32_e32 vcc, 10, v21
	v_cmp_eq_u32_e64 s[2:3], 2, v21
	v_cndmask_b32_e64 v26, v26, v4, s[2:3]
	s_or_b64 s[8:9], vcc, s[8:9]
	v_cmp_eq_u32_e32 vcc, 3, v21
	v_cndmask_b32_e32 v26, v26, v5, vcc
	v_cmp_eq_u32_e32 vcc, 4, v21
	v_cndmask_b32_e32 v26, v26, v6, vcc
	;; [unrolled: 2-line block ×11, first 2 shown]
	v_cmp_eq_u32_e32 vcc, 14, v21
	ds_read_b32 v25, v24
	v_cndmask_b32_e32 v26, v26, v16, vcc
	v_cmp_eq_u32_e32 vcc, 15, v21
	v_cndmask_b32_e32 v26, v26, v17, vcc
	v_cmp_eq_u32_e32 vcc, 16, v21
	;; [unrolled: 2-line block ×3, first 2 shown]
	s_waitcnt vmcnt(1)
	v_cndmask_b32_e32 v26, v26, v19, vcc
	v_cmp_eq_u32_e32 vcc, 18, v21
	s_waitcnt vmcnt(0)
	v_cndmask_b32_e32 v26, v26, v20, vcc
	v_add_u32_e32 v24, 4, v24
	s_waitcnt lgkmcnt(0)
	v_fmac_f32_e32 v23, v26, v25
	s_andn2_b64 exec, exec, s[8:9]
	s_cbranch_execnz .LBB18_393
; %bb.394:
	s_or_b64 exec, exec, s[8:9]
.LBB18_395:
	s_or_b64 exec, exec, s[6:7]
	v_mov_b32_e32 v14, 0
	ds_read_b32 v14, v14 offset:48
	s_waitcnt lgkmcnt(0)
	v_mul_f32_e32 v14, v23, v14
.LBB18_396:
	s_or_b64 exec, exec, s[4:5]
	v_cmp_gt_u32_e32 vcc, 13, v0
	s_waitcnt vmcnt(6)
	ds_write_b32 v91, v15
	s_waitcnt lgkmcnt(0)
	; wave barrier
	s_and_saveexec_b64 s[4:5], vcc
	s_cbranch_execz .LBB18_406
; %bb.397:
	s_and_b64 vcc, exec, s[0:1]
	s_cbranch_vccnz .LBB18_399
; %bb.398:
	v_cmp_eq_u32_e32 vcc, 1, v0
	s_waitcnt vmcnt(2)
	v_cndmask_b32_e32 v21, v2, v3, vcc
	v_cmp_eq_u32_e32 vcc, 2, v0
	v_cndmask_b32_e32 v21, v21, v4, vcc
	v_cmp_eq_u32_e32 vcc, 3, v0
	;; [unrolled: 2-line block ×14, first 2 shown]
	ds_read_b32 v22, v91
	v_cndmask_b32_e32 v21, v21, v17, vcc
	v_cmp_eq_u32_e32 vcc, 16, v0
	v_cndmask_b32_e32 v21, v21, v18, vcc
	v_cmp_eq_u32_e32 vcc, 17, v0
	s_waitcnt vmcnt(1)
	v_cndmask_b32_e32 v21, v21, v19, vcc
	v_cmp_eq_u32_e32 vcc, 18, v0
	s_waitcnt vmcnt(0)
	v_cndmask_b32_e32 v21, v21, v20, vcc
	s_waitcnt lgkmcnt(0)
	v_mul_f32_e32 v23, v21, v22
	s_cbranch_execz .LBB18_400
	s_branch .LBB18_401
.LBB18_399:
                                        ; implicit-def: $vgpr23
.LBB18_400:
	ds_read_b32 v23, v91
.LBB18_401:
	v_cmp_ne_u32_e32 vcc, 12, v0
	s_and_saveexec_b64 s[6:7], vcc
	s_cbranch_execz .LBB18_405
; %bb.402:
	v_mov_b32_e32 v21, 0x54
	v_lshl_add_u32 v24, v0, 2, v21
	v_mov_b32_e32 v22, v1
	s_mov_b64 s[8:9], 0
	v_mov_b32_e32 v21, v0
.LBB18_403:                             ; =>This Inner Loop Header: Depth=1
	v_add_co_u32_e32 v21, vcc, 1, v21
	v_addc_co_u32_e32 v22, vcc, 0, v22, vcc
	v_cmp_eq_u32_e32 vcc, 1, v21
	s_waitcnt vmcnt(2)
	v_cndmask_b32_e32 v26, v2, v3, vcc
	v_cmp_lt_u32_e32 vcc, 11, v21
	v_cmp_eq_u32_e64 s[2:3], 2, v21
	v_cndmask_b32_e64 v26, v26, v4, s[2:3]
	s_or_b64 s[8:9], vcc, s[8:9]
	v_cmp_eq_u32_e32 vcc, 3, v21
	v_cndmask_b32_e32 v26, v26, v5, vcc
	v_cmp_eq_u32_e32 vcc, 4, v21
	v_cndmask_b32_e32 v26, v26, v6, vcc
	v_cmp_eq_u32_e32 vcc, 5, v21
	v_cndmask_b32_e32 v26, v26, v7, vcc
	v_cmp_eq_u32_e32 vcc, 6, v21
	v_cndmask_b32_e32 v26, v26, v8, vcc
	v_cmp_eq_u32_e32 vcc, 7, v21
	v_cndmask_b32_e32 v26, v26, v9, vcc
	v_cmp_eq_u32_e32 vcc, 8, v21
	v_cndmask_b32_e32 v26, v26, v10, vcc
	v_cmp_eq_u32_e32 vcc, 9, v21
	v_cndmask_b32_e32 v26, v26, v11, vcc
	v_cmp_eq_u32_e32 vcc, 10, v21
	v_cndmask_b32_e32 v26, v26, v12, vcc
	v_cmp_eq_u32_e32 vcc, 11, v21
	v_cndmask_b32_e32 v26, v26, v13, vcc
	v_cmp_eq_u32_e32 vcc, 12, v21
	v_cndmask_b32_e32 v26, v26, v14, vcc
	v_cmp_eq_u32_e32 vcc, 13, v21
	v_cndmask_b32_e32 v26, v26, v15, vcc
	v_cmp_eq_u32_e32 vcc, 14, v21
	ds_read_b32 v25, v24
	v_cndmask_b32_e32 v26, v26, v16, vcc
	v_cmp_eq_u32_e32 vcc, 15, v21
	v_cndmask_b32_e32 v26, v26, v17, vcc
	v_cmp_eq_u32_e32 vcc, 16, v21
	;; [unrolled: 2-line block ×3, first 2 shown]
	s_waitcnt vmcnt(1)
	v_cndmask_b32_e32 v26, v26, v19, vcc
	v_cmp_eq_u32_e32 vcc, 18, v21
	s_waitcnt vmcnt(0)
	v_cndmask_b32_e32 v26, v26, v20, vcc
	v_add_u32_e32 v24, 4, v24
	s_waitcnt lgkmcnt(0)
	v_fmac_f32_e32 v23, v26, v25
	s_andn2_b64 exec, exec, s[8:9]
	s_cbranch_execnz .LBB18_403
; %bb.404:
	s_or_b64 exec, exec, s[8:9]
.LBB18_405:
	s_or_b64 exec, exec, s[6:7]
	v_mov_b32_e32 v15, 0
	ds_read_b32 v15, v15 offset:52
	s_waitcnt lgkmcnt(0)
	v_mul_f32_e32 v15, v23, v15
.LBB18_406:
	s_or_b64 exec, exec, s[4:5]
	v_cmp_gt_u32_e32 vcc, 14, v0
	s_waitcnt vmcnt(5)
	ds_write_b32 v91, v16
	s_waitcnt lgkmcnt(0)
	; wave barrier
	s_and_saveexec_b64 s[4:5], vcc
	s_cbranch_execz .LBB18_416
; %bb.407:
	s_and_b64 vcc, exec, s[0:1]
	s_cbranch_vccnz .LBB18_409
; %bb.408:
	v_cmp_eq_u32_e32 vcc, 1, v0
	s_waitcnt vmcnt(2)
	v_cndmask_b32_e32 v21, v2, v3, vcc
	v_cmp_eq_u32_e32 vcc, 2, v0
	v_cndmask_b32_e32 v21, v21, v4, vcc
	v_cmp_eq_u32_e32 vcc, 3, v0
	;; [unrolled: 2-line block ×14, first 2 shown]
	ds_read_b32 v22, v91
	v_cndmask_b32_e32 v21, v21, v17, vcc
	v_cmp_eq_u32_e32 vcc, 16, v0
	v_cndmask_b32_e32 v21, v21, v18, vcc
	v_cmp_eq_u32_e32 vcc, 17, v0
	s_waitcnt vmcnt(1)
	v_cndmask_b32_e32 v21, v21, v19, vcc
	v_cmp_eq_u32_e32 vcc, 18, v0
	s_waitcnt vmcnt(0)
	v_cndmask_b32_e32 v21, v21, v20, vcc
	s_waitcnt lgkmcnt(0)
	v_mul_f32_e32 v23, v21, v22
	s_cbranch_execz .LBB18_410
	s_branch .LBB18_411
.LBB18_409:
                                        ; implicit-def: $vgpr23
.LBB18_410:
	ds_read_b32 v23, v91
.LBB18_411:
	v_cmp_ne_u32_e32 vcc, 13, v0
	s_and_saveexec_b64 s[6:7], vcc
	s_cbranch_execz .LBB18_415
; %bb.412:
	v_mov_b32_e32 v21, 0x54
	v_lshl_add_u32 v24, v0, 2, v21
	v_mov_b32_e32 v22, v1
	s_mov_b64 s[8:9], 0
	v_mov_b32_e32 v21, v0
.LBB18_413:                             ; =>This Inner Loop Header: Depth=1
	v_add_co_u32_e32 v21, vcc, 1, v21
	v_addc_co_u32_e32 v22, vcc, 0, v22, vcc
	v_cmp_eq_u32_e32 vcc, 1, v21
	s_waitcnt vmcnt(2)
	v_cndmask_b32_e32 v26, v2, v3, vcc
	v_cmp_lt_u32_e32 vcc, 12, v21
	v_cmp_eq_u32_e64 s[2:3], 2, v21
	v_cndmask_b32_e64 v26, v26, v4, s[2:3]
	s_or_b64 s[8:9], vcc, s[8:9]
	v_cmp_eq_u32_e32 vcc, 3, v21
	v_cndmask_b32_e32 v26, v26, v5, vcc
	v_cmp_eq_u32_e32 vcc, 4, v21
	v_cndmask_b32_e32 v26, v26, v6, vcc
	;; [unrolled: 2-line block ×11, first 2 shown]
	v_cmp_eq_u32_e32 vcc, 14, v21
	ds_read_b32 v25, v24
	v_cndmask_b32_e32 v26, v26, v16, vcc
	v_cmp_eq_u32_e32 vcc, 15, v21
	v_cndmask_b32_e32 v26, v26, v17, vcc
	v_cmp_eq_u32_e32 vcc, 16, v21
	;; [unrolled: 2-line block ×3, first 2 shown]
	s_waitcnt vmcnt(1)
	v_cndmask_b32_e32 v26, v26, v19, vcc
	v_cmp_eq_u32_e32 vcc, 18, v21
	s_waitcnt vmcnt(0)
	v_cndmask_b32_e32 v26, v26, v20, vcc
	v_add_u32_e32 v24, 4, v24
	s_waitcnt lgkmcnt(0)
	v_fmac_f32_e32 v23, v26, v25
	s_andn2_b64 exec, exec, s[8:9]
	s_cbranch_execnz .LBB18_413
; %bb.414:
	s_or_b64 exec, exec, s[8:9]
.LBB18_415:
	s_or_b64 exec, exec, s[6:7]
	v_mov_b32_e32 v16, 0
	ds_read_b32 v16, v16 offset:56
	s_waitcnt lgkmcnt(0)
	v_mul_f32_e32 v16, v23, v16
.LBB18_416:
	s_or_b64 exec, exec, s[4:5]
	v_cmp_gt_u32_e32 vcc, 15, v0
	s_waitcnt vmcnt(4)
	ds_write_b32 v91, v17
	s_waitcnt lgkmcnt(0)
	; wave barrier
	s_and_saveexec_b64 s[4:5], vcc
	s_cbranch_execz .LBB18_426
; %bb.417:
	s_and_b64 vcc, exec, s[0:1]
	s_cbranch_vccnz .LBB18_419
; %bb.418:
	v_cmp_eq_u32_e32 vcc, 1, v0
	s_waitcnt vmcnt(2)
	v_cndmask_b32_e32 v21, v2, v3, vcc
	v_cmp_eq_u32_e32 vcc, 2, v0
	v_cndmask_b32_e32 v21, v21, v4, vcc
	v_cmp_eq_u32_e32 vcc, 3, v0
	v_cndmask_b32_e32 v21, v21, v5, vcc
	v_cmp_eq_u32_e32 vcc, 4, v0
	v_cndmask_b32_e32 v21, v21, v6, vcc
	v_cmp_eq_u32_e32 vcc, 5, v0
	v_cndmask_b32_e32 v21, v21, v7, vcc
	v_cmp_eq_u32_e32 vcc, 6, v0
	v_cndmask_b32_e32 v21, v21, v8, vcc
	v_cmp_eq_u32_e32 vcc, 7, v0
	v_cndmask_b32_e32 v21, v21, v9, vcc
	v_cmp_eq_u32_e32 vcc, 8, v0
	v_cndmask_b32_e32 v21, v21, v10, vcc
	v_cmp_eq_u32_e32 vcc, 9, v0
	v_cndmask_b32_e32 v21, v21, v11, vcc
	v_cmp_eq_u32_e32 vcc, 10, v0
	v_cndmask_b32_e32 v21, v21, v12, vcc
	v_cmp_eq_u32_e32 vcc, 11, v0
	v_cndmask_b32_e32 v21, v21, v13, vcc
	v_cmp_eq_u32_e32 vcc, 12, v0
	v_cndmask_b32_e32 v21, v21, v14, vcc
	v_cmp_eq_u32_e32 vcc, 13, v0
	v_cndmask_b32_e32 v21, v21, v15, vcc
	v_cmp_eq_u32_e32 vcc, 14, v0
	v_cndmask_b32_e32 v21, v21, v16, vcc
	v_cmp_eq_u32_e32 vcc, 15, v0
	ds_read_b32 v22, v91
	v_cndmask_b32_e32 v21, v21, v17, vcc
	v_cmp_eq_u32_e32 vcc, 16, v0
	v_cndmask_b32_e32 v21, v21, v18, vcc
	v_cmp_eq_u32_e32 vcc, 17, v0
	s_waitcnt vmcnt(1)
	v_cndmask_b32_e32 v21, v21, v19, vcc
	v_cmp_eq_u32_e32 vcc, 18, v0
	s_waitcnt vmcnt(0)
	v_cndmask_b32_e32 v21, v21, v20, vcc
	s_waitcnt lgkmcnt(0)
	v_mul_f32_e32 v23, v21, v22
	s_cbranch_execz .LBB18_420
	s_branch .LBB18_421
.LBB18_419:
                                        ; implicit-def: $vgpr23
.LBB18_420:
	ds_read_b32 v23, v91
.LBB18_421:
	v_cmp_ne_u32_e32 vcc, 14, v0
	s_and_saveexec_b64 s[6:7], vcc
	s_cbranch_execz .LBB18_425
; %bb.422:
	v_mov_b32_e32 v21, 0x54
	v_lshl_add_u32 v24, v0, 2, v21
	v_mov_b32_e32 v22, v1
	s_mov_b64 s[8:9], 0
	v_mov_b32_e32 v21, v0
.LBB18_423:                             ; =>This Inner Loop Header: Depth=1
	v_add_co_u32_e32 v21, vcc, 1, v21
	v_addc_co_u32_e32 v22, vcc, 0, v22, vcc
	v_cmp_eq_u32_e32 vcc, 1, v21
	s_waitcnt vmcnt(2)
	v_cndmask_b32_e32 v26, v2, v3, vcc
	v_cmp_lt_u32_e32 vcc, 13, v21
	v_cmp_eq_u32_e64 s[2:3], 2, v21
	v_cndmask_b32_e64 v26, v26, v4, s[2:3]
	s_or_b64 s[8:9], vcc, s[8:9]
	v_cmp_eq_u32_e32 vcc, 3, v21
	v_cndmask_b32_e32 v26, v26, v5, vcc
	v_cmp_eq_u32_e32 vcc, 4, v21
	v_cndmask_b32_e32 v26, v26, v6, vcc
	v_cmp_eq_u32_e32 vcc, 5, v21
	v_cndmask_b32_e32 v26, v26, v7, vcc
	v_cmp_eq_u32_e32 vcc, 6, v21
	v_cndmask_b32_e32 v26, v26, v8, vcc
	v_cmp_eq_u32_e32 vcc, 7, v21
	v_cndmask_b32_e32 v26, v26, v9, vcc
	v_cmp_eq_u32_e32 vcc, 8, v21
	v_cndmask_b32_e32 v26, v26, v10, vcc
	v_cmp_eq_u32_e32 vcc, 9, v21
	v_cndmask_b32_e32 v26, v26, v11, vcc
	v_cmp_eq_u32_e32 vcc, 10, v21
	v_cndmask_b32_e32 v26, v26, v12, vcc
	v_cmp_eq_u32_e32 vcc, 11, v21
	v_cndmask_b32_e32 v26, v26, v13, vcc
	v_cmp_eq_u32_e32 vcc, 12, v21
	v_cndmask_b32_e32 v26, v26, v14, vcc
	v_cmp_eq_u32_e32 vcc, 13, v21
	v_cndmask_b32_e32 v26, v26, v15, vcc
	v_cmp_eq_u32_e32 vcc, 14, v21
	ds_read_b32 v25, v24
	v_cndmask_b32_e32 v26, v26, v16, vcc
	v_cmp_eq_u32_e32 vcc, 15, v21
	v_cndmask_b32_e32 v26, v26, v17, vcc
	v_cmp_eq_u32_e32 vcc, 16, v21
	;; [unrolled: 2-line block ×3, first 2 shown]
	s_waitcnt vmcnt(1)
	v_cndmask_b32_e32 v26, v26, v19, vcc
	v_cmp_eq_u32_e32 vcc, 18, v21
	s_waitcnt vmcnt(0)
	v_cndmask_b32_e32 v26, v26, v20, vcc
	v_add_u32_e32 v24, 4, v24
	s_waitcnt lgkmcnt(0)
	v_fmac_f32_e32 v23, v26, v25
	s_andn2_b64 exec, exec, s[8:9]
	s_cbranch_execnz .LBB18_423
; %bb.424:
	s_or_b64 exec, exec, s[8:9]
.LBB18_425:
	s_or_b64 exec, exec, s[6:7]
	v_mov_b32_e32 v17, 0
	ds_read_b32 v17, v17 offset:60
	s_waitcnt lgkmcnt(0)
	v_mul_f32_e32 v17, v23, v17
.LBB18_426:
	s_or_b64 exec, exec, s[4:5]
	v_cmp_gt_u32_e32 vcc, 16, v0
	s_waitcnt vmcnt(3)
	ds_write_b32 v91, v18
	s_waitcnt lgkmcnt(0)
	; wave barrier
	s_and_saveexec_b64 s[4:5], vcc
	s_cbranch_execz .LBB18_436
; %bb.427:
	s_and_b64 vcc, exec, s[0:1]
	s_cbranch_vccnz .LBB18_429
; %bb.428:
	v_cmp_eq_u32_e32 vcc, 1, v0
	s_waitcnt vmcnt(2)
	v_cndmask_b32_e32 v21, v2, v3, vcc
	v_cmp_eq_u32_e32 vcc, 2, v0
	v_cndmask_b32_e32 v21, v21, v4, vcc
	v_cmp_eq_u32_e32 vcc, 3, v0
	;; [unrolled: 2-line block ×14, first 2 shown]
	ds_read_b32 v22, v91
	v_cndmask_b32_e32 v21, v21, v17, vcc
	v_cmp_eq_u32_e32 vcc, 16, v0
	v_cndmask_b32_e32 v21, v21, v18, vcc
	v_cmp_eq_u32_e32 vcc, 17, v0
	s_waitcnt vmcnt(1)
	v_cndmask_b32_e32 v21, v21, v19, vcc
	v_cmp_eq_u32_e32 vcc, 18, v0
	s_waitcnt vmcnt(0)
	v_cndmask_b32_e32 v21, v21, v20, vcc
	s_waitcnt lgkmcnt(0)
	v_mul_f32_e32 v23, v21, v22
	s_cbranch_execz .LBB18_430
	s_branch .LBB18_431
.LBB18_429:
                                        ; implicit-def: $vgpr23
.LBB18_430:
	ds_read_b32 v23, v91
.LBB18_431:
	v_cmp_ne_u32_e32 vcc, 15, v0
	s_and_saveexec_b64 s[6:7], vcc
	s_cbranch_execz .LBB18_435
; %bb.432:
	v_mov_b32_e32 v21, 0x54
	v_lshl_add_u32 v24, v0, 2, v21
	v_mov_b32_e32 v22, v1
	s_mov_b64 s[8:9], 0
	v_mov_b32_e32 v21, v0
.LBB18_433:                             ; =>This Inner Loop Header: Depth=1
	v_add_co_u32_e32 v21, vcc, 1, v21
	v_addc_co_u32_e32 v22, vcc, 0, v22, vcc
	v_cmp_eq_u32_e32 vcc, 1, v21
	s_waitcnt vmcnt(2)
	v_cndmask_b32_e32 v26, v2, v3, vcc
	v_cmp_lt_u32_e32 vcc, 14, v21
	v_cmp_eq_u32_e64 s[2:3], 2, v21
	v_cndmask_b32_e64 v26, v26, v4, s[2:3]
	s_or_b64 s[8:9], vcc, s[8:9]
	v_cmp_eq_u32_e32 vcc, 3, v21
	v_cndmask_b32_e32 v26, v26, v5, vcc
	v_cmp_eq_u32_e32 vcc, 4, v21
	v_cndmask_b32_e32 v26, v26, v6, vcc
	;; [unrolled: 2-line block ×11, first 2 shown]
	v_cmp_eq_u32_e32 vcc, 14, v21
	ds_read_b32 v25, v24
	v_cndmask_b32_e32 v26, v26, v16, vcc
	v_cmp_eq_u32_e32 vcc, 15, v21
	v_cndmask_b32_e32 v26, v26, v17, vcc
	v_cmp_eq_u32_e32 vcc, 16, v21
	;; [unrolled: 2-line block ×3, first 2 shown]
	s_waitcnt vmcnt(1)
	v_cndmask_b32_e32 v26, v26, v19, vcc
	v_cmp_eq_u32_e32 vcc, 18, v21
	s_waitcnt vmcnt(0)
	v_cndmask_b32_e32 v26, v26, v20, vcc
	v_add_u32_e32 v24, 4, v24
	s_waitcnt lgkmcnt(0)
	v_fmac_f32_e32 v23, v26, v25
	s_andn2_b64 exec, exec, s[8:9]
	s_cbranch_execnz .LBB18_433
; %bb.434:
	s_or_b64 exec, exec, s[8:9]
.LBB18_435:
	s_or_b64 exec, exec, s[6:7]
	v_mov_b32_e32 v18, 0
	ds_read_b32 v18, v18 offset:64
	s_waitcnt lgkmcnt(0)
	v_mul_f32_e32 v18, v23, v18
.LBB18_436:
	s_or_b64 exec, exec, s[4:5]
	v_cmp_gt_u32_e64 s[2:3], 17, v0
	s_waitcnt vmcnt(1)
	ds_write_b32 v91, v19
	s_waitcnt lgkmcnt(0)
	; wave barrier
	s_and_saveexec_b64 s[6:7], s[2:3]
	s_cbranch_execz .LBB18_446
; %bb.437:
	s_and_b64 vcc, exec, s[0:1]
	s_cbranch_vccnz .LBB18_439
; %bb.438:
	v_cmp_eq_u32_e32 vcc, 1, v0
	v_cndmask_b32_e32 v21, v2, v3, vcc
	v_cmp_eq_u32_e32 vcc, 2, v0
	v_cndmask_b32_e32 v21, v21, v4, vcc
	;; [unrolled: 2-line block ×14, first 2 shown]
	v_cmp_eq_u32_e32 vcc, 15, v0
	ds_read_b32 v22, v91
	v_cndmask_b32_e32 v21, v21, v17, vcc
	v_cmp_eq_u32_e32 vcc, 16, v0
	v_cndmask_b32_e32 v21, v21, v18, vcc
	v_cmp_eq_u32_e32 vcc, 17, v0
	;; [unrolled: 2-line block ×3, first 2 shown]
	s_waitcnt vmcnt(0)
	v_cndmask_b32_e32 v21, v21, v20, vcc
	s_waitcnt lgkmcnt(0)
	v_mul_f32_e32 v23, v21, v22
	s_cbranch_execz .LBB18_440
	s_branch .LBB18_441
.LBB18_439:
                                        ; implicit-def: $vgpr23
.LBB18_440:
	ds_read_b32 v23, v91
.LBB18_441:
	v_cmp_ne_u32_e32 vcc, 16, v0
	s_and_saveexec_b64 s[8:9], vcc
	s_cbranch_execz .LBB18_445
; %bb.442:
	v_mov_b32_e32 v21, 0x54
	v_lshl_add_u32 v24, v0, 2, v21
	v_mov_b32_e32 v22, v1
	s_mov_b64 s[10:11], 0
	v_mov_b32_e32 v21, v0
.LBB18_443:                             ; =>This Inner Loop Header: Depth=1
	v_add_co_u32_e32 v21, vcc, 1, v21
	v_addc_co_u32_e32 v22, vcc, 0, v22, vcc
	v_cmp_eq_u32_e32 vcc, 1, v21
	v_cndmask_b32_e32 v26, v2, v3, vcc
	v_cmp_lt_u32_e32 vcc, 15, v21
	v_cmp_eq_u32_e64 s[4:5], 2, v21
	v_cndmask_b32_e64 v26, v26, v4, s[4:5]
	s_or_b64 s[10:11], vcc, s[10:11]
	v_cmp_eq_u32_e32 vcc, 3, v21
	v_cndmask_b32_e32 v26, v26, v5, vcc
	v_cmp_eq_u32_e32 vcc, 4, v21
	v_cndmask_b32_e32 v26, v26, v6, vcc
	;; [unrolled: 2-line block ×11, first 2 shown]
	v_cmp_eq_u32_e32 vcc, 14, v21
	ds_read_b32 v25, v24
	v_cndmask_b32_e32 v26, v26, v16, vcc
	v_cmp_eq_u32_e32 vcc, 15, v21
	v_cndmask_b32_e32 v26, v26, v17, vcc
	v_cmp_eq_u32_e32 vcc, 16, v21
	;; [unrolled: 2-line block ×4, first 2 shown]
	s_waitcnt vmcnt(0)
	v_cndmask_b32_e32 v26, v26, v20, vcc
	v_add_u32_e32 v24, 4, v24
	s_waitcnt lgkmcnt(0)
	v_fmac_f32_e32 v23, v26, v25
	s_andn2_b64 exec, exec, s[10:11]
	s_cbranch_execnz .LBB18_443
; %bb.444:
	s_or_b64 exec, exec, s[10:11]
.LBB18_445:
	s_or_b64 exec, exec, s[8:9]
	v_mov_b32_e32 v19, 0
	ds_read_b32 v19, v19 offset:68
	s_waitcnt lgkmcnt(0)
	v_mul_f32_e32 v19, v23, v19
.LBB18_446:
	s_or_b64 exec, exec, s[6:7]
	v_cmp_ne_u32_e32 vcc, 18, v0
	s_waitcnt vmcnt(0)
	ds_write_b32 v91, v20
	s_waitcnt lgkmcnt(0)
	; wave barrier
	s_and_saveexec_b64 s[4:5], vcc
	s_cbranch_execz .LBB18_456
; %bb.447:
	s_and_b64 vcc, exec, s[0:1]
	s_cbranch_vccnz .LBB18_449
; %bb.448:
	v_cmp_eq_u32_e32 vcc, 1, v0
	v_cndmask_b32_e32 v21, v2, v3, vcc
	v_cmp_eq_u32_e32 vcc, 2, v0
	v_cndmask_b32_e32 v21, v21, v4, vcc
	;; [unrolled: 2-line block ×14, first 2 shown]
	v_cmp_eq_u32_e32 vcc, 15, v0
	ds_read_b32 v22, v91
	v_cndmask_b32_e32 v21, v21, v17, vcc
	v_cmp_eq_u32_e32 vcc, 16, v0
	v_cndmask_b32_e32 v21, v21, v18, vcc
	v_cmp_eq_u32_e32 vcc, 17, v0
	;; [unrolled: 2-line block ×3, first 2 shown]
	v_cndmask_b32_e32 v21, v21, v20, vcc
	s_waitcnt lgkmcnt(0)
	v_mul_f32_e32 v21, v21, v22
	s_cbranch_execz .LBB18_450
	s_branch .LBB18_451
.LBB18_449:
                                        ; implicit-def: $vgpr21
.LBB18_450:
	ds_read_b32 v21, v91
.LBB18_451:
	s_and_saveexec_b64 s[6:7], s[2:3]
	s_cbranch_execz .LBB18_455
; %bb.452:
	v_mov_b32_e32 v22, 0x54
	v_lshl_add_u32 v22, v0, 2, v22
	s_mov_b64 s[2:3], 0
.LBB18_453:                             ; =>This Inner Loop Header: Depth=1
	v_add_co_u32_e32 v0, vcc, 1, v0
	v_addc_co_u32_e32 v1, vcc, 0, v1, vcc
	v_cmp_eq_u32_e32 vcc, 1, v0
	v_cndmask_b32_e32 v24, v2, v3, vcc
	v_cmp_lt_u32_e32 vcc, 16, v0
	v_cmp_eq_u32_e64 s[0:1], 2, v0
	v_cndmask_b32_e64 v24, v24, v4, s[0:1]
	s_or_b64 s[2:3], vcc, s[2:3]
	v_cmp_eq_u32_e32 vcc, 3, v0
	v_cndmask_b32_e32 v24, v24, v5, vcc
	v_cmp_eq_u32_e32 vcc, 4, v0
	v_cndmask_b32_e32 v24, v24, v6, vcc
	;; [unrolled: 2-line block ×11, first 2 shown]
	v_cmp_eq_u32_e32 vcc, 14, v0
	ds_read_b32 v23, v22
	v_cndmask_b32_e32 v24, v24, v16, vcc
	v_cmp_eq_u32_e32 vcc, 15, v0
	v_cndmask_b32_e32 v24, v24, v17, vcc
	v_cmp_eq_u32_e32 vcc, 16, v0
	;; [unrolled: 2-line block ×4, first 2 shown]
	v_cndmask_b32_e32 v24, v24, v20, vcc
	v_add_u32_e32 v22, 4, v22
	s_waitcnt lgkmcnt(0)
	v_fmac_f32_e32 v21, v24, v23
	s_andn2_b64 exec, exec, s[2:3]
	s_cbranch_execnz .LBB18_453
; %bb.454:
	s_or_b64 exec, exec, s[2:3]
.LBB18_455:
	s_or_b64 exec, exec, s[6:7]
	v_mov_b32_e32 v0, 0
	ds_read_b32 v0, v0 offset:72
	s_waitcnt lgkmcnt(0)
	v_mul_f32_e32 v20, v21, v0
.LBB18_456:
	s_or_b64 exec, exec, s[4:5]
	v_mov_b32_e32 v52, v33
	v_mov_b32_e32 v51, v32
	;; [unrolled: 1-line block ×32, first 2 shown]
.LBB18_457:
	global_store_dword v[87:88], v21, off
	global_store_dword v[89:90], v22, off
	;; [unrolled: 1-line block ×19, first 2 shown]
.LBB18_458:
	s_endpgm
	.section	.rodata,"a",@progbits
	.p2align	6, 0x0
	.amdhsa_kernel _ZN9rocsolver6v33100L18trti2_kernel_smallILi19EfPfEEv13rocblas_fill_17rocblas_diagonal_T1_iil
		.amdhsa_group_segment_fixed_size 156
		.amdhsa_private_segment_fixed_size 0
		.amdhsa_kernarg_size 32
		.amdhsa_user_sgpr_count 6
		.amdhsa_user_sgpr_private_segment_buffer 1
		.amdhsa_user_sgpr_dispatch_ptr 0
		.amdhsa_user_sgpr_queue_ptr 0
		.amdhsa_user_sgpr_kernarg_segment_ptr 1
		.amdhsa_user_sgpr_dispatch_id 0
		.amdhsa_user_sgpr_flat_scratch_init 0
		.amdhsa_user_sgpr_private_segment_size 0
		.amdhsa_uses_dynamic_stack 0
		.amdhsa_system_sgpr_private_segment_wavefront_offset 0
		.amdhsa_system_sgpr_workgroup_id_x 1
		.amdhsa_system_sgpr_workgroup_id_y 0
		.amdhsa_system_sgpr_workgroup_id_z 0
		.amdhsa_system_sgpr_workgroup_info 0
		.amdhsa_system_vgpr_workitem_id 0
		.amdhsa_next_free_vgpr 109
		.amdhsa_next_free_sgpr 48
		.amdhsa_reserve_vcc 1
		.amdhsa_reserve_flat_scratch 0
		.amdhsa_float_round_mode_32 0
		.amdhsa_float_round_mode_16_64 0
		.amdhsa_float_denorm_mode_32 3
		.amdhsa_float_denorm_mode_16_64 3
		.amdhsa_dx10_clamp 1
		.amdhsa_ieee_mode 1
		.amdhsa_fp16_overflow 0
		.amdhsa_exception_fp_ieee_invalid_op 0
		.amdhsa_exception_fp_denorm_src 0
		.amdhsa_exception_fp_ieee_div_zero 0
		.amdhsa_exception_fp_ieee_overflow 0
		.amdhsa_exception_fp_ieee_underflow 0
		.amdhsa_exception_fp_ieee_inexact 0
		.amdhsa_exception_int_div_zero 0
	.end_amdhsa_kernel
	.section	.text._ZN9rocsolver6v33100L18trti2_kernel_smallILi19EfPfEEv13rocblas_fill_17rocblas_diagonal_T1_iil,"axG",@progbits,_ZN9rocsolver6v33100L18trti2_kernel_smallILi19EfPfEEv13rocblas_fill_17rocblas_diagonal_T1_iil,comdat
.Lfunc_end18:
	.size	_ZN9rocsolver6v33100L18trti2_kernel_smallILi19EfPfEEv13rocblas_fill_17rocblas_diagonal_T1_iil, .Lfunc_end18-_ZN9rocsolver6v33100L18trti2_kernel_smallILi19EfPfEEv13rocblas_fill_17rocblas_diagonal_T1_iil
                                        ; -- End function
	.set _ZN9rocsolver6v33100L18trti2_kernel_smallILi19EfPfEEv13rocblas_fill_17rocblas_diagonal_T1_iil.num_vgpr, 109
	.set _ZN9rocsolver6v33100L18trti2_kernel_smallILi19EfPfEEv13rocblas_fill_17rocblas_diagonal_T1_iil.num_agpr, 0
	.set _ZN9rocsolver6v33100L18trti2_kernel_smallILi19EfPfEEv13rocblas_fill_17rocblas_diagonal_T1_iil.numbered_sgpr, 48
	.set _ZN9rocsolver6v33100L18trti2_kernel_smallILi19EfPfEEv13rocblas_fill_17rocblas_diagonal_T1_iil.num_named_barrier, 0
	.set _ZN9rocsolver6v33100L18trti2_kernel_smallILi19EfPfEEv13rocblas_fill_17rocblas_diagonal_T1_iil.private_seg_size, 0
	.set _ZN9rocsolver6v33100L18trti2_kernel_smallILi19EfPfEEv13rocblas_fill_17rocblas_diagonal_T1_iil.uses_vcc, 1
	.set _ZN9rocsolver6v33100L18trti2_kernel_smallILi19EfPfEEv13rocblas_fill_17rocblas_diagonal_T1_iil.uses_flat_scratch, 0
	.set _ZN9rocsolver6v33100L18trti2_kernel_smallILi19EfPfEEv13rocblas_fill_17rocblas_diagonal_T1_iil.has_dyn_sized_stack, 0
	.set _ZN9rocsolver6v33100L18trti2_kernel_smallILi19EfPfEEv13rocblas_fill_17rocblas_diagonal_T1_iil.has_recursion, 0
	.set _ZN9rocsolver6v33100L18trti2_kernel_smallILi19EfPfEEv13rocblas_fill_17rocblas_diagonal_T1_iil.has_indirect_call, 0
	.section	.AMDGPU.csdata,"",@progbits
; Kernel info:
; codeLenInByte = 24488
; TotalNumSgprs: 52
; NumVgprs: 109
; ScratchSize: 0
; MemoryBound: 0
; FloatMode: 240
; IeeeMode: 1
; LDSByteSize: 156 bytes/workgroup (compile time only)
; SGPRBlocks: 6
; VGPRBlocks: 27
; NumSGPRsForWavesPerEU: 52
; NumVGPRsForWavesPerEU: 109
; Occupancy: 2
; WaveLimiterHint : 0
; COMPUTE_PGM_RSRC2:SCRATCH_EN: 0
; COMPUTE_PGM_RSRC2:USER_SGPR: 6
; COMPUTE_PGM_RSRC2:TRAP_HANDLER: 0
; COMPUTE_PGM_RSRC2:TGID_X_EN: 1
; COMPUTE_PGM_RSRC2:TGID_Y_EN: 0
; COMPUTE_PGM_RSRC2:TGID_Z_EN: 0
; COMPUTE_PGM_RSRC2:TIDIG_COMP_CNT: 0
	.section	.text._ZN9rocsolver6v33100L18trti2_kernel_smallILi20EfPfEEv13rocblas_fill_17rocblas_diagonal_T1_iil,"axG",@progbits,_ZN9rocsolver6v33100L18trti2_kernel_smallILi20EfPfEEv13rocblas_fill_17rocblas_diagonal_T1_iil,comdat
	.globl	_ZN9rocsolver6v33100L18trti2_kernel_smallILi20EfPfEEv13rocblas_fill_17rocblas_diagonal_T1_iil ; -- Begin function _ZN9rocsolver6v33100L18trti2_kernel_smallILi20EfPfEEv13rocblas_fill_17rocblas_diagonal_T1_iil
	.p2align	8
	.type	_ZN9rocsolver6v33100L18trti2_kernel_smallILi20EfPfEEv13rocblas_fill_17rocblas_diagonal_T1_iil,@function
_ZN9rocsolver6v33100L18trti2_kernel_smallILi20EfPfEEv13rocblas_fill_17rocblas_diagonal_T1_iil: ; @_ZN9rocsolver6v33100L18trti2_kernel_smallILi20EfPfEEv13rocblas_fill_17rocblas_diagonal_T1_iil
; %bb.0:
	v_cmp_gt_u32_e32 vcc, 20, v0
	s_and_saveexec_b64 s[0:1], vcc
	s_cbranch_execz .LBB19_484
; %bb.1:
	s_load_dwordx8 s[44:51], s[4:5], 0x0
	s_ashr_i32 s2, s6, 31
	v_lshlrev_b32_e32 v22, 2, v0
	v_mov_b32_e32 v23, -1.0
	s_waitcnt lgkmcnt(0)
	s_mul_hi_u32 s3, s50, s6
	s_mul_i32 s2, s50, s2
	s_add_i32 s2, s3, s2
	s_mul_i32 s3, s51, s6
	s_add_i32 s3, s2, s3
	s_mul_i32 s2, s50, s6
	s_ashr_i32 s1, s48, 31
	s_lshl_b64 s[2:3], s[2:3], 2
	s_mov_b32 s0, s48
	s_add_u32 s2, s46, s2
	s_addc_u32 s3, s47, s3
	s_lshl_b64 s[0:1], s[0:1], 2
	s_add_u32 s0, s2, s0
	s_addc_u32 s1, s3, s1
	s_add_i32 s2, s49, s49
	v_add_u32_e32 v1, s2, v0
	v_ashrrev_i32_e32 v2, 31, v1
	v_lshlrev_b64 v[2:3], 2, v[1:2]
	v_add_u32_e32 v1, s49, v1
	v_mov_b32_e32 v4, s1
	v_add_co_u32_e32 v54, vcc, s0, v2
	v_ashrrev_i32_e32 v2, 31, v1
	v_addc_co_u32_e32 v55, vcc, v4, v3, vcc
	v_lshlrev_b64 v[2:3], 2, v[1:2]
	v_add_u32_e32 v1, s49, v1
	v_add_co_u32_e32 v56, vcc, s0, v2
	v_ashrrev_i32_e32 v2, 31, v1
	v_addc_co_u32_e32 v57, vcc, v4, v3, vcc
	v_lshlrev_b64 v[2:3], 2, v[1:2]
	v_add_u32_e32 v1, s49, v1
	;; [unrolled: 5-line block ×16, first 2 shown]
	v_add_co_u32_e32 v86, vcc, s0, v2
	v_ashrrev_i32_e32 v2, 31, v1
	v_lshlrev_b64 v[1:2], 2, v[1:2]
	v_addc_co_u32_e32 v87, vcc, v4, v3, vcc
	v_mov_b32_e32 v3, s1
	v_add_co_u32_e32 v88, vcc, s0, v1
	v_addc_co_u32_e32 v89, vcc, v3, v2, vcc
	v_mov_b32_e32 v1, s1
	v_add_co_u32_e32 v90, vcc, s0, v22
	s_ashr_i32 s3, s49, 31
	s_mov_b32 s2, s49
	v_addc_co_u32_e32 v91, vcc, 0, v1, vcc
	s_lshl_b64 s[2:3], s[2:3], 2
	v_mov_b32_e32 v1, s3
	v_add_co_u32_e32 v92, vcc, s2, v90
	v_addc_co_u32_e32 v93, vcc, v91, v1, vcc
	global_load_dword v3, v[92:93], off
	global_load_dword v4, v[54:55], off
	global_load_dword v5, v[56:57], off
	global_load_dword v6, v[58:59], off
	global_load_dword v7, v[60:61], off
	global_load_dword v8, v[62:63], off
	global_load_dword v9, v[64:65], off
	global_load_dword v10, v[66:67], off
	global_load_dword v11, v[68:69], off
	global_load_dword v12, v[70:71], off
	global_load_dword v13, v[72:73], off
	global_load_dword v14, v[74:75], off
	global_load_dword v15, v[76:77], off
	global_load_dword v16, v[78:79], off
	global_load_dword v17, v[80:81], off
	global_load_dword v18, v[82:83], off
	global_load_dword v2, v22, s[0:1]
	global_load_dword v19, v[84:85], off
	global_load_dword v20, v[86:87], off
	;; [unrolled: 1-line block ×3, first 2 shown]
	s_cmpk_lg_i32 s45, 0x84
	v_mov_b32_e32 v1, 0
	s_cselect_b64 s[42:43], -1, 0
	s_cmpk_eq_i32 s45, 0x84
	v_cmp_eq_u32_e64 s[0:1], 0, v0
	s_cbranch_scc1 .LBB19_3
; %bb.2:
	v_cmp_eq_u32_e64 s[2:3], 1, v0
	s_waitcnt vmcnt(3)
	v_cndmask_b32_e64 v23, v2, v3, s[2:3]
	v_cmp_eq_u32_e64 s[4:5], 2, v0
	v_cndmask_b32_e64 v23, v23, v4, s[4:5]
	v_cmp_eq_u32_e64 s[6:7], 3, v0
	;; [unrolled: 2-line block ×16, first 2 shown]
	s_waitcnt vmcnt(2)
	v_cndmask_b32_e64 v23, v23, v19, s[36:37]
	v_cmp_eq_u32_e64 s[38:39], 18, v0
	s_waitcnt vmcnt(1)
	v_cndmask_b32_e64 v23, v23, v20, s[38:39]
	v_cmp_eq_u32_e64 s[40:41], 19, v0
	s_waitcnt vmcnt(0)
	v_cndmask_b32_e64 v23, v23, v21, s[40:41]
	v_div_scale_f32 v24, s[46:47], v23, v23, 1.0
	v_div_scale_f32 v25, vcc, 1.0, v23, 1.0
	v_rcp_f32_e32 v26, v24
	v_fma_f32 v27, -v24, v26, 1.0
	v_fmac_f32_e32 v26, v27, v26
	v_mul_f32_e32 v27, v25, v26
	v_fma_f32 v28, -v24, v27, v25
	v_fmac_f32_e32 v27, v28, v26
	v_fma_f32 v24, -v24, v27, v25
	v_div_fmas_f32 v24, v24, v26, v27
	v_div_fixup_f32 v23, v24, v23, 1.0
	v_cndmask_b32_e64 v21, v21, v23, s[40:41]
	v_cndmask_b32_e64 v20, v20, v23, s[38:39]
	;; [unrolled: 1-line block ×20, first 2 shown]
	v_xor_b32_e32 v23, 0x80000000, v23
.LBB19_3:
	s_cmpk_eq_i32 s44, 0x79
	v_add_u32_e32 v94, 0x50, v22
	ds_write_b32 v22, v23
	s_cbranch_scc1 .LBB19_7
; %bb.4:
	s_waitcnt vmcnt(0)
	v_mov_b32_e32 v53, v33
	v_mov_b32_e32 v52, v32
	;; [unrolled: 1-line block ×32, first 2 shown]
	v_cmp_eq_u32_e64 s[0:1], 19, v0
	ds_write_b32 v94, v20
	s_waitcnt lgkmcnt(0)
	; wave barrier
	s_and_saveexec_b64 s[2:3], s[0:1]
	s_cbranch_execz .LBB19_11
; %bb.5:
	s_and_b64 vcc, exec, s[42:43]
	s_cbranch_vccz .LBB19_8
; %bb.6:
	v_cmp_eq_u32_e32 vcc, 1, v0
	v_cndmask_b32_e32 v22, v2, v3, vcc
	v_cmp_eq_u32_e32 vcc, 2, v0
	v_cndmask_b32_e32 v22, v22, v4, vcc
	;; [unrolled: 2-line block ×15, first 2 shown]
	v_cmp_eq_u32_e32 vcc, 16, v0
	ds_read_b32 v23, v94
	v_cndmask_b32_e32 v22, v22, v18, vcc
	v_cmp_eq_u32_e32 vcc, 17, v0
	v_cndmask_b32_e32 v22, v22, v19, vcc
	v_cmp_eq_u32_e32 vcc, 18, v0
	;; [unrolled: 2-line block ×3, first 2 shown]
	v_cndmask_b32_e32 v22, v22, v21, vcc
	s_waitcnt lgkmcnt(0)
	v_mul_f32_e32 v26, v22, v23
	s_cbranch_execz .LBB19_9
	s_branch .LBB19_10
.LBB19_7:
                                        ; implicit-def: $vgpr22_vgpr23_vgpr24_vgpr25_vgpr26_vgpr27_vgpr28_vgpr29_vgpr30_vgpr31_vgpr32_vgpr33_vgpr34_vgpr35_vgpr36_vgpr37_vgpr38_vgpr39_vgpr40_vgpr41_vgpr42_vgpr43_vgpr44_vgpr45_vgpr46_vgpr47_vgpr48_vgpr49_vgpr50_vgpr51_vgpr52_vgpr53
	s_cbranch_execnz .LBB19_290
	s_branch .LBB19_483
.LBB19_8:
                                        ; implicit-def: $vgpr26
.LBB19_9:
	ds_read_b32 v26, v94
.LBB19_10:
	v_mov_b32_e32 v22, 0
	ds_read_b32 v27, v22 offset:72
	v_mov_b32_e32 v22, v2
	v_mov_b32_e32 v23, v3
	;; [unrolled: 1-line block ×4, first 2 shown]
	s_waitcnt lgkmcnt(0)
	v_mul_f32_e32 v40, v26, v27
	v_mov_b32_e32 v26, v6
	v_mov_b32_e32 v27, v7
	;; [unrolled: 1-line block ×15, first 2 shown]
.LBB19_11:
	s_or_b64 exec, exec, s[2:3]
	v_cmp_lt_u32_e64 s[2:3], 17, v0
	ds_write_b32 v94, v39
	s_waitcnt lgkmcnt(0)
	; wave barrier
	s_and_saveexec_b64 s[4:5], s[2:3]
	s_cbranch_execz .LBB19_17
; %bb.12:
	s_andn2_b64 vcc, exec, s[42:43]
	s_cbranch_vccnz .LBB19_14
; %bb.13:
	v_cmp_eq_u32_e32 vcc, 1, v0
	v_cndmask_b32_e32 v42, v22, v23, vcc
	v_cmp_eq_u32_e32 vcc, 2, v0
	v_cndmask_b32_e32 v42, v42, v24, vcc
	;; [unrolled: 2-line block ×17, first 2 shown]
	ds_read_b32 v42, v94
	v_cmp_eq_u32_e32 vcc, 18, v0
	v_cndmask_b32_e32 v39, v39, v40, vcc
	v_cmp_eq_u32_e32 vcc, 19, v0
	v_cndmask_b32_e32 v39, v39, v41, vcc
	s_waitcnt lgkmcnt(0)
	v_mul_f32_e32 v39, v39, v42
	s_cbranch_execz .LBB19_15
	s_branch .LBB19_16
.LBB19_14:
                                        ; implicit-def: $vgpr39
.LBB19_15:
	ds_read_b32 v39, v94
.LBB19_16:
	v_mov_b32_e32 v42, 0
	ds_read2_b32 v[42:43], v42 offset0:17 offset1:38
	s_waitcnt lgkmcnt(0)
	v_fma_f32 v43, v40, v43, v39
	v_cndmask_b32_e64 v39, v39, v43, s[0:1]
	v_mul_f32_e32 v39, v39, v42
.LBB19_17:
	s_or_b64 exec, exec, s[4:5]
	v_cmp_lt_u32_e64 s[0:1], 16, v0
	ds_write_b32 v94, v38
	s_waitcnt lgkmcnt(0)
	; wave barrier
	s_and_saveexec_b64 s[4:5], s[0:1]
	s_cbranch_execz .LBB19_33
; %bb.18:
	s_andn2_b64 vcc, exec, s[42:43]
	s_cbranch_vccnz .LBB19_20
; %bb.19:
	v_cmp_eq_u32_e32 vcc, 1, v0
	v_cndmask_b32_e32 v95, v22, v23, vcc
	v_cmp_eq_u32_e32 vcc, 2, v0
	v_cndmask_b32_e32 v95, v95, v24, vcc
	;; [unrolled: 2-line block ×15, first 2 shown]
	v_cmp_eq_u32_e32 vcc, 16, v0
	ds_read_b32 v96, v94
	v_cndmask_b32_e32 v95, v95, v38, vcc
	v_cmp_eq_u32_e32 vcc, 17, v0
	v_cndmask_b32_e32 v95, v95, v39, vcc
	v_cmp_eq_u32_e32 vcc, 18, v0
	;; [unrolled: 2-line block ×3, first 2 shown]
	v_cndmask_b32_e32 v95, v95, v41, vcc
	s_waitcnt lgkmcnt(0)
	v_mul_f32_e32 v95, v95, v96
	s_cbranch_execz .LBB19_21
	s_branch .LBB19_22
.LBB19_20:
                                        ; implicit-def: $vgpr95
.LBB19_21:
	ds_read_b32 v95, v94
.LBB19_22:
	s_and_saveexec_b64 s[6:7], s[2:3]
	s_cbranch_execz .LBB19_32
; %bb.23:
	v_subrev_u32_e32 v98, 18, v0
	v_mov_b32_e32 v96, 17
	v_subrev_u32_e32 v97, 17, v0
	v_cmp_lt_u32_e32 vcc, 6, v98
	s_and_saveexec_b64 s[2:3], vcc
	s_cbranch_execz .LBB19_27
; %bb.24:
	v_and_b32_e32 v96, -8, v97
	v_sub_u32_e32 v98, 0, v96
	s_mov_b64 s[8:9], 24
	s_movk_i32 s12, 0x94
	s_mov_b64 s[10:11], 0
.LBB19_25:                              ; =>This Inner Loop Header: Depth=1
	s_add_i32 s13, s8, -7
	v_mov_b32_e32 v96, s12
	s_add_i32 s14, s8, -6
	s_set_gpr_idx_on s13, gpr_idx(SRC0)
	v_mov_b32_e32 v105, v22
	s_set_gpr_idx_off
	ds_read2_b32 v[99:100], v96 offset1:1
	s_add_i32 s15, s8, -5
	s_set_gpr_idx_on s14, gpr_idx(SRC0)
	v_mov_b32_e32 v106, v22
	s_set_gpr_idx_off
	s_add_i32 s16, s8, -4
	s_set_gpr_idx_on s15, gpr_idx(SRC0)
	v_mov_b32_e32 v107, v22
	s_set_gpr_idx_off
	ds_read2_b32 v[101:102], v96 offset0:2 offset1:3
	s_add_i32 s17, s8, -3
	s_set_gpr_idx_on s16, gpr_idx(SRC0)
	v_mov_b32_e32 v108, v22
	s_set_gpr_idx_off
	s_add_i32 s18, s8, -2
	s_set_gpr_idx_on s17, gpr_idx(SRC0)
	v_mov_b32_e32 v109, v22
	s_set_gpr_idx_off
	ds_read2_b32 v[103:104], v96 offset0:4 offset1:5
	s_add_i32 s19, s8, -1
	s_waitcnt lgkmcnt(2)
	v_fmac_f32_e32 v95, v105, v99
	s_set_gpr_idx_on s18, gpr_idx(SRC0)
	v_mov_b32_e32 v105, v22
	s_set_gpr_idx_off
	v_fmac_f32_e32 v95, v106, v100
	s_set_gpr_idx_on s19, gpr_idx(SRC0)
	v_mov_b32_e32 v106, v22
	s_set_gpr_idx_off
	ds_read2_b32 v[99:100], v96 offset0:6 offset1:7
	s_waitcnt lgkmcnt(2)
	v_fmac_f32_e32 v95, v107, v101
	s_set_gpr_idx_on s8, gpr_idx(SRC0)
	v_mov_b32_e32 v101, v22
	s_set_gpr_idx_off
	v_fmac_f32_e32 v95, v108, v102
	s_add_u32 s8, s8, 8
	s_waitcnt lgkmcnt(1)
	v_fmac_f32_e32 v95, v109, v103
	v_add_u32_e32 v96, s8, v98
	v_fmac_f32_e32 v95, v105, v104
	s_addc_u32 s9, s9, 0
	s_add_i32 s12, s12, 32
	s_add_i32 s13, s8, -7
	v_cmp_eq_u32_e32 vcc, 24, v96
	s_waitcnt lgkmcnt(0)
	v_fmac_f32_e32 v95, v106, v99
	v_mov_b32_e32 v96, s13
	s_or_b64 s[10:11], vcc, s[10:11]
	v_fmac_f32_e32 v95, v101, v100
	s_andn2_b64 exec, exec, s[10:11]
	s_cbranch_execnz .LBB19_25
; %bb.26:
	s_or_b64 exec, exec, s[10:11]
.LBB19_27:
	s_or_b64 exec, exec, s[2:3]
	v_and_b32_e32 v42, 7, v97
	v_cmp_ne_u32_e32 vcc, 0, v42
	s_and_saveexec_b64 s[8:9], vcc
	s_cbranch_execz .LBB19_31
; %bb.28:
	v_mov_b32_e32 v43, 0x50
	v_lshl_add_u32 v43, v96, 2, v43
	v_mov_b32_e32 v44, 0
	s_mov_b64 s[10:11], 0
.LBB19_29:                              ; =>This Inner Loop Header: Depth=1
	v_cmp_eq_u32_e32 vcc, 1, v96
	v_cndmask_b32_e32 v45, v22, v23, vcc
	v_add_u32_e32 v42, -1, v42
	v_cmp_eq_u32_e32 vcc, 2, v96
	v_cndmask_b32_e32 v45, v45, v24, vcc
	v_cmp_eq_u32_e32 vcc, 0, v42
	v_cmp_eq_u32_e64 s[2:3], 3, v96
	v_cndmask_b32_e64 v45, v45, v25, s[2:3]
	s_or_b64 s[10:11], vcc, s[10:11]
	v_cmp_eq_u32_e32 vcc, 4, v96
	v_cndmask_b32_e32 v45, v45, v26, vcc
	v_cmp_eq_u32_e32 vcc, 5, v96
	v_cndmask_b32_e32 v45, v45, v27, vcc
	;; [unrolled: 2-line block ×11, first 2 shown]
	v_cmp_eq_u32_e32 vcc, 15, v96
	ds_read_b32 v46, v43
	v_cndmask_b32_e32 v45, v45, v37, vcc
	v_cmp_eq_u32_e32 vcc, 16, v96
	v_cndmask_b32_e32 v45, v45, v38, vcc
	v_cmp_eq_u32_e32 vcc, 17, v96
	;; [unrolled: 2-line block ×4, first 2 shown]
	v_add_co_u32_e64 v96, s[2:3], 1, v96
	v_cndmask_b32_e32 v45, v45, v41, vcc
	v_add_u32_e32 v43, 4, v43
	v_addc_co_u32_e64 v44, s[2:3], 0, v44, s[2:3]
	s_waitcnt lgkmcnt(0)
	v_fmac_f32_e32 v95, v45, v46
	s_andn2_b64 exec, exec, s[10:11]
	s_cbranch_execnz .LBB19_29
; %bb.30:
	s_or_b64 exec, exec, s[10:11]
.LBB19_31:
	s_or_b64 exec, exec, s[8:9]
.LBB19_32:
	s_or_b64 exec, exec, s[6:7]
	v_mov_b32_e32 v38, 0
	ds_read_b32 v38, v38 offset:64
	s_waitcnt lgkmcnt(0)
	v_mul_f32_e32 v38, v95, v38
.LBB19_33:
	s_or_b64 exec, exec, s[4:5]
	v_cmp_lt_u32_e64 s[2:3], 15, v0
	ds_write_b32 v94, v37
	s_waitcnt lgkmcnt(0)
	; wave barrier
	s_and_saveexec_b64 s[4:5], s[2:3]
	s_cbranch_execz .LBB19_49
; %bb.34:
	s_andn2_b64 vcc, exec, s[42:43]
	s_cbranch_vccnz .LBB19_36
; %bb.35:
	v_cmp_eq_u32_e32 vcc, 1, v0
	v_cndmask_b32_e32 v95, v22, v23, vcc
	v_cmp_eq_u32_e32 vcc, 2, v0
	v_cndmask_b32_e32 v95, v95, v24, vcc
	v_cmp_eq_u32_e32 vcc, 3, v0
	v_cndmask_b32_e32 v95, v95, v25, vcc
	v_cmp_eq_u32_e32 vcc, 4, v0
	v_cndmask_b32_e32 v95, v95, v26, vcc
	v_cmp_eq_u32_e32 vcc, 5, v0
	v_cndmask_b32_e32 v95, v95, v27, vcc
	v_cmp_eq_u32_e32 vcc, 6, v0
	v_cndmask_b32_e32 v95, v95, v28, vcc
	v_cmp_eq_u32_e32 vcc, 7, v0
	v_cndmask_b32_e32 v95, v95, v29, vcc
	v_cmp_eq_u32_e32 vcc, 8, v0
	v_cndmask_b32_e32 v95, v95, v30, vcc
	v_cmp_eq_u32_e32 vcc, 9, v0
	v_cndmask_b32_e32 v95, v95, v31, vcc
	v_cmp_eq_u32_e32 vcc, 10, v0
	v_cndmask_b32_e32 v95, v95, v32, vcc
	v_cmp_eq_u32_e32 vcc, 11, v0
	v_cndmask_b32_e32 v95, v95, v33, vcc
	v_cmp_eq_u32_e32 vcc, 12, v0
	v_cndmask_b32_e32 v95, v95, v34, vcc
	v_cmp_eq_u32_e32 vcc, 13, v0
	v_cndmask_b32_e32 v95, v95, v35, vcc
	v_cmp_eq_u32_e32 vcc, 14, v0
	v_cndmask_b32_e32 v95, v95, v36, vcc
	v_cmp_eq_u32_e32 vcc, 15, v0
	v_cndmask_b32_e32 v95, v95, v37, vcc
	v_cmp_eq_u32_e32 vcc, 16, v0
	ds_read_b32 v96, v94
	v_cndmask_b32_e32 v95, v95, v38, vcc
	v_cmp_eq_u32_e32 vcc, 17, v0
	v_cndmask_b32_e32 v95, v95, v39, vcc
	v_cmp_eq_u32_e32 vcc, 18, v0
	;; [unrolled: 2-line block ×3, first 2 shown]
	v_cndmask_b32_e32 v95, v95, v41, vcc
	s_waitcnt lgkmcnt(0)
	v_mul_f32_e32 v95, v95, v96
	s_cbranch_execz .LBB19_37
	s_branch .LBB19_38
.LBB19_36:
                                        ; implicit-def: $vgpr95
.LBB19_37:
	ds_read_b32 v95, v94
.LBB19_38:
	s_and_saveexec_b64 s[6:7], s[0:1]
	s_cbranch_execz .LBB19_48
; %bb.39:
	v_subrev_u32_e32 v96, 17, v0
	v_cmp_lt_u32_e32 vcc, 6, v96
	v_mov_b32_e32 v96, 16
	s_and_saveexec_b64 s[0:1], vcc
	s_cbranch_execz .LBB19_43
; %bb.40:
	v_and_b32_e32 v96, 24, v0
	v_sub_u32_e32 v97, 0, v96
	s_mov_b64 s[8:9], 23
	s_movk_i32 s12, 0x90
	s_mov_b64 s[10:11], 0
.LBB19_41:                              ; =>This Inner Loop Header: Depth=1
	s_add_i32 s13, s8, -7
	v_mov_b32_e32 v96, s12
	s_add_i32 s14, s8, -6
	s_set_gpr_idx_on s13, gpr_idx(SRC0)
	v_mov_b32_e32 v106, v22
	s_set_gpr_idx_off
	s_add_i32 s15, s8, -5
	ds_read_b128 v[98:101], v96
	ds_read_b128 v[102:105], v96 offset:16
	s_set_gpr_idx_on s14, gpr_idx(SRC0)
	v_mov_b32_e32 v96, v22
	s_set_gpr_idx_off
	s_add_i32 s16, s8, -4
	s_set_gpr_idx_on s15, gpr_idx(SRC0)
	v_mov_b32_e32 v107, v22
	s_set_gpr_idx_off
	s_add_i32 s17, s8, -3
	;; [unrolled: 4-line block ×4, first 2 shown]
	s_waitcnt lgkmcnt(1)
	v_fmac_f32_e32 v95, v106, v98
	s_set_gpr_idx_on s18, gpr_idx(SRC0)
	v_mov_b32_e32 v98, v22
	s_set_gpr_idx_off
	v_fmac_f32_e32 v95, v96, v99
	s_set_gpr_idx_on s19, gpr_idx(SRC0)
	v_mov_b32_e32 v99, v22
	s_set_gpr_idx_off
	;; [unrolled: 4-line block ×3, first 2 shown]
	v_fmac_f32_e32 v95, v108, v101
	s_add_u32 s8, s8, 8
	s_waitcnt lgkmcnt(0)
	v_fmac_f32_e32 v95, v109, v102
	v_add_u32_e32 v96, s8, v97
	v_fmac_f32_e32 v95, v98, v103
	s_addc_u32 s9, s9, 0
	s_add_i32 s12, s12, 32
	s_add_i32 s13, s8, -7
	v_cmp_eq_u32_e32 vcc, 7, v96
	v_fmac_f32_e32 v95, v99, v104
	v_mov_b32_e32 v96, s13
	s_or_b64 s[10:11], vcc, s[10:11]
	v_fmac_f32_e32 v95, v100, v105
	s_andn2_b64 exec, exec, s[10:11]
	s_cbranch_execnz .LBB19_41
; %bb.42:
	s_or_b64 exec, exec, s[10:11]
.LBB19_43:
	s_or_b64 exec, exec, s[0:1]
	v_and_b32_e32 v42, 7, v0
	v_cmp_ne_u32_e32 vcc, 0, v42
	s_and_saveexec_b64 s[8:9], vcc
	s_cbranch_execz .LBB19_47
; %bb.44:
	v_mov_b32_e32 v43, 0x50
	v_lshl_add_u32 v43, v96, 2, v43
	v_mov_b32_e32 v44, 0
	s_mov_b64 s[10:11], 0
.LBB19_45:                              ; =>This Inner Loop Header: Depth=1
	v_cmp_eq_u32_e32 vcc, 1, v96
	v_cndmask_b32_e32 v45, v22, v23, vcc
	v_add_u32_e32 v42, -1, v42
	v_cmp_eq_u32_e32 vcc, 2, v96
	v_cndmask_b32_e32 v45, v45, v24, vcc
	v_cmp_eq_u32_e32 vcc, 0, v42
	v_cmp_eq_u32_e64 s[0:1], 3, v96
	v_cndmask_b32_e64 v45, v45, v25, s[0:1]
	s_or_b64 s[10:11], vcc, s[10:11]
	v_cmp_eq_u32_e32 vcc, 4, v96
	v_cndmask_b32_e32 v45, v45, v26, vcc
	v_cmp_eq_u32_e32 vcc, 5, v96
	v_cndmask_b32_e32 v45, v45, v27, vcc
	;; [unrolled: 2-line block ×11, first 2 shown]
	v_cmp_eq_u32_e32 vcc, 15, v96
	ds_read_b32 v46, v43
	v_cndmask_b32_e32 v45, v45, v37, vcc
	v_cmp_eq_u32_e32 vcc, 16, v96
	v_cndmask_b32_e32 v45, v45, v38, vcc
	v_cmp_eq_u32_e32 vcc, 17, v96
	;; [unrolled: 2-line block ×4, first 2 shown]
	v_add_co_u32_e64 v96, s[0:1], 1, v96
	v_cndmask_b32_e32 v45, v45, v41, vcc
	v_add_u32_e32 v43, 4, v43
	v_addc_co_u32_e64 v44, s[0:1], 0, v44, s[0:1]
	s_waitcnt lgkmcnt(0)
	v_fmac_f32_e32 v95, v45, v46
	s_andn2_b64 exec, exec, s[10:11]
	s_cbranch_execnz .LBB19_45
; %bb.46:
	s_or_b64 exec, exec, s[10:11]
.LBB19_47:
	s_or_b64 exec, exec, s[8:9]
.LBB19_48:
	s_or_b64 exec, exec, s[6:7]
	v_mov_b32_e32 v37, 0
	ds_read_b32 v37, v37 offset:60
	s_waitcnt lgkmcnt(0)
	v_mul_f32_e32 v37, v95, v37
.LBB19_49:
	s_or_b64 exec, exec, s[4:5]
	v_cmp_lt_u32_e64 s[0:1], 14, v0
	ds_write_b32 v94, v36
	s_waitcnt lgkmcnt(0)
	; wave barrier
	s_and_saveexec_b64 s[4:5], s[0:1]
	s_cbranch_execz .LBB19_65
; %bb.50:
	s_andn2_b64 vcc, exec, s[42:43]
	s_cbranch_vccnz .LBB19_52
; %bb.51:
	v_cmp_eq_u32_e32 vcc, 1, v0
	v_cndmask_b32_e32 v95, v22, v23, vcc
	v_cmp_eq_u32_e32 vcc, 2, v0
	v_cndmask_b32_e32 v95, v95, v24, vcc
	;; [unrolled: 2-line block ×15, first 2 shown]
	v_cmp_eq_u32_e32 vcc, 16, v0
	ds_read_b32 v96, v94
	v_cndmask_b32_e32 v95, v95, v38, vcc
	v_cmp_eq_u32_e32 vcc, 17, v0
	v_cndmask_b32_e32 v95, v95, v39, vcc
	v_cmp_eq_u32_e32 vcc, 18, v0
	;; [unrolled: 2-line block ×3, first 2 shown]
	v_cndmask_b32_e32 v95, v95, v41, vcc
	s_waitcnt lgkmcnt(0)
	v_mul_f32_e32 v95, v95, v96
	s_cbranch_execz .LBB19_53
	s_branch .LBB19_54
.LBB19_52:
                                        ; implicit-def: $vgpr95
.LBB19_53:
	ds_read_b32 v95, v94
.LBB19_54:
	s_and_saveexec_b64 s[6:7], s[2:3]
	s_cbranch_execz .LBB19_64
; %bb.55:
	v_add_u32_e32 v96, -16, v0
	v_add_u32_e32 v97, -15, v0
	v_cmp_lt_u32_e32 vcc, 6, v96
	v_mov_b32_e32 v96, 15
	s_and_saveexec_b64 s[2:3], vcc
	s_cbranch_execz .LBB19_59
; %bb.56:
	v_and_b32_e32 v96, -8, v97
	v_sub_u32_e32 v98, 0, v96
	s_mov_b64 s[8:9], 22
	s_movk_i32 s12, 0x8c
	s_mov_b64 s[10:11], 0
.LBB19_57:                              ; =>This Inner Loop Header: Depth=1
	s_add_i32 s13, s8, -7
	v_mov_b32_e32 v96, s12
	s_add_i32 s14, s8, -6
	s_set_gpr_idx_on s13, gpr_idx(SRC0)
	v_mov_b32_e32 v105, v22
	s_set_gpr_idx_off
	ds_read2_b32 v[99:100], v96 offset1:1
	s_add_i32 s15, s8, -5
	s_set_gpr_idx_on s14, gpr_idx(SRC0)
	v_mov_b32_e32 v106, v22
	s_set_gpr_idx_off
	s_add_i32 s16, s8, -4
	s_set_gpr_idx_on s15, gpr_idx(SRC0)
	v_mov_b32_e32 v107, v22
	s_set_gpr_idx_off
	ds_read2_b32 v[101:102], v96 offset0:2 offset1:3
	s_add_i32 s17, s8, -3
	s_set_gpr_idx_on s16, gpr_idx(SRC0)
	v_mov_b32_e32 v108, v22
	s_set_gpr_idx_off
	s_add_i32 s18, s8, -2
	s_set_gpr_idx_on s17, gpr_idx(SRC0)
	v_mov_b32_e32 v109, v22
	s_set_gpr_idx_off
	ds_read2_b32 v[103:104], v96 offset0:4 offset1:5
	s_add_i32 s19, s8, -1
	s_waitcnt lgkmcnt(2)
	v_fmac_f32_e32 v95, v105, v99
	s_set_gpr_idx_on s18, gpr_idx(SRC0)
	v_mov_b32_e32 v105, v22
	s_set_gpr_idx_off
	v_fmac_f32_e32 v95, v106, v100
	s_set_gpr_idx_on s19, gpr_idx(SRC0)
	v_mov_b32_e32 v106, v22
	s_set_gpr_idx_off
	ds_read2_b32 v[99:100], v96 offset0:6 offset1:7
	s_waitcnt lgkmcnt(2)
	v_fmac_f32_e32 v95, v107, v101
	s_set_gpr_idx_on s8, gpr_idx(SRC0)
	v_mov_b32_e32 v101, v22
	s_set_gpr_idx_off
	v_fmac_f32_e32 v95, v108, v102
	s_add_u32 s8, s8, 8
	s_waitcnt lgkmcnt(1)
	v_fmac_f32_e32 v95, v109, v103
	v_add_u32_e32 v96, s8, v98
	v_fmac_f32_e32 v95, v105, v104
	s_addc_u32 s9, s9, 0
	s_add_i32 s12, s12, 32
	s_add_i32 s13, s8, -7
	v_cmp_eq_u32_e32 vcc, 22, v96
	s_waitcnt lgkmcnt(0)
	v_fmac_f32_e32 v95, v106, v99
	v_mov_b32_e32 v96, s13
	s_or_b64 s[10:11], vcc, s[10:11]
	v_fmac_f32_e32 v95, v101, v100
	s_andn2_b64 exec, exec, s[10:11]
	s_cbranch_execnz .LBB19_57
; %bb.58:
	s_or_b64 exec, exec, s[10:11]
.LBB19_59:
	s_or_b64 exec, exec, s[2:3]
	v_and_b32_e32 v42, 7, v97
	v_cmp_ne_u32_e32 vcc, 0, v42
	s_and_saveexec_b64 s[8:9], vcc
	s_cbranch_execz .LBB19_63
; %bb.60:
	v_mov_b32_e32 v43, 0x50
	v_lshl_add_u32 v43, v96, 2, v43
	v_mov_b32_e32 v44, 0
	s_mov_b64 s[10:11], 0
.LBB19_61:                              ; =>This Inner Loop Header: Depth=1
	v_cmp_eq_u32_e32 vcc, 1, v96
	v_cndmask_b32_e32 v45, v22, v23, vcc
	v_add_u32_e32 v42, -1, v42
	v_cmp_eq_u32_e32 vcc, 2, v96
	v_cndmask_b32_e32 v45, v45, v24, vcc
	v_cmp_eq_u32_e32 vcc, 0, v42
	v_cmp_eq_u32_e64 s[2:3], 3, v96
	v_cndmask_b32_e64 v45, v45, v25, s[2:3]
	s_or_b64 s[10:11], vcc, s[10:11]
	v_cmp_eq_u32_e32 vcc, 4, v96
	v_cndmask_b32_e32 v45, v45, v26, vcc
	v_cmp_eq_u32_e32 vcc, 5, v96
	v_cndmask_b32_e32 v45, v45, v27, vcc
	;; [unrolled: 2-line block ×11, first 2 shown]
	v_cmp_eq_u32_e32 vcc, 15, v96
	ds_read_b32 v46, v43
	v_cndmask_b32_e32 v45, v45, v37, vcc
	v_cmp_eq_u32_e32 vcc, 16, v96
	v_cndmask_b32_e32 v45, v45, v38, vcc
	v_cmp_eq_u32_e32 vcc, 17, v96
	;; [unrolled: 2-line block ×4, first 2 shown]
	v_add_co_u32_e64 v96, s[2:3], 1, v96
	v_cndmask_b32_e32 v45, v45, v41, vcc
	v_add_u32_e32 v43, 4, v43
	v_addc_co_u32_e64 v44, s[2:3], 0, v44, s[2:3]
	s_waitcnt lgkmcnt(0)
	v_fmac_f32_e32 v95, v45, v46
	s_andn2_b64 exec, exec, s[10:11]
	s_cbranch_execnz .LBB19_61
; %bb.62:
	s_or_b64 exec, exec, s[10:11]
.LBB19_63:
	s_or_b64 exec, exec, s[8:9]
.LBB19_64:
	s_or_b64 exec, exec, s[6:7]
	v_mov_b32_e32 v36, 0
	ds_read_b32 v36, v36 offset:56
	s_waitcnt lgkmcnt(0)
	v_mul_f32_e32 v36, v95, v36
.LBB19_65:
	s_or_b64 exec, exec, s[4:5]
	v_cmp_lt_u32_e64 s[2:3], 13, v0
	ds_write_b32 v94, v35
	s_waitcnt lgkmcnt(0)
	; wave barrier
	s_and_saveexec_b64 s[4:5], s[2:3]
	s_cbranch_execz .LBB19_81
; %bb.66:
	s_andn2_b64 vcc, exec, s[42:43]
	s_cbranch_vccnz .LBB19_68
; %bb.67:
	v_cmp_eq_u32_e32 vcc, 1, v0
	v_cndmask_b32_e32 v95, v22, v23, vcc
	v_cmp_eq_u32_e32 vcc, 2, v0
	v_cndmask_b32_e32 v95, v95, v24, vcc
	;; [unrolled: 2-line block ×15, first 2 shown]
	v_cmp_eq_u32_e32 vcc, 16, v0
	ds_read_b32 v96, v94
	v_cndmask_b32_e32 v95, v95, v38, vcc
	v_cmp_eq_u32_e32 vcc, 17, v0
	v_cndmask_b32_e32 v95, v95, v39, vcc
	v_cmp_eq_u32_e32 vcc, 18, v0
	;; [unrolled: 2-line block ×3, first 2 shown]
	v_cndmask_b32_e32 v95, v95, v41, vcc
	s_waitcnt lgkmcnt(0)
	v_mul_f32_e32 v95, v95, v96
	s_cbranch_execz .LBB19_69
	s_branch .LBB19_70
.LBB19_68:
                                        ; implicit-def: $vgpr95
.LBB19_69:
	ds_read_b32 v95, v94
.LBB19_70:
	s_and_saveexec_b64 s[6:7], s[0:1]
	s_cbranch_execz .LBB19_80
; %bb.71:
	v_add_u32_e32 v96, -15, v0
	v_add_u32_e32 v97, -14, v0
	v_cmp_lt_u32_e32 vcc, 6, v96
	v_mov_b32_e32 v96, 14
	s_and_saveexec_b64 s[0:1], vcc
	s_cbranch_execz .LBB19_75
; %bb.72:
	v_and_b32_e32 v96, -8, v97
	v_sub_u32_e32 v98, 0, v96
	s_mov_b64 s[8:9], 21
	s_movk_i32 s12, 0x88
	s_mov_b64 s[10:11], 0
.LBB19_73:                              ; =>This Inner Loop Header: Depth=1
	s_add_i32 s13, s8, -7
	v_mov_b32_e32 v96, s12
	s_add_i32 s14, s8, -6
	s_set_gpr_idx_on s13, gpr_idx(SRC0)
	v_mov_b32_e32 v107, v22
	s_set_gpr_idx_off
	ds_read2_b64 v[99:102], v96 offset1:1
	s_add_i32 s15, s8, -5
	s_set_gpr_idx_on s14, gpr_idx(SRC0)
	v_mov_b32_e32 v108, v22
	s_set_gpr_idx_off
	s_add_i32 s16, s8, -4
	s_set_gpr_idx_on s15, gpr_idx(SRC0)
	v_mov_b32_e32 v109, v22
	s_set_gpr_idx_off
	s_add_i32 s17, s8, -3
	s_set_gpr_idx_on s16, gpr_idx(SRC0)
	v_mov_b32_e32 v110, v22
	s_set_gpr_idx_off
	s_add_i32 s18, s8, -2
	s_set_gpr_idx_on s17, gpr_idx(SRC0)
	v_mov_b32_e32 v111, v22
	s_set_gpr_idx_off
	ds_read2_b64 v[103:106], v96 offset0:2 offset1:3
	s_add_i32 s19, s8, -1
	s_waitcnt lgkmcnt(1)
	v_fmac_f32_e32 v95, v107, v99
	s_set_gpr_idx_on s18, gpr_idx(SRC0)
	v_mov_b32_e32 v99, v22
	s_set_gpr_idx_off
	v_fmac_f32_e32 v95, v108, v100
	s_set_gpr_idx_on s19, gpr_idx(SRC0)
	v_mov_b32_e32 v100, v22
	s_set_gpr_idx_off
	;; [unrolled: 4-line block ×3, first 2 shown]
	v_fmac_f32_e32 v95, v110, v102
	s_add_u32 s8, s8, 8
	s_waitcnt lgkmcnt(0)
	v_fmac_f32_e32 v95, v111, v103
	v_add_u32_e32 v96, s8, v98
	v_fmac_f32_e32 v95, v99, v104
	s_addc_u32 s9, s9, 0
	s_add_i32 s12, s12, 32
	s_add_i32 s13, s8, -7
	v_cmp_eq_u32_e32 vcc, 21, v96
	v_fmac_f32_e32 v95, v100, v105
	v_mov_b32_e32 v96, s13
	s_or_b64 s[10:11], vcc, s[10:11]
	v_fmac_f32_e32 v95, v101, v106
	s_andn2_b64 exec, exec, s[10:11]
	s_cbranch_execnz .LBB19_73
; %bb.74:
	s_or_b64 exec, exec, s[10:11]
.LBB19_75:
	s_or_b64 exec, exec, s[0:1]
	v_and_b32_e32 v42, 7, v97
	v_cmp_ne_u32_e32 vcc, 0, v42
	s_and_saveexec_b64 s[8:9], vcc
	s_cbranch_execz .LBB19_79
; %bb.76:
	v_mov_b32_e32 v43, 0x50
	v_lshl_add_u32 v43, v96, 2, v43
	v_mov_b32_e32 v44, 0
	s_mov_b64 s[10:11], 0
.LBB19_77:                              ; =>This Inner Loop Header: Depth=1
	v_cmp_eq_u32_e32 vcc, 1, v96
	v_cndmask_b32_e32 v45, v22, v23, vcc
	v_add_u32_e32 v42, -1, v42
	v_cmp_eq_u32_e32 vcc, 2, v96
	v_cndmask_b32_e32 v45, v45, v24, vcc
	v_cmp_eq_u32_e32 vcc, 0, v42
	v_cmp_eq_u32_e64 s[0:1], 3, v96
	v_cndmask_b32_e64 v45, v45, v25, s[0:1]
	s_or_b64 s[10:11], vcc, s[10:11]
	v_cmp_eq_u32_e32 vcc, 4, v96
	v_cndmask_b32_e32 v45, v45, v26, vcc
	v_cmp_eq_u32_e32 vcc, 5, v96
	v_cndmask_b32_e32 v45, v45, v27, vcc
	;; [unrolled: 2-line block ×11, first 2 shown]
	v_cmp_eq_u32_e32 vcc, 15, v96
	ds_read_b32 v46, v43
	v_cndmask_b32_e32 v45, v45, v37, vcc
	v_cmp_eq_u32_e32 vcc, 16, v96
	v_cndmask_b32_e32 v45, v45, v38, vcc
	v_cmp_eq_u32_e32 vcc, 17, v96
	;; [unrolled: 2-line block ×4, first 2 shown]
	v_add_co_u32_e64 v96, s[0:1], 1, v96
	v_cndmask_b32_e32 v45, v45, v41, vcc
	v_add_u32_e32 v43, 4, v43
	v_addc_co_u32_e64 v44, s[0:1], 0, v44, s[0:1]
	s_waitcnt lgkmcnt(0)
	v_fmac_f32_e32 v95, v45, v46
	s_andn2_b64 exec, exec, s[10:11]
	s_cbranch_execnz .LBB19_77
; %bb.78:
	s_or_b64 exec, exec, s[10:11]
.LBB19_79:
	s_or_b64 exec, exec, s[8:9]
.LBB19_80:
	s_or_b64 exec, exec, s[6:7]
	v_mov_b32_e32 v35, 0
	ds_read_b32 v35, v35 offset:52
	s_waitcnt lgkmcnt(0)
	v_mul_f32_e32 v35, v95, v35
.LBB19_81:
	s_or_b64 exec, exec, s[4:5]
	v_cmp_lt_u32_e64 s[0:1], 12, v0
	ds_write_b32 v94, v34
	s_waitcnt lgkmcnt(0)
	; wave barrier
	s_and_saveexec_b64 s[4:5], s[0:1]
	s_cbranch_execz .LBB19_97
; %bb.82:
	s_andn2_b64 vcc, exec, s[42:43]
	s_cbranch_vccnz .LBB19_84
; %bb.83:
	v_cmp_eq_u32_e32 vcc, 1, v0
	v_cndmask_b32_e32 v95, v22, v23, vcc
	v_cmp_eq_u32_e32 vcc, 2, v0
	v_cndmask_b32_e32 v95, v95, v24, vcc
	;; [unrolled: 2-line block ×15, first 2 shown]
	v_cmp_eq_u32_e32 vcc, 16, v0
	ds_read_b32 v96, v94
	v_cndmask_b32_e32 v95, v95, v38, vcc
	v_cmp_eq_u32_e32 vcc, 17, v0
	v_cndmask_b32_e32 v95, v95, v39, vcc
	v_cmp_eq_u32_e32 vcc, 18, v0
	;; [unrolled: 2-line block ×3, first 2 shown]
	v_cndmask_b32_e32 v95, v95, v41, vcc
	s_waitcnt lgkmcnt(0)
	v_mul_f32_e32 v95, v95, v96
	s_cbranch_execz .LBB19_85
	s_branch .LBB19_86
.LBB19_84:
                                        ; implicit-def: $vgpr95
.LBB19_85:
	ds_read_b32 v95, v94
.LBB19_86:
	s_and_saveexec_b64 s[6:7], s[2:3]
	s_cbranch_execz .LBB19_96
; %bb.87:
	v_add_u32_e32 v96, -14, v0
	v_add_u32_e32 v97, -13, v0
	v_cmp_lt_u32_e32 vcc, 6, v96
	v_mov_b32_e32 v96, 13
	s_and_saveexec_b64 s[2:3], vcc
	s_cbranch_execz .LBB19_91
; %bb.88:
	v_and_b32_e32 v96, -8, v97
	v_sub_u32_e32 v98, 0, v96
	s_mov_b64 s[8:9], 20
	s_movk_i32 s12, 0x84
	s_mov_b64 s[10:11], 0
.LBB19_89:                              ; =>This Inner Loop Header: Depth=1
	s_add_i32 s13, s8, -7
	v_mov_b32_e32 v96, s12
	s_add_i32 s14, s8, -6
	s_set_gpr_idx_on s13, gpr_idx(SRC0)
	v_mov_b32_e32 v105, v22
	s_set_gpr_idx_off
	ds_read2_b32 v[99:100], v96 offset1:1
	s_add_i32 s15, s8, -5
	s_set_gpr_idx_on s14, gpr_idx(SRC0)
	v_mov_b32_e32 v106, v22
	s_set_gpr_idx_off
	s_add_i32 s16, s8, -4
	s_set_gpr_idx_on s15, gpr_idx(SRC0)
	v_mov_b32_e32 v107, v22
	s_set_gpr_idx_off
	ds_read2_b32 v[101:102], v96 offset0:2 offset1:3
	s_add_i32 s17, s8, -3
	s_set_gpr_idx_on s16, gpr_idx(SRC0)
	v_mov_b32_e32 v108, v22
	s_set_gpr_idx_off
	s_add_i32 s18, s8, -2
	s_set_gpr_idx_on s17, gpr_idx(SRC0)
	v_mov_b32_e32 v109, v22
	s_set_gpr_idx_off
	ds_read2_b32 v[103:104], v96 offset0:4 offset1:5
	s_add_i32 s19, s8, -1
	s_waitcnt lgkmcnt(2)
	v_fmac_f32_e32 v95, v105, v99
	s_set_gpr_idx_on s18, gpr_idx(SRC0)
	v_mov_b32_e32 v105, v22
	s_set_gpr_idx_off
	v_fmac_f32_e32 v95, v106, v100
	s_set_gpr_idx_on s19, gpr_idx(SRC0)
	v_mov_b32_e32 v106, v22
	s_set_gpr_idx_off
	ds_read2_b32 v[99:100], v96 offset0:6 offset1:7
	s_waitcnt lgkmcnt(2)
	v_fmac_f32_e32 v95, v107, v101
	s_set_gpr_idx_on s8, gpr_idx(SRC0)
	v_mov_b32_e32 v101, v22
	s_set_gpr_idx_off
	v_fmac_f32_e32 v95, v108, v102
	s_add_u32 s8, s8, 8
	s_waitcnt lgkmcnt(1)
	v_fmac_f32_e32 v95, v109, v103
	v_add_u32_e32 v96, s8, v98
	v_fmac_f32_e32 v95, v105, v104
	s_addc_u32 s9, s9, 0
	s_add_i32 s12, s12, 32
	s_add_i32 s13, s8, -7
	v_cmp_eq_u32_e32 vcc, 20, v96
	s_waitcnt lgkmcnt(0)
	v_fmac_f32_e32 v95, v106, v99
	v_mov_b32_e32 v96, s13
	s_or_b64 s[10:11], vcc, s[10:11]
	v_fmac_f32_e32 v95, v101, v100
	s_andn2_b64 exec, exec, s[10:11]
	s_cbranch_execnz .LBB19_89
; %bb.90:
	s_or_b64 exec, exec, s[10:11]
.LBB19_91:
	s_or_b64 exec, exec, s[2:3]
	v_and_b32_e32 v42, 7, v97
	v_cmp_ne_u32_e32 vcc, 0, v42
	s_and_saveexec_b64 s[8:9], vcc
	s_cbranch_execz .LBB19_95
; %bb.92:
	v_mov_b32_e32 v43, 0x50
	v_lshl_add_u32 v43, v96, 2, v43
	v_mov_b32_e32 v44, 0
	s_mov_b64 s[10:11], 0
.LBB19_93:                              ; =>This Inner Loop Header: Depth=1
	v_cmp_eq_u32_e32 vcc, 1, v96
	v_cndmask_b32_e32 v45, v22, v23, vcc
	v_add_u32_e32 v42, -1, v42
	v_cmp_eq_u32_e32 vcc, 2, v96
	v_cndmask_b32_e32 v45, v45, v24, vcc
	v_cmp_eq_u32_e32 vcc, 0, v42
	v_cmp_eq_u32_e64 s[2:3], 3, v96
	v_cndmask_b32_e64 v45, v45, v25, s[2:3]
	s_or_b64 s[10:11], vcc, s[10:11]
	v_cmp_eq_u32_e32 vcc, 4, v96
	v_cndmask_b32_e32 v45, v45, v26, vcc
	v_cmp_eq_u32_e32 vcc, 5, v96
	v_cndmask_b32_e32 v45, v45, v27, vcc
	;; [unrolled: 2-line block ×11, first 2 shown]
	v_cmp_eq_u32_e32 vcc, 15, v96
	ds_read_b32 v46, v43
	v_cndmask_b32_e32 v45, v45, v37, vcc
	v_cmp_eq_u32_e32 vcc, 16, v96
	v_cndmask_b32_e32 v45, v45, v38, vcc
	v_cmp_eq_u32_e32 vcc, 17, v96
	;; [unrolled: 2-line block ×4, first 2 shown]
	v_add_co_u32_e64 v96, s[2:3], 1, v96
	v_cndmask_b32_e32 v45, v45, v41, vcc
	v_add_u32_e32 v43, 4, v43
	v_addc_co_u32_e64 v44, s[2:3], 0, v44, s[2:3]
	s_waitcnt lgkmcnt(0)
	v_fmac_f32_e32 v95, v45, v46
	s_andn2_b64 exec, exec, s[10:11]
	s_cbranch_execnz .LBB19_93
; %bb.94:
	s_or_b64 exec, exec, s[10:11]
.LBB19_95:
	s_or_b64 exec, exec, s[8:9]
.LBB19_96:
	s_or_b64 exec, exec, s[6:7]
	v_mov_b32_e32 v34, 0
	ds_read_b32 v34, v34 offset:48
	s_waitcnt lgkmcnt(0)
	v_mul_f32_e32 v34, v95, v34
.LBB19_97:
	s_or_b64 exec, exec, s[4:5]
	v_cmp_lt_u32_e64 s[2:3], 11, v0
	ds_write_b32 v94, v33
	s_waitcnt lgkmcnt(0)
	; wave barrier
	s_and_saveexec_b64 s[4:5], s[2:3]
	s_cbranch_execz .LBB19_113
; %bb.98:
	s_andn2_b64 vcc, exec, s[42:43]
	s_cbranch_vccnz .LBB19_100
; %bb.99:
	v_cmp_eq_u32_e32 vcc, 1, v0
	v_cndmask_b32_e32 v95, v22, v23, vcc
	v_cmp_eq_u32_e32 vcc, 2, v0
	v_cndmask_b32_e32 v95, v95, v24, vcc
	;; [unrolled: 2-line block ×15, first 2 shown]
	v_cmp_eq_u32_e32 vcc, 16, v0
	ds_read_b32 v96, v94
	v_cndmask_b32_e32 v95, v95, v38, vcc
	v_cmp_eq_u32_e32 vcc, 17, v0
	v_cndmask_b32_e32 v95, v95, v39, vcc
	v_cmp_eq_u32_e32 vcc, 18, v0
	;; [unrolled: 2-line block ×3, first 2 shown]
	v_cndmask_b32_e32 v95, v95, v41, vcc
	s_waitcnt lgkmcnt(0)
	v_mul_f32_e32 v95, v95, v96
	s_cbranch_execz .LBB19_101
	s_branch .LBB19_102
.LBB19_100:
                                        ; implicit-def: $vgpr95
.LBB19_101:
	ds_read_b32 v95, v94
.LBB19_102:
	s_and_saveexec_b64 s[6:7], s[0:1]
	s_cbranch_execz .LBB19_112
; %bb.103:
	v_add_u32_e32 v96, -13, v0
	v_add_u32_e32 v97, -12, v0
	v_cmp_lt_u32_e32 vcc, 6, v96
	v_mov_b32_e32 v96, 12
	s_and_saveexec_b64 s[0:1], vcc
	s_cbranch_execz .LBB19_107
; %bb.104:
	v_and_b32_e32 v96, -8, v97
	v_sub_u32_e32 v98, 0, v96
	s_mov_b64 s[8:9], 19
	s_movk_i32 s12, 0x80
	s_mov_b64 s[10:11], 0
.LBB19_105:                             ; =>This Inner Loop Header: Depth=1
	s_add_i32 s13, s8, -7
	v_mov_b32_e32 v96, s12
	s_add_i32 s14, s8, -6
	s_set_gpr_idx_on s13, gpr_idx(SRC0)
	v_mov_b32_e32 v107, v22
	s_set_gpr_idx_off
	s_add_i32 s15, s8, -5
	ds_read_b128 v[99:102], v96
	ds_read_b128 v[103:106], v96 offset:16
	s_set_gpr_idx_on s14, gpr_idx(SRC0)
	v_mov_b32_e32 v96, v22
	s_set_gpr_idx_off
	s_add_i32 s16, s8, -4
	s_set_gpr_idx_on s15, gpr_idx(SRC0)
	v_mov_b32_e32 v108, v22
	s_set_gpr_idx_off
	s_add_i32 s17, s8, -3
	;; [unrolled: 4-line block ×4, first 2 shown]
	s_waitcnt lgkmcnt(1)
	v_fmac_f32_e32 v95, v107, v99
	s_set_gpr_idx_on s18, gpr_idx(SRC0)
	v_mov_b32_e32 v99, v22
	s_set_gpr_idx_off
	v_fmac_f32_e32 v95, v96, v100
	s_set_gpr_idx_on s19, gpr_idx(SRC0)
	v_mov_b32_e32 v100, v22
	s_set_gpr_idx_off
	;; [unrolled: 4-line block ×3, first 2 shown]
	v_fmac_f32_e32 v95, v109, v102
	s_add_u32 s8, s8, 8
	s_waitcnt lgkmcnt(0)
	v_fmac_f32_e32 v95, v110, v103
	v_add_u32_e32 v96, s8, v98
	v_fmac_f32_e32 v95, v99, v104
	s_addc_u32 s9, s9, 0
	s_add_i32 s12, s12, 32
	s_add_i32 s13, s8, -7
	v_cmp_eq_u32_e32 vcc, 19, v96
	v_fmac_f32_e32 v95, v100, v105
	v_mov_b32_e32 v96, s13
	s_or_b64 s[10:11], vcc, s[10:11]
	v_fmac_f32_e32 v95, v101, v106
	s_andn2_b64 exec, exec, s[10:11]
	s_cbranch_execnz .LBB19_105
; %bb.106:
	s_or_b64 exec, exec, s[10:11]
.LBB19_107:
	s_or_b64 exec, exec, s[0:1]
	v_and_b32_e32 v42, 7, v97
	v_cmp_ne_u32_e32 vcc, 0, v42
	s_and_saveexec_b64 s[8:9], vcc
	s_cbranch_execz .LBB19_111
; %bb.108:
	v_mov_b32_e32 v43, 0x50
	v_lshl_add_u32 v43, v96, 2, v43
	v_mov_b32_e32 v44, 0
	s_mov_b64 s[10:11], 0
.LBB19_109:                             ; =>This Inner Loop Header: Depth=1
	v_cmp_eq_u32_e32 vcc, 1, v96
	v_cndmask_b32_e32 v45, v22, v23, vcc
	v_add_u32_e32 v42, -1, v42
	v_cmp_eq_u32_e32 vcc, 2, v96
	v_cndmask_b32_e32 v45, v45, v24, vcc
	v_cmp_eq_u32_e32 vcc, 0, v42
	v_cmp_eq_u32_e64 s[0:1], 3, v96
	v_cndmask_b32_e64 v45, v45, v25, s[0:1]
	s_or_b64 s[10:11], vcc, s[10:11]
	v_cmp_eq_u32_e32 vcc, 4, v96
	v_cndmask_b32_e32 v45, v45, v26, vcc
	v_cmp_eq_u32_e32 vcc, 5, v96
	v_cndmask_b32_e32 v45, v45, v27, vcc
	v_cmp_eq_u32_e32 vcc, 6, v96
	v_cndmask_b32_e32 v45, v45, v28, vcc
	v_cmp_eq_u32_e32 vcc, 7, v96
	v_cndmask_b32_e32 v45, v45, v29, vcc
	v_cmp_eq_u32_e32 vcc, 8, v96
	v_cndmask_b32_e32 v45, v45, v30, vcc
	v_cmp_eq_u32_e32 vcc, 9, v96
	v_cndmask_b32_e32 v45, v45, v31, vcc
	v_cmp_eq_u32_e32 vcc, 10, v96
	v_cndmask_b32_e32 v45, v45, v32, vcc
	v_cmp_eq_u32_e32 vcc, 11, v96
	v_cndmask_b32_e32 v45, v45, v33, vcc
	v_cmp_eq_u32_e32 vcc, 12, v96
	v_cndmask_b32_e32 v45, v45, v34, vcc
	v_cmp_eq_u32_e32 vcc, 13, v96
	v_cndmask_b32_e32 v45, v45, v35, vcc
	v_cmp_eq_u32_e32 vcc, 14, v96
	v_cndmask_b32_e32 v45, v45, v36, vcc
	v_cmp_eq_u32_e32 vcc, 15, v96
	ds_read_b32 v46, v43
	v_cndmask_b32_e32 v45, v45, v37, vcc
	v_cmp_eq_u32_e32 vcc, 16, v96
	v_cndmask_b32_e32 v45, v45, v38, vcc
	v_cmp_eq_u32_e32 vcc, 17, v96
	;; [unrolled: 2-line block ×4, first 2 shown]
	v_add_co_u32_e64 v96, s[0:1], 1, v96
	v_cndmask_b32_e32 v45, v45, v41, vcc
	v_add_u32_e32 v43, 4, v43
	v_addc_co_u32_e64 v44, s[0:1], 0, v44, s[0:1]
	s_waitcnt lgkmcnt(0)
	v_fmac_f32_e32 v95, v45, v46
	s_andn2_b64 exec, exec, s[10:11]
	s_cbranch_execnz .LBB19_109
; %bb.110:
	s_or_b64 exec, exec, s[10:11]
.LBB19_111:
	s_or_b64 exec, exec, s[8:9]
.LBB19_112:
	s_or_b64 exec, exec, s[6:7]
	v_mov_b32_e32 v33, 0
	ds_read_b32 v33, v33 offset:44
	s_waitcnt lgkmcnt(0)
	v_mul_f32_e32 v33, v95, v33
.LBB19_113:
	s_or_b64 exec, exec, s[4:5]
	v_cmp_lt_u32_e64 s[0:1], 10, v0
	ds_write_b32 v94, v32
	s_waitcnt lgkmcnt(0)
	; wave barrier
	s_and_saveexec_b64 s[4:5], s[0:1]
	s_cbranch_execz .LBB19_129
; %bb.114:
	s_andn2_b64 vcc, exec, s[42:43]
	s_cbranch_vccnz .LBB19_116
; %bb.115:
	v_cmp_eq_u32_e32 vcc, 1, v0
	v_cndmask_b32_e32 v95, v22, v23, vcc
	v_cmp_eq_u32_e32 vcc, 2, v0
	v_cndmask_b32_e32 v95, v95, v24, vcc
	;; [unrolled: 2-line block ×15, first 2 shown]
	v_cmp_eq_u32_e32 vcc, 16, v0
	ds_read_b32 v96, v94
	v_cndmask_b32_e32 v95, v95, v38, vcc
	v_cmp_eq_u32_e32 vcc, 17, v0
	v_cndmask_b32_e32 v95, v95, v39, vcc
	v_cmp_eq_u32_e32 vcc, 18, v0
	;; [unrolled: 2-line block ×3, first 2 shown]
	v_cndmask_b32_e32 v95, v95, v41, vcc
	s_waitcnt lgkmcnt(0)
	v_mul_f32_e32 v95, v95, v96
	s_cbranch_execz .LBB19_117
	s_branch .LBB19_118
.LBB19_116:
                                        ; implicit-def: $vgpr95
.LBB19_117:
	ds_read_b32 v95, v94
.LBB19_118:
	s_and_saveexec_b64 s[6:7], s[2:3]
	s_cbranch_execz .LBB19_128
; %bb.119:
	v_add_u32_e32 v96, -12, v0
	v_add_u32_e32 v97, -11, v0
	v_cmp_lt_u32_e32 vcc, 6, v96
	v_mov_b32_e32 v96, 11
	s_and_saveexec_b64 s[2:3], vcc
	s_cbranch_execz .LBB19_123
; %bb.120:
	v_and_b32_e32 v96, -8, v97
	v_sub_u32_e32 v98, 0, v96
	s_mov_b64 s[8:9], 18
	s_movk_i32 s12, 0x7c
	s_mov_b64 s[10:11], 0
.LBB19_121:                             ; =>This Inner Loop Header: Depth=1
	s_add_i32 s13, s8, -7
	v_mov_b32_e32 v96, s12
	s_add_i32 s14, s8, -6
	s_set_gpr_idx_on s13, gpr_idx(SRC0)
	v_mov_b32_e32 v105, v22
	s_set_gpr_idx_off
	ds_read2_b32 v[99:100], v96 offset1:1
	s_add_i32 s15, s8, -5
	s_set_gpr_idx_on s14, gpr_idx(SRC0)
	v_mov_b32_e32 v106, v22
	s_set_gpr_idx_off
	s_add_i32 s16, s8, -4
	s_set_gpr_idx_on s15, gpr_idx(SRC0)
	v_mov_b32_e32 v107, v22
	s_set_gpr_idx_off
	ds_read2_b32 v[101:102], v96 offset0:2 offset1:3
	s_add_i32 s17, s8, -3
	s_set_gpr_idx_on s16, gpr_idx(SRC0)
	v_mov_b32_e32 v108, v22
	s_set_gpr_idx_off
	s_add_i32 s18, s8, -2
	s_set_gpr_idx_on s17, gpr_idx(SRC0)
	v_mov_b32_e32 v109, v22
	s_set_gpr_idx_off
	ds_read2_b32 v[103:104], v96 offset0:4 offset1:5
	s_add_i32 s19, s8, -1
	s_waitcnt lgkmcnt(2)
	v_fmac_f32_e32 v95, v105, v99
	s_set_gpr_idx_on s18, gpr_idx(SRC0)
	v_mov_b32_e32 v105, v22
	s_set_gpr_idx_off
	v_fmac_f32_e32 v95, v106, v100
	s_set_gpr_idx_on s19, gpr_idx(SRC0)
	v_mov_b32_e32 v106, v22
	s_set_gpr_idx_off
	ds_read2_b32 v[99:100], v96 offset0:6 offset1:7
	s_waitcnt lgkmcnt(2)
	v_fmac_f32_e32 v95, v107, v101
	s_set_gpr_idx_on s8, gpr_idx(SRC0)
	v_mov_b32_e32 v101, v22
	s_set_gpr_idx_off
	v_fmac_f32_e32 v95, v108, v102
	s_add_u32 s8, s8, 8
	s_waitcnt lgkmcnt(1)
	v_fmac_f32_e32 v95, v109, v103
	v_add_u32_e32 v96, s8, v98
	v_fmac_f32_e32 v95, v105, v104
	s_addc_u32 s9, s9, 0
	s_add_i32 s12, s12, 32
	s_add_i32 s13, s8, -7
	v_cmp_eq_u32_e32 vcc, 18, v96
	s_waitcnt lgkmcnt(0)
	v_fmac_f32_e32 v95, v106, v99
	v_mov_b32_e32 v96, s13
	s_or_b64 s[10:11], vcc, s[10:11]
	v_fmac_f32_e32 v95, v101, v100
	s_andn2_b64 exec, exec, s[10:11]
	s_cbranch_execnz .LBB19_121
; %bb.122:
	s_or_b64 exec, exec, s[10:11]
.LBB19_123:
	s_or_b64 exec, exec, s[2:3]
	v_and_b32_e32 v42, 7, v97
	v_cmp_ne_u32_e32 vcc, 0, v42
	s_and_saveexec_b64 s[8:9], vcc
	s_cbranch_execz .LBB19_127
; %bb.124:
	v_mov_b32_e32 v43, 0x50
	v_lshl_add_u32 v43, v96, 2, v43
	v_mov_b32_e32 v44, 0
	s_mov_b64 s[10:11], 0
.LBB19_125:                             ; =>This Inner Loop Header: Depth=1
	v_cmp_eq_u32_e32 vcc, 1, v96
	v_cndmask_b32_e32 v45, v22, v23, vcc
	v_add_u32_e32 v42, -1, v42
	v_cmp_eq_u32_e32 vcc, 2, v96
	v_cndmask_b32_e32 v45, v45, v24, vcc
	v_cmp_eq_u32_e32 vcc, 0, v42
	v_cmp_eq_u32_e64 s[2:3], 3, v96
	v_cndmask_b32_e64 v45, v45, v25, s[2:3]
	s_or_b64 s[10:11], vcc, s[10:11]
	v_cmp_eq_u32_e32 vcc, 4, v96
	v_cndmask_b32_e32 v45, v45, v26, vcc
	v_cmp_eq_u32_e32 vcc, 5, v96
	v_cndmask_b32_e32 v45, v45, v27, vcc
	;; [unrolled: 2-line block ×11, first 2 shown]
	v_cmp_eq_u32_e32 vcc, 15, v96
	ds_read_b32 v46, v43
	v_cndmask_b32_e32 v45, v45, v37, vcc
	v_cmp_eq_u32_e32 vcc, 16, v96
	v_cndmask_b32_e32 v45, v45, v38, vcc
	v_cmp_eq_u32_e32 vcc, 17, v96
	;; [unrolled: 2-line block ×4, first 2 shown]
	v_add_co_u32_e64 v96, s[2:3], 1, v96
	v_cndmask_b32_e32 v45, v45, v41, vcc
	v_add_u32_e32 v43, 4, v43
	v_addc_co_u32_e64 v44, s[2:3], 0, v44, s[2:3]
	s_waitcnt lgkmcnt(0)
	v_fmac_f32_e32 v95, v45, v46
	s_andn2_b64 exec, exec, s[10:11]
	s_cbranch_execnz .LBB19_125
; %bb.126:
	s_or_b64 exec, exec, s[10:11]
.LBB19_127:
	s_or_b64 exec, exec, s[8:9]
.LBB19_128:
	s_or_b64 exec, exec, s[6:7]
	v_mov_b32_e32 v32, 0
	ds_read_b32 v32, v32 offset:40
	s_waitcnt lgkmcnt(0)
	v_mul_f32_e32 v32, v95, v32
.LBB19_129:
	s_or_b64 exec, exec, s[4:5]
	v_cmp_lt_u32_e64 s[2:3], 9, v0
	ds_write_b32 v94, v31
	s_waitcnt lgkmcnt(0)
	; wave barrier
	s_and_saveexec_b64 s[4:5], s[2:3]
	s_cbranch_execz .LBB19_145
; %bb.130:
	s_andn2_b64 vcc, exec, s[42:43]
	s_cbranch_vccnz .LBB19_132
; %bb.131:
	v_cmp_eq_u32_e32 vcc, 1, v0
	v_cndmask_b32_e32 v95, v22, v23, vcc
	v_cmp_eq_u32_e32 vcc, 2, v0
	v_cndmask_b32_e32 v95, v95, v24, vcc
	;; [unrolled: 2-line block ×15, first 2 shown]
	v_cmp_eq_u32_e32 vcc, 16, v0
	ds_read_b32 v96, v94
	v_cndmask_b32_e32 v95, v95, v38, vcc
	v_cmp_eq_u32_e32 vcc, 17, v0
	v_cndmask_b32_e32 v95, v95, v39, vcc
	v_cmp_eq_u32_e32 vcc, 18, v0
	;; [unrolled: 2-line block ×3, first 2 shown]
	v_cndmask_b32_e32 v95, v95, v41, vcc
	s_waitcnt lgkmcnt(0)
	v_mul_f32_e32 v95, v95, v96
	s_cbranch_execz .LBB19_133
	s_branch .LBB19_134
.LBB19_132:
                                        ; implicit-def: $vgpr95
.LBB19_133:
	ds_read_b32 v95, v94
.LBB19_134:
	s_and_saveexec_b64 s[6:7], s[0:1]
	s_cbranch_execz .LBB19_144
; %bb.135:
	v_add_u32_e32 v96, -11, v0
	v_add_u32_e32 v97, -10, v0
	v_cmp_lt_u32_e32 vcc, 6, v96
	v_mov_b32_e32 v96, 10
	s_and_saveexec_b64 s[0:1], vcc
	s_cbranch_execz .LBB19_139
; %bb.136:
	v_and_b32_e32 v96, -8, v97
	v_sub_u32_e32 v98, 0, v96
	s_mov_b64 s[8:9], 17
	s_movk_i32 s12, 0x78
	s_mov_b64 s[10:11], 0
.LBB19_137:                             ; =>This Inner Loop Header: Depth=1
	s_add_i32 s13, s8, -7
	v_mov_b32_e32 v96, s12
	s_add_i32 s14, s8, -6
	s_set_gpr_idx_on s13, gpr_idx(SRC0)
	v_mov_b32_e32 v107, v22
	s_set_gpr_idx_off
	ds_read2_b64 v[99:102], v96 offset1:1
	s_add_i32 s15, s8, -5
	s_set_gpr_idx_on s14, gpr_idx(SRC0)
	v_mov_b32_e32 v108, v22
	s_set_gpr_idx_off
	s_add_i32 s16, s8, -4
	s_set_gpr_idx_on s15, gpr_idx(SRC0)
	v_mov_b32_e32 v109, v22
	s_set_gpr_idx_off
	;; [unrolled: 4-line block ×4, first 2 shown]
	ds_read2_b64 v[103:106], v96 offset0:2 offset1:3
	s_add_i32 s19, s8, -1
	s_waitcnt lgkmcnt(1)
	v_fmac_f32_e32 v95, v107, v99
	s_set_gpr_idx_on s18, gpr_idx(SRC0)
	v_mov_b32_e32 v99, v22
	s_set_gpr_idx_off
	v_fmac_f32_e32 v95, v108, v100
	s_set_gpr_idx_on s19, gpr_idx(SRC0)
	v_mov_b32_e32 v100, v22
	s_set_gpr_idx_off
	;; [unrolled: 4-line block ×3, first 2 shown]
	v_fmac_f32_e32 v95, v110, v102
	s_add_u32 s8, s8, 8
	s_waitcnt lgkmcnt(0)
	v_fmac_f32_e32 v95, v111, v103
	v_add_u32_e32 v96, s8, v98
	v_fmac_f32_e32 v95, v99, v104
	s_addc_u32 s9, s9, 0
	s_add_i32 s12, s12, 32
	s_add_i32 s13, s8, -7
	v_cmp_eq_u32_e32 vcc, 17, v96
	v_fmac_f32_e32 v95, v100, v105
	v_mov_b32_e32 v96, s13
	s_or_b64 s[10:11], vcc, s[10:11]
	v_fmac_f32_e32 v95, v101, v106
	s_andn2_b64 exec, exec, s[10:11]
	s_cbranch_execnz .LBB19_137
; %bb.138:
	s_or_b64 exec, exec, s[10:11]
.LBB19_139:
	s_or_b64 exec, exec, s[0:1]
	v_and_b32_e32 v42, 7, v97
	v_cmp_ne_u32_e32 vcc, 0, v42
	s_and_saveexec_b64 s[8:9], vcc
	s_cbranch_execz .LBB19_143
; %bb.140:
	v_mov_b32_e32 v43, 0x50
	v_lshl_add_u32 v43, v96, 2, v43
	v_mov_b32_e32 v44, 0
	s_mov_b64 s[10:11], 0
.LBB19_141:                             ; =>This Inner Loop Header: Depth=1
	v_cmp_eq_u32_e32 vcc, 1, v96
	v_cndmask_b32_e32 v45, v22, v23, vcc
	v_add_u32_e32 v42, -1, v42
	v_cmp_eq_u32_e32 vcc, 2, v96
	v_cndmask_b32_e32 v45, v45, v24, vcc
	v_cmp_eq_u32_e32 vcc, 0, v42
	v_cmp_eq_u32_e64 s[0:1], 3, v96
	v_cndmask_b32_e64 v45, v45, v25, s[0:1]
	s_or_b64 s[10:11], vcc, s[10:11]
	v_cmp_eq_u32_e32 vcc, 4, v96
	v_cndmask_b32_e32 v45, v45, v26, vcc
	v_cmp_eq_u32_e32 vcc, 5, v96
	v_cndmask_b32_e32 v45, v45, v27, vcc
	;; [unrolled: 2-line block ×11, first 2 shown]
	v_cmp_eq_u32_e32 vcc, 15, v96
	ds_read_b32 v46, v43
	v_cndmask_b32_e32 v45, v45, v37, vcc
	v_cmp_eq_u32_e32 vcc, 16, v96
	v_cndmask_b32_e32 v45, v45, v38, vcc
	v_cmp_eq_u32_e32 vcc, 17, v96
	;; [unrolled: 2-line block ×4, first 2 shown]
	v_add_co_u32_e64 v96, s[0:1], 1, v96
	v_cndmask_b32_e32 v45, v45, v41, vcc
	v_add_u32_e32 v43, 4, v43
	v_addc_co_u32_e64 v44, s[0:1], 0, v44, s[0:1]
	s_waitcnt lgkmcnt(0)
	v_fmac_f32_e32 v95, v45, v46
	s_andn2_b64 exec, exec, s[10:11]
	s_cbranch_execnz .LBB19_141
; %bb.142:
	s_or_b64 exec, exec, s[10:11]
.LBB19_143:
	s_or_b64 exec, exec, s[8:9]
.LBB19_144:
	s_or_b64 exec, exec, s[6:7]
	v_mov_b32_e32 v31, 0
	ds_read_b32 v31, v31 offset:36
	s_waitcnt lgkmcnt(0)
	v_mul_f32_e32 v31, v95, v31
.LBB19_145:
	s_or_b64 exec, exec, s[4:5]
	v_cmp_lt_u32_e64 s[0:1], 8, v0
	ds_write_b32 v94, v30
	s_waitcnt lgkmcnt(0)
	; wave barrier
	s_and_saveexec_b64 s[4:5], s[0:1]
	s_cbranch_execz .LBB19_161
; %bb.146:
	s_andn2_b64 vcc, exec, s[42:43]
	s_cbranch_vccnz .LBB19_148
; %bb.147:
	v_cmp_eq_u32_e32 vcc, 1, v0
	v_cndmask_b32_e32 v95, v22, v23, vcc
	v_cmp_eq_u32_e32 vcc, 2, v0
	v_cndmask_b32_e32 v95, v95, v24, vcc
	v_cmp_eq_u32_e32 vcc, 3, v0
	v_cndmask_b32_e32 v95, v95, v25, vcc
	v_cmp_eq_u32_e32 vcc, 4, v0
	v_cndmask_b32_e32 v95, v95, v26, vcc
	v_cmp_eq_u32_e32 vcc, 5, v0
	v_cndmask_b32_e32 v95, v95, v27, vcc
	v_cmp_eq_u32_e32 vcc, 6, v0
	v_cndmask_b32_e32 v95, v95, v28, vcc
	v_cmp_eq_u32_e32 vcc, 7, v0
	v_cndmask_b32_e32 v95, v95, v29, vcc
	v_cmp_eq_u32_e32 vcc, 8, v0
	v_cndmask_b32_e32 v95, v95, v30, vcc
	v_cmp_eq_u32_e32 vcc, 9, v0
	v_cndmask_b32_e32 v95, v95, v31, vcc
	v_cmp_eq_u32_e32 vcc, 10, v0
	v_cndmask_b32_e32 v95, v95, v32, vcc
	v_cmp_eq_u32_e32 vcc, 11, v0
	v_cndmask_b32_e32 v95, v95, v33, vcc
	v_cmp_eq_u32_e32 vcc, 12, v0
	v_cndmask_b32_e32 v95, v95, v34, vcc
	v_cmp_eq_u32_e32 vcc, 13, v0
	v_cndmask_b32_e32 v95, v95, v35, vcc
	v_cmp_eq_u32_e32 vcc, 14, v0
	v_cndmask_b32_e32 v95, v95, v36, vcc
	v_cmp_eq_u32_e32 vcc, 15, v0
	v_cndmask_b32_e32 v95, v95, v37, vcc
	v_cmp_eq_u32_e32 vcc, 16, v0
	ds_read_b32 v96, v94
	v_cndmask_b32_e32 v95, v95, v38, vcc
	v_cmp_eq_u32_e32 vcc, 17, v0
	v_cndmask_b32_e32 v95, v95, v39, vcc
	v_cmp_eq_u32_e32 vcc, 18, v0
	;; [unrolled: 2-line block ×3, first 2 shown]
	v_cndmask_b32_e32 v95, v95, v41, vcc
	s_waitcnt lgkmcnt(0)
	v_mul_f32_e32 v95, v95, v96
	s_cbranch_execz .LBB19_149
	s_branch .LBB19_150
.LBB19_148:
                                        ; implicit-def: $vgpr95
.LBB19_149:
	ds_read_b32 v95, v94
.LBB19_150:
	s_and_saveexec_b64 s[6:7], s[2:3]
	s_cbranch_execz .LBB19_160
; %bb.151:
	v_add_u32_e32 v96, -10, v0
	v_add_u32_e32 v97, -9, v0
	v_cmp_lt_u32_e32 vcc, 6, v96
	v_mov_b32_e32 v96, 9
	s_and_saveexec_b64 s[2:3], vcc
	s_cbranch_execz .LBB19_155
; %bb.152:
	v_and_b32_e32 v96, -8, v97
	v_sub_u32_e32 v98, 0, v96
	s_mov_b64 s[8:9], 16
	s_movk_i32 s12, 0x74
	s_mov_b64 s[10:11], 0
.LBB19_153:                             ; =>This Inner Loop Header: Depth=1
	s_add_i32 s13, s8, -7
	v_mov_b32_e32 v96, s12
	s_add_i32 s14, s8, -6
	s_set_gpr_idx_on s13, gpr_idx(SRC0)
	v_mov_b32_e32 v105, v22
	s_set_gpr_idx_off
	ds_read2_b32 v[99:100], v96 offset1:1
	s_add_i32 s15, s8, -5
	s_set_gpr_idx_on s14, gpr_idx(SRC0)
	v_mov_b32_e32 v106, v22
	s_set_gpr_idx_off
	s_add_i32 s16, s8, -4
	s_set_gpr_idx_on s15, gpr_idx(SRC0)
	v_mov_b32_e32 v107, v22
	s_set_gpr_idx_off
	ds_read2_b32 v[101:102], v96 offset0:2 offset1:3
	s_add_i32 s17, s8, -3
	s_set_gpr_idx_on s16, gpr_idx(SRC0)
	v_mov_b32_e32 v108, v22
	s_set_gpr_idx_off
	s_add_i32 s18, s8, -2
	s_set_gpr_idx_on s17, gpr_idx(SRC0)
	v_mov_b32_e32 v109, v22
	s_set_gpr_idx_off
	ds_read2_b32 v[103:104], v96 offset0:4 offset1:5
	s_add_i32 s19, s8, -1
	s_waitcnt lgkmcnt(2)
	v_fmac_f32_e32 v95, v105, v99
	s_set_gpr_idx_on s18, gpr_idx(SRC0)
	v_mov_b32_e32 v105, v22
	s_set_gpr_idx_off
	v_fmac_f32_e32 v95, v106, v100
	s_set_gpr_idx_on s19, gpr_idx(SRC0)
	v_mov_b32_e32 v106, v22
	s_set_gpr_idx_off
	ds_read2_b32 v[99:100], v96 offset0:6 offset1:7
	s_waitcnt lgkmcnt(2)
	v_fmac_f32_e32 v95, v107, v101
	s_set_gpr_idx_on s8, gpr_idx(SRC0)
	v_mov_b32_e32 v101, v22
	s_set_gpr_idx_off
	v_fmac_f32_e32 v95, v108, v102
	s_add_u32 s8, s8, 8
	s_waitcnt lgkmcnt(1)
	v_fmac_f32_e32 v95, v109, v103
	v_add_u32_e32 v96, s8, v98
	v_fmac_f32_e32 v95, v105, v104
	s_addc_u32 s9, s9, 0
	s_add_i32 s12, s12, 32
	s_add_i32 s13, s8, -7
	v_cmp_eq_u32_e32 vcc, 16, v96
	s_waitcnt lgkmcnt(0)
	v_fmac_f32_e32 v95, v106, v99
	v_mov_b32_e32 v96, s13
	s_or_b64 s[10:11], vcc, s[10:11]
	v_fmac_f32_e32 v95, v101, v100
	s_andn2_b64 exec, exec, s[10:11]
	s_cbranch_execnz .LBB19_153
; %bb.154:
	s_or_b64 exec, exec, s[10:11]
.LBB19_155:
	s_or_b64 exec, exec, s[2:3]
	v_and_b32_e32 v42, 7, v97
	v_cmp_ne_u32_e32 vcc, 0, v42
	s_and_saveexec_b64 s[8:9], vcc
	s_cbranch_execz .LBB19_159
; %bb.156:
	v_mov_b32_e32 v43, 0x50
	v_lshl_add_u32 v43, v96, 2, v43
	v_mov_b32_e32 v44, 0
	s_mov_b64 s[10:11], 0
.LBB19_157:                             ; =>This Inner Loop Header: Depth=1
	v_cmp_eq_u32_e32 vcc, 1, v96
	v_cndmask_b32_e32 v45, v22, v23, vcc
	v_add_u32_e32 v42, -1, v42
	v_cmp_eq_u32_e32 vcc, 2, v96
	v_cndmask_b32_e32 v45, v45, v24, vcc
	v_cmp_eq_u32_e32 vcc, 0, v42
	v_cmp_eq_u32_e64 s[2:3], 3, v96
	v_cndmask_b32_e64 v45, v45, v25, s[2:3]
	s_or_b64 s[10:11], vcc, s[10:11]
	v_cmp_eq_u32_e32 vcc, 4, v96
	v_cndmask_b32_e32 v45, v45, v26, vcc
	v_cmp_eq_u32_e32 vcc, 5, v96
	v_cndmask_b32_e32 v45, v45, v27, vcc
	;; [unrolled: 2-line block ×11, first 2 shown]
	v_cmp_eq_u32_e32 vcc, 15, v96
	ds_read_b32 v46, v43
	v_cndmask_b32_e32 v45, v45, v37, vcc
	v_cmp_eq_u32_e32 vcc, 16, v96
	v_cndmask_b32_e32 v45, v45, v38, vcc
	v_cmp_eq_u32_e32 vcc, 17, v96
	;; [unrolled: 2-line block ×4, first 2 shown]
	v_add_co_u32_e64 v96, s[2:3], 1, v96
	v_cndmask_b32_e32 v45, v45, v41, vcc
	v_add_u32_e32 v43, 4, v43
	v_addc_co_u32_e64 v44, s[2:3], 0, v44, s[2:3]
	s_waitcnt lgkmcnt(0)
	v_fmac_f32_e32 v95, v45, v46
	s_andn2_b64 exec, exec, s[10:11]
	s_cbranch_execnz .LBB19_157
; %bb.158:
	s_or_b64 exec, exec, s[10:11]
.LBB19_159:
	s_or_b64 exec, exec, s[8:9]
.LBB19_160:
	s_or_b64 exec, exec, s[6:7]
	v_mov_b32_e32 v30, 0
	ds_read_b32 v30, v30 offset:32
	s_waitcnt lgkmcnt(0)
	v_mul_f32_e32 v30, v95, v30
.LBB19_161:
	s_or_b64 exec, exec, s[4:5]
	v_cmp_lt_u32_e64 s[2:3], 7, v0
	ds_write_b32 v94, v29
	s_waitcnt lgkmcnt(0)
	; wave barrier
	s_and_saveexec_b64 s[4:5], s[2:3]
	s_cbranch_execz .LBB19_177
; %bb.162:
	s_andn2_b64 vcc, exec, s[42:43]
	s_cbranch_vccnz .LBB19_164
; %bb.163:
	v_cmp_eq_u32_e32 vcc, 1, v0
	v_cndmask_b32_e32 v95, v22, v23, vcc
	v_cmp_eq_u32_e32 vcc, 2, v0
	v_cndmask_b32_e32 v95, v95, v24, vcc
	;; [unrolled: 2-line block ×15, first 2 shown]
	v_cmp_eq_u32_e32 vcc, 16, v0
	ds_read_b32 v96, v94
	v_cndmask_b32_e32 v95, v95, v38, vcc
	v_cmp_eq_u32_e32 vcc, 17, v0
	v_cndmask_b32_e32 v95, v95, v39, vcc
	v_cmp_eq_u32_e32 vcc, 18, v0
	;; [unrolled: 2-line block ×3, first 2 shown]
	v_cndmask_b32_e32 v95, v95, v41, vcc
	s_waitcnt lgkmcnt(0)
	v_mul_f32_e32 v95, v95, v96
	s_cbranch_execz .LBB19_165
	s_branch .LBB19_166
.LBB19_164:
                                        ; implicit-def: $vgpr95
.LBB19_165:
	ds_read_b32 v95, v94
.LBB19_166:
	s_and_saveexec_b64 s[6:7], s[0:1]
	s_cbranch_execz .LBB19_176
; %bb.167:
	v_add_u32_e32 v96, -9, v0
	v_cmp_lt_u32_e32 vcc, 6, v96
	v_mov_b32_e32 v96, 8
	s_and_saveexec_b64 s[0:1], vcc
	s_cbranch_execz .LBB19_171
; %bb.168:
	v_and_b32_e32 v96, 24, v0
	v_sub_u32_e32 v97, 0, v96
	s_mov_b64 s[8:9], 15
	s_movk_i32 s12, 0x70
	s_mov_b64 s[10:11], 0
.LBB19_169:                             ; =>This Inner Loop Header: Depth=1
	s_add_i32 s13, s8, -7
	v_mov_b32_e32 v96, s12
	s_add_i32 s14, s8, -6
	s_set_gpr_idx_on s13, gpr_idx(SRC0)
	v_mov_b32_e32 v106, v22
	s_set_gpr_idx_off
	s_add_i32 s15, s8, -5
	ds_read_b128 v[98:101], v96
	ds_read_b128 v[102:105], v96 offset:16
	s_set_gpr_idx_on s14, gpr_idx(SRC0)
	v_mov_b32_e32 v96, v22
	s_set_gpr_idx_off
	s_add_i32 s16, s8, -4
	s_set_gpr_idx_on s15, gpr_idx(SRC0)
	v_mov_b32_e32 v107, v22
	s_set_gpr_idx_off
	s_add_i32 s17, s8, -3
	;; [unrolled: 4-line block ×4, first 2 shown]
	s_waitcnt lgkmcnt(1)
	v_fmac_f32_e32 v95, v106, v98
	s_set_gpr_idx_on s18, gpr_idx(SRC0)
	v_mov_b32_e32 v98, v22
	s_set_gpr_idx_off
	v_fmac_f32_e32 v95, v96, v99
	s_set_gpr_idx_on s19, gpr_idx(SRC0)
	v_mov_b32_e32 v99, v22
	s_set_gpr_idx_off
	;; [unrolled: 4-line block ×3, first 2 shown]
	v_fmac_f32_e32 v95, v108, v101
	s_add_u32 s8, s8, 8
	s_waitcnt lgkmcnt(0)
	v_fmac_f32_e32 v95, v109, v102
	v_add_u32_e32 v96, s8, v97
	v_fmac_f32_e32 v95, v98, v103
	s_addc_u32 s9, s9, 0
	s_add_i32 s12, s12, 32
	s_add_i32 s13, s8, -7
	v_cmp_eq_u32_e32 vcc, 7, v96
	v_fmac_f32_e32 v95, v99, v104
	v_mov_b32_e32 v96, s13
	s_or_b64 s[10:11], vcc, s[10:11]
	v_fmac_f32_e32 v95, v100, v105
	s_andn2_b64 exec, exec, s[10:11]
	s_cbranch_execnz .LBB19_169
; %bb.170:
	s_or_b64 exec, exec, s[10:11]
.LBB19_171:
	s_or_b64 exec, exec, s[0:1]
	v_and_b32_e32 v42, 7, v0
	v_cmp_ne_u32_e32 vcc, 0, v42
	s_and_saveexec_b64 s[8:9], vcc
	s_cbranch_execz .LBB19_175
; %bb.172:
	v_mov_b32_e32 v43, 0x50
	v_lshl_add_u32 v43, v96, 2, v43
	v_mov_b32_e32 v44, 0
	s_mov_b64 s[10:11], 0
.LBB19_173:                             ; =>This Inner Loop Header: Depth=1
	v_cmp_eq_u32_e32 vcc, 1, v96
	v_cndmask_b32_e32 v45, v22, v23, vcc
	v_add_u32_e32 v42, -1, v42
	v_cmp_eq_u32_e32 vcc, 2, v96
	v_cndmask_b32_e32 v45, v45, v24, vcc
	v_cmp_eq_u32_e32 vcc, 0, v42
	v_cmp_eq_u32_e64 s[0:1], 3, v96
	v_cndmask_b32_e64 v45, v45, v25, s[0:1]
	s_or_b64 s[10:11], vcc, s[10:11]
	v_cmp_eq_u32_e32 vcc, 4, v96
	v_cndmask_b32_e32 v45, v45, v26, vcc
	v_cmp_eq_u32_e32 vcc, 5, v96
	v_cndmask_b32_e32 v45, v45, v27, vcc
	;; [unrolled: 2-line block ×11, first 2 shown]
	v_cmp_eq_u32_e32 vcc, 15, v96
	ds_read_b32 v46, v43
	v_cndmask_b32_e32 v45, v45, v37, vcc
	v_cmp_eq_u32_e32 vcc, 16, v96
	v_cndmask_b32_e32 v45, v45, v38, vcc
	v_cmp_eq_u32_e32 vcc, 17, v96
	;; [unrolled: 2-line block ×4, first 2 shown]
	v_add_co_u32_e64 v96, s[0:1], 1, v96
	v_cndmask_b32_e32 v45, v45, v41, vcc
	v_add_u32_e32 v43, 4, v43
	v_addc_co_u32_e64 v44, s[0:1], 0, v44, s[0:1]
	s_waitcnt lgkmcnt(0)
	v_fmac_f32_e32 v95, v45, v46
	s_andn2_b64 exec, exec, s[10:11]
	s_cbranch_execnz .LBB19_173
; %bb.174:
	s_or_b64 exec, exec, s[10:11]
.LBB19_175:
	s_or_b64 exec, exec, s[8:9]
.LBB19_176:
	s_or_b64 exec, exec, s[6:7]
	v_mov_b32_e32 v29, 0
	ds_read_b32 v29, v29 offset:28
	s_waitcnt lgkmcnt(0)
	v_mul_f32_e32 v29, v95, v29
.LBB19_177:
	s_or_b64 exec, exec, s[4:5]
	v_cmp_lt_u32_e64 s[0:1], 6, v0
	ds_write_b32 v94, v28
	s_waitcnt lgkmcnt(0)
	; wave barrier
	s_and_saveexec_b64 s[4:5], s[0:1]
	s_cbranch_execz .LBB19_193
; %bb.178:
	s_andn2_b64 vcc, exec, s[42:43]
	s_cbranch_vccnz .LBB19_180
; %bb.179:
	v_cmp_eq_u32_e32 vcc, 1, v0
	v_cndmask_b32_e32 v95, v22, v23, vcc
	v_cmp_eq_u32_e32 vcc, 2, v0
	v_cndmask_b32_e32 v95, v95, v24, vcc
	;; [unrolled: 2-line block ×15, first 2 shown]
	v_cmp_eq_u32_e32 vcc, 16, v0
	ds_read_b32 v96, v94
	v_cndmask_b32_e32 v95, v95, v38, vcc
	v_cmp_eq_u32_e32 vcc, 17, v0
	v_cndmask_b32_e32 v95, v95, v39, vcc
	v_cmp_eq_u32_e32 vcc, 18, v0
	;; [unrolled: 2-line block ×3, first 2 shown]
	v_cndmask_b32_e32 v95, v95, v41, vcc
	s_waitcnt lgkmcnt(0)
	v_mul_f32_e32 v95, v95, v96
	s_cbranch_execz .LBB19_181
	s_branch .LBB19_182
.LBB19_180:
                                        ; implicit-def: $vgpr95
.LBB19_181:
	ds_read_b32 v95, v94
.LBB19_182:
	s_and_saveexec_b64 s[6:7], s[2:3]
	s_cbranch_execz .LBB19_192
; %bb.183:
	v_add_u32_e32 v96, -8, v0
	v_add_u32_e32 v97, -7, v0
	v_cmp_lt_u32_e32 vcc, 6, v96
	v_mov_b32_e32 v96, 7
	s_and_saveexec_b64 s[2:3], vcc
	s_cbranch_execz .LBB19_187
; %bb.184:
	v_and_b32_e32 v96, -8, v97
	v_sub_u32_e32 v98, 0, v96
	s_mov_b64 s[8:9], 14
	s_movk_i32 s12, 0x6c
	s_mov_b64 s[10:11], 0
.LBB19_185:                             ; =>This Inner Loop Header: Depth=1
	s_add_i32 s13, s8, -7
	v_mov_b32_e32 v96, s12
	s_add_i32 s14, s8, -6
	s_set_gpr_idx_on s13, gpr_idx(SRC0)
	v_mov_b32_e32 v105, v22
	s_set_gpr_idx_off
	ds_read2_b32 v[99:100], v96 offset1:1
	s_add_i32 s15, s8, -5
	s_set_gpr_idx_on s14, gpr_idx(SRC0)
	v_mov_b32_e32 v106, v22
	s_set_gpr_idx_off
	s_add_i32 s16, s8, -4
	s_set_gpr_idx_on s15, gpr_idx(SRC0)
	v_mov_b32_e32 v107, v22
	s_set_gpr_idx_off
	ds_read2_b32 v[101:102], v96 offset0:2 offset1:3
	s_add_i32 s17, s8, -3
	s_set_gpr_idx_on s16, gpr_idx(SRC0)
	v_mov_b32_e32 v108, v22
	s_set_gpr_idx_off
	s_add_i32 s18, s8, -2
	s_set_gpr_idx_on s17, gpr_idx(SRC0)
	v_mov_b32_e32 v109, v22
	s_set_gpr_idx_off
	ds_read2_b32 v[103:104], v96 offset0:4 offset1:5
	s_add_i32 s19, s8, -1
	s_waitcnt lgkmcnt(2)
	v_fmac_f32_e32 v95, v105, v99
	s_set_gpr_idx_on s18, gpr_idx(SRC0)
	v_mov_b32_e32 v105, v22
	s_set_gpr_idx_off
	v_fmac_f32_e32 v95, v106, v100
	s_set_gpr_idx_on s19, gpr_idx(SRC0)
	v_mov_b32_e32 v106, v22
	s_set_gpr_idx_off
	ds_read2_b32 v[99:100], v96 offset0:6 offset1:7
	s_waitcnt lgkmcnt(2)
	v_fmac_f32_e32 v95, v107, v101
	s_set_gpr_idx_on s8, gpr_idx(SRC0)
	v_mov_b32_e32 v101, v22
	s_set_gpr_idx_off
	v_fmac_f32_e32 v95, v108, v102
	s_add_u32 s8, s8, 8
	s_waitcnt lgkmcnt(1)
	v_fmac_f32_e32 v95, v109, v103
	v_add_u32_e32 v96, s8, v98
	v_fmac_f32_e32 v95, v105, v104
	s_addc_u32 s9, s9, 0
	s_add_i32 s12, s12, 32
	s_add_i32 s13, s8, -7
	v_cmp_eq_u32_e32 vcc, 14, v96
	s_waitcnt lgkmcnt(0)
	v_fmac_f32_e32 v95, v106, v99
	v_mov_b32_e32 v96, s13
	s_or_b64 s[10:11], vcc, s[10:11]
	v_fmac_f32_e32 v95, v101, v100
	s_andn2_b64 exec, exec, s[10:11]
	s_cbranch_execnz .LBB19_185
; %bb.186:
	s_or_b64 exec, exec, s[10:11]
.LBB19_187:
	s_or_b64 exec, exec, s[2:3]
	v_and_b32_e32 v42, 7, v97
	v_cmp_ne_u32_e32 vcc, 0, v42
	s_and_saveexec_b64 s[8:9], vcc
	s_cbranch_execz .LBB19_191
; %bb.188:
	v_mov_b32_e32 v43, 0x50
	v_lshl_add_u32 v43, v96, 2, v43
	v_mov_b32_e32 v44, 0
	s_mov_b64 s[10:11], 0
.LBB19_189:                             ; =>This Inner Loop Header: Depth=1
	v_cmp_eq_u32_e32 vcc, 1, v96
	v_cndmask_b32_e32 v45, v22, v23, vcc
	v_add_u32_e32 v42, -1, v42
	v_cmp_eq_u32_e32 vcc, 2, v96
	v_cndmask_b32_e32 v45, v45, v24, vcc
	v_cmp_eq_u32_e32 vcc, 0, v42
	v_cmp_eq_u32_e64 s[2:3], 3, v96
	v_cndmask_b32_e64 v45, v45, v25, s[2:3]
	s_or_b64 s[10:11], vcc, s[10:11]
	v_cmp_eq_u32_e32 vcc, 4, v96
	v_cndmask_b32_e32 v45, v45, v26, vcc
	v_cmp_eq_u32_e32 vcc, 5, v96
	v_cndmask_b32_e32 v45, v45, v27, vcc
	;; [unrolled: 2-line block ×11, first 2 shown]
	v_cmp_eq_u32_e32 vcc, 15, v96
	ds_read_b32 v46, v43
	v_cndmask_b32_e32 v45, v45, v37, vcc
	v_cmp_eq_u32_e32 vcc, 16, v96
	v_cndmask_b32_e32 v45, v45, v38, vcc
	v_cmp_eq_u32_e32 vcc, 17, v96
	;; [unrolled: 2-line block ×4, first 2 shown]
	v_add_co_u32_e64 v96, s[2:3], 1, v96
	v_cndmask_b32_e32 v45, v45, v41, vcc
	v_add_u32_e32 v43, 4, v43
	v_addc_co_u32_e64 v44, s[2:3], 0, v44, s[2:3]
	s_waitcnt lgkmcnt(0)
	v_fmac_f32_e32 v95, v45, v46
	s_andn2_b64 exec, exec, s[10:11]
	s_cbranch_execnz .LBB19_189
; %bb.190:
	s_or_b64 exec, exec, s[10:11]
.LBB19_191:
	s_or_b64 exec, exec, s[8:9]
.LBB19_192:
	s_or_b64 exec, exec, s[6:7]
	v_mov_b32_e32 v28, 0
	ds_read_b32 v28, v28 offset:24
	s_waitcnt lgkmcnt(0)
	v_mul_f32_e32 v28, v95, v28
.LBB19_193:
	s_or_b64 exec, exec, s[4:5]
	v_cmp_lt_u32_e64 s[2:3], 5, v0
	ds_write_b32 v94, v27
	s_waitcnt lgkmcnt(0)
	; wave barrier
	s_and_saveexec_b64 s[4:5], s[2:3]
	s_cbranch_execz .LBB19_209
; %bb.194:
	s_andn2_b64 vcc, exec, s[42:43]
	s_cbranch_vccnz .LBB19_196
; %bb.195:
	v_cmp_eq_u32_e32 vcc, 1, v0
	v_cndmask_b32_e32 v95, v22, v23, vcc
	v_cmp_eq_u32_e32 vcc, 2, v0
	v_cndmask_b32_e32 v95, v95, v24, vcc
	v_cmp_eq_u32_e32 vcc, 3, v0
	v_cndmask_b32_e32 v95, v95, v25, vcc
	v_cmp_eq_u32_e32 vcc, 4, v0
	v_cndmask_b32_e32 v95, v95, v26, vcc
	v_cmp_eq_u32_e32 vcc, 5, v0
	v_cndmask_b32_e32 v95, v95, v27, vcc
	v_cmp_eq_u32_e32 vcc, 6, v0
	v_cndmask_b32_e32 v95, v95, v28, vcc
	v_cmp_eq_u32_e32 vcc, 7, v0
	v_cndmask_b32_e32 v95, v95, v29, vcc
	v_cmp_eq_u32_e32 vcc, 8, v0
	v_cndmask_b32_e32 v95, v95, v30, vcc
	v_cmp_eq_u32_e32 vcc, 9, v0
	v_cndmask_b32_e32 v95, v95, v31, vcc
	v_cmp_eq_u32_e32 vcc, 10, v0
	v_cndmask_b32_e32 v95, v95, v32, vcc
	v_cmp_eq_u32_e32 vcc, 11, v0
	v_cndmask_b32_e32 v95, v95, v33, vcc
	v_cmp_eq_u32_e32 vcc, 12, v0
	v_cndmask_b32_e32 v95, v95, v34, vcc
	v_cmp_eq_u32_e32 vcc, 13, v0
	v_cndmask_b32_e32 v95, v95, v35, vcc
	v_cmp_eq_u32_e32 vcc, 14, v0
	v_cndmask_b32_e32 v95, v95, v36, vcc
	v_cmp_eq_u32_e32 vcc, 15, v0
	v_cndmask_b32_e32 v95, v95, v37, vcc
	v_cmp_eq_u32_e32 vcc, 16, v0
	ds_read_b32 v96, v94
	v_cndmask_b32_e32 v95, v95, v38, vcc
	v_cmp_eq_u32_e32 vcc, 17, v0
	v_cndmask_b32_e32 v95, v95, v39, vcc
	v_cmp_eq_u32_e32 vcc, 18, v0
	;; [unrolled: 2-line block ×3, first 2 shown]
	v_cndmask_b32_e32 v95, v95, v41, vcc
	s_waitcnt lgkmcnt(0)
	v_mul_f32_e32 v95, v95, v96
	s_cbranch_execz .LBB19_197
	s_branch .LBB19_198
.LBB19_196:
                                        ; implicit-def: $vgpr95
.LBB19_197:
	ds_read_b32 v95, v94
.LBB19_198:
	s_and_saveexec_b64 s[6:7], s[0:1]
	s_cbranch_execz .LBB19_208
; %bb.199:
	v_add_u32_e32 v98, -7, v0
	v_add_u32_e32 v97, -6, v0
	v_mov_b32_e32 v96, 6
	v_cmp_lt_u32_e32 vcc, 6, v98
	s_and_saveexec_b64 s[0:1], vcc
	s_cbranch_execz .LBB19_203
; %bb.200:
	v_and_b32_e32 v96, -8, v97
	v_sub_u32_e32 v98, 0, v96
	s_mov_b64 s[8:9], 13
	s_movk_i32 s12, 0x68
	s_mov_b64 s[10:11], 0
.LBB19_201:                             ; =>This Inner Loop Header: Depth=1
	s_add_i32 s13, s8, -7
	v_mov_b32_e32 v96, s12
	s_add_i32 s14, s8, -6
	s_set_gpr_idx_on s13, gpr_idx(SRC0)
	v_mov_b32_e32 v107, v22
	s_set_gpr_idx_off
	ds_read2_b64 v[99:102], v96 offset1:1
	s_add_i32 s15, s8, -5
	s_set_gpr_idx_on s14, gpr_idx(SRC0)
	v_mov_b32_e32 v108, v22
	s_set_gpr_idx_off
	s_add_i32 s16, s8, -4
	s_set_gpr_idx_on s15, gpr_idx(SRC0)
	v_mov_b32_e32 v109, v22
	s_set_gpr_idx_off
	;; [unrolled: 4-line block ×4, first 2 shown]
	ds_read2_b64 v[103:106], v96 offset0:2 offset1:3
	s_add_i32 s19, s8, -1
	s_waitcnt lgkmcnt(1)
	v_fmac_f32_e32 v95, v107, v99
	s_set_gpr_idx_on s18, gpr_idx(SRC0)
	v_mov_b32_e32 v99, v22
	s_set_gpr_idx_off
	v_fmac_f32_e32 v95, v108, v100
	s_set_gpr_idx_on s19, gpr_idx(SRC0)
	v_mov_b32_e32 v100, v22
	s_set_gpr_idx_off
	;; [unrolled: 4-line block ×3, first 2 shown]
	v_fmac_f32_e32 v95, v110, v102
	s_add_u32 s8, s8, 8
	s_waitcnt lgkmcnt(0)
	v_fmac_f32_e32 v95, v111, v103
	v_add_u32_e32 v96, s8, v98
	v_fmac_f32_e32 v95, v99, v104
	s_addc_u32 s9, s9, 0
	s_add_i32 s12, s12, 32
	s_add_i32 s13, s8, -7
	v_cmp_eq_u32_e32 vcc, 13, v96
	v_fmac_f32_e32 v95, v100, v105
	v_mov_b32_e32 v96, s13
	s_or_b64 s[10:11], vcc, s[10:11]
	v_fmac_f32_e32 v95, v101, v106
	s_andn2_b64 exec, exec, s[10:11]
	s_cbranch_execnz .LBB19_201
; %bb.202:
	s_or_b64 exec, exec, s[10:11]
.LBB19_203:
	s_or_b64 exec, exec, s[0:1]
	v_and_b32_e32 v42, 7, v97
	v_cmp_ne_u32_e32 vcc, 0, v42
	s_and_saveexec_b64 s[8:9], vcc
	s_cbranch_execz .LBB19_207
; %bb.204:
	v_mov_b32_e32 v43, 0x50
	v_lshl_add_u32 v43, v96, 2, v43
	v_mov_b32_e32 v44, 0
	s_mov_b64 s[10:11], 0
.LBB19_205:                             ; =>This Inner Loop Header: Depth=1
	v_cmp_eq_u32_e32 vcc, 1, v96
	v_cndmask_b32_e32 v45, v22, v23, vcc
	v_add_u32_e32 v42, -1, v42
	v_cmp_eq_u32_e32 vcc, 2, v96
	v_cndmask_b32_e32 v45, v45, v24, vcc
	v_cmp_eq_u32_e32 vcc, 0, v42
	v_cmp_eq_u32_e64 s[0:1], 3, v96
	v_cndmask_b32_e64 v45, v45, v25, s[0:1]
	s_or_b64 s[10:11], vcc, s[10:11]
	v_cmp_eq_u32_e32 vcc, 4, v96
	v_cndmask_b32_e32 v45, v45, v26, vcc
	v_cmp_eq_u32_e32 vcc, 5, v96
	v_cndmask_b32_e32 v45, v45, v27, vcc
	;; [unrolled: 2-line block ×11, first 2 shown]
	v_cmp_eq_u32_e32 vcc, 15, v96
	ds_read_b32 v46, v43
	v_cndmask_b32_e32 v45, v45, v37, vcc
	v_cmp_eq_u32_e32 vcc, 16, v96
	v_cndmask_b32_e32 v45, v45, v38, vcc
	v_cmp_eq_u32_e32 vcc, 17, v96
	v_cndmask_b32_e32 v45, v45, v39, vcc
	v_cmp_eq_u32_e32 vcc, 18, v96
	v_cndmask_b32_e32 v45, v45, v40, vcc
	v_cmp_eq_u32_e32 vcc, 19, v96
	v_add_co_u32_e64 v96, s[0:1], 1, v96
	v_cndmask_b32_e32 v45, v45, v41, vcc
	v_add_u32_e32 v43, 4, v43
	v_addc_co_u32_e64 v44, s[0:1], 0, v44, s[0:1]
	s_waitcnt lgkmcnt(0)
	v_fmac_f32_e32 v95, v45, v46
	s_andn2_b64 exec, exec, s[10:11]
	s_cbranch_execnz .LBB19_205
; %bb.206:
	s_or_b64 exec, exec, s[10:11]
.LBB19_207:
	s_or_b64 exec, exec, s[8:9]
.LBB19_208:
	s_or_b64 exec, exec, s[6:7]
	v_mov_b32_e32 v27, 0
	ds_read_b32 v27, v27 offset:20
	s_waitcnt lgkmcnt(0)
	v_mul_f32_e32 v27, v95, v27
.LBB19_209:
	s_or_b64 exec, exec, s[4:5]
	v_cmp_lt_u32_e64 s[0:1], 4, v0
	ds_write_b32 v94, v26
	s_waitcnt lgkmcnt(0)
	; wave barrier
	s_and_saveexec_b64 s[4:5], s[0:1]
	s_cbranch_execz .LBB19_225
; %bb.210:
	s_andn2_b64 vcc, exec, s[42:43]
	s_cbranch_vccnz .LBB19_212
; %bb.211:
	v_cmp_eq_u32_e32 vcc, 1, v0
	v_cndmask_b32_e32 v95, v22, v23, vcc
	v_cmp_eq_u32_e32 vcc, 2, v0
	v_cndmask_b32_e32 v95, v95, v24, vcc
	;; [unrolled: 2-line block ×15, first 2 shown]
	v_cmp_eq_u32_e32 vcc, 16, v0
	ds_read_b32 v96, v94
	v_cndmask_b32_e32 v95, v95, v38, vcc
	v_cmp_eq_u32_e32 vcc, 17, v0
	v_cndmask_b32_e32 v95, v95, v39, vcc
	v_cmp_eq_u32_e32 vcc, 18, v0
	;; [unrolled: 2-line block ×3, first 2 shown]
	v_cndmask_b32_e32 v95, v95, v41, vcc
	s_waitcnt lgkmcnt(0)
	v_mul_f32_e32 v95, v95, v96
	s_cbranch_execz .LBB19_213
	s_branch .LBB19_214
.LBB19_212:
                                        ; implicit-def: $vgpr95
.LBB19_213:
	ds_read_b32 v95, v94
.LBB19_214:
	s_and_saveexec_b64 s[6:7], s[2:3]
	s_cbranch_execz .LBB19_224
; %bb.215:
	v_add_u32_e32 v96, -6, v0
	v_add_u32_e32 v97, -5, v0
	v_cmp_lt_u32_e32 vcc, 6, v96
	v_mov_b32_e32 v96, 5
	s_and_saveexec_b64 s[2:3], vcc
	s_cbranch_execz .LBB19_219
; %bb.216:
	v_and_b32_e32 v96, -8, v97
	v_sub_u32_e32 v98, 0, v96
	s_mov_b64 s[8:9], 12
	s_movk_i32 s12, 0x64
	s_mov_b64 s[10:11], 0
.LBB19_217:                             ; =>This Inner Loop Header: Depth=1
	s_add_i32 s13, s8, -7
	v_mov_b32_e32 v96, s12
	s_add_i32 s14, s8, -6
	s_set_gpr_idx_on s13, gpr_idx(SRC0)
	v_mov_b32_e32 v105, v22
	s_set_gpr_idx_off
	ds_read2_b32 v[99:100], v96 offset1:1
	s_add_i32 s15, s8, -5
	s_set_gpr_idx_on s14, gpr_idx(SRC0)
	v_mov_b32_e32 v106, v22
	s_set_gpr_idx_off
	s_add_i32 s16, s8, -4
	s_set_gpr_idx_on s15, gpr_idx(SRC0)
	v_mov_b32_e32 v107, v22
	s_set_gpr_idx_off
	ds_read2_b32 v[101:102], v96 offset0:2 offset1:3
	s_add_i32 s17, s8, -3
	s_set_gpr_idx_on s16, gpr_idx(SRC0)
	v_mov_b32_e32 v108, v22
	s_set_gpr_idx_off
	s_add_i32 s18, s8, -2
	s_set_gpr_idx_on s17, gpr_idx(SRC0)
	v_mov_b32_e32 v109, v22
	s_set_gpr_idx_off
	ds_read2_b32 v[103:104], v96 offset0:4 offset1:5
	s_add_i32 s19, s8, -1
	s_waitcnt lgkmcnt(2)
	v_fmac_f32_e32 v95, v105, v99
	s_set_gpr_idx_on s18, gpr_idx(SRC0)
	v_mov_b32_e32 v105, v22
	s_set_gpr_idx_off
	v_fmac_f32_e32 v95, v106, v100
	s_set_gpr_idx_on s19, gpr_idx(SRC0)
	v_mov_b32_e32 v106, v22
	s_set_gpr_idx_off
	ds_read2_b32 v[99:100], v96 offset0:6 offset1:7
	s_waitcnt lgkmcnt(2)
	v_fmac_f32_e32 v95, v107, v101
	s_set_gpr_idx_on s8, gpr_idx(SRC0)
	v_mov_b32_e32 v101, v22
	s_set_gpr_idx_off
	v_fmac_f32_e32 v95, v108, v102
	s_add_u32 s8, s8, 8
	s_waitcnt lgkmcnt(1)
	v_fmac_f32_e32 v95, v109, v103
	v_add_u32_e32 v96, s8, v98
	v_fmac_f32_e32 v95, v105, v104
	s_addc_u32 s9, s9, 0
	s_add_i32 s12, s12, 32
	s_add_i32 s13, s8, -7
	v_cmp_eq_u32_e32 vcc, 12, v96
	s_waitcnt lgkmcnt(0)
	v_fmac_f32_e32 v95, v106, v99
	v_mov_b32_e32 v96, s13
	s_or_b64 s[10:11], vcc, s[10:11]
	v_fmac_f32_e32 v95, v101, v100
	s_andn2_b64 exec, exec, s[10:11]
	s_cbranch_execnz .LBB19_217
; %bb.218:
	s_or_b64 exec, exec, s[10:11]
.LBB19_219:
	s_or_b64 exec, exec, s[2:3]
	v_and_b32_e32 v42, 7, v97
	v_cmp_ne_u32_e32 vcc, 0, v42
	s_and_saveexec_b64 s[8:9], vcc
	s_cbranch_execz .LBB19_223
; %bb.220:
	v_mov_b32_e32 v43, 0x50
	v_lshl_add_u32 v43, v96, 2, v43
	v_mov_b32_e32 v44, 0
	s_mov_b64 s[10:11], 0
.LBB19_221:                             ; =>This Inner Loop Header: Depth=1
	v_cmp_eq_u32_e32 vcc, 1, v96
	v_cndmask_b32_e32 v45, v22, v23, vcc
	v_add_u32_e32 v42, -1, v42
	v_cmp_eq_u32_e32 vcc, 2, v96
	v_cndmask_b32_e32 v45, v45, v24, vcc
	v_cmp_eq_u32_e32 vcc, 0, v42
	v_cmp_eq_u32_e64 s[2:3], 3, v96
	v_cndmask_b32_e64 v45, v45, v25, s[2:3]
	s_or_b64 s[10:11], vcc, s[10:11]
	v_cmp_eq_u32_e32 vcc, 4, v96
	v_cndmask_b32_e32 v45, v45, v26, vcc
	v_cmp_eq_u32_e32 vcc, 5, v96
	v_cndmask_b32_e32 v45, v45, v27, vcc
	v_cmp_eq_u32_e32 vcc, 6, v96
	v_cndmask_b32_e32 v45, v45, v28, vcc
	v_cmp_eq_u32_e32 vcc, 7, v96
	v_cndmask_b32_e32 v45, v45, v29, vcc
	v_cmp_eq_u32_e32 vcc, 8, v96
	v_cndmask_b32_e32 v45, v45, v30, vcc
	v_cmp_eq_u32_e32 vcc, 9, v96
	v_cndmask_b32_e32 v45, v45, v31, vcc
	v_cmp_eq_u32_e32 vcc, 10, v96
	v_cndmask_b32_e32 v45, v45, v32, vcc
	v_cmp_eq_u32_e32 vcc, 11, v96
	v_cndmask_b32_e32 v45, v45, v33, vcc
	v_cmp_eq_u32_e32 vcc, 12, v96
	v_cndmask_b32_e32 v45, v45, v34, vcc
	v_cmp_eq_u32_e32 vcc, 13, v96
	v_cndmask_b32_e32 v45, v45, v35, vcc
	v_cmp_eq_u32_e32 vcc, 14, v96
	v_cndmask_b32_e32 v45, v45, v36, vcc
	v_cmp_eq_u32_e32 vcc, 15, v96
	ds_read_b32 v46, v43
	v_cndmask_b32_e32 v45, v45, v37, vcc
	v_cmp_eq_u32_e32 vcc, 16, v96
	v_cndmask_b32_e32 v45, v45, v38, vcc
	v_cmp_eq_u32_e32 vcc, 17, v96
	;; [unrolled: 2-line block ×4, first 2 shown]
	v_add_co_u32_e64 v96, s[2:3], 1, v96
	v_cndmask_b32_e32 v45, v45, v41, vcc
	v_add_u32_e32 v43, 4, v43
	v_addc_co_u32_e64 v44, s[2:3], 0, v44, s[2:3]
	s_waitcnt lgkmcnt(0)
	v_fmac_f32_e32 v95, v45, v46
	s_andn2_b64 exec, exec, s[10:11]
	s_cbranch_execnz .LBB19_221
; %bb.222:
	s_or_b64 exec, exec, s[10:11]
.LBB19_223:
	s_or_b64 exec, exec, s[8:9]
.LBB19_224:
	s_or_b64 exec, exec, s[6:7]
	v_mov_b32_e32 v26, 0
	ds_read_b32 v26, v26 offset:16
	s_waitcnt lgkmcnt(0)
	v_mul_f32_e32 v26, v95, v26
.LBB19_225:
	s_or_b64 exec, exec, s[4:5]
	v_cmp_lt_u32_e64 s[2:3], 3, v0
	ds_write_b32 v94, v25
	s_waitcnt lgkmcnt(0)
	; wave barrier
	s_and_saveexec_b64 s[4:5], s[2:3]
	s_cbranch_execz .LBB19_241
; %bb.226:
	s_andn2_b64 vcc, exec, s[42:43]
	s_cbranch_vccnz .LBB19_228
; %bb.227:
	v_cmp_eq_u32_e32 vcc, 1, v0
	v_cndmask_b32_e32 v95, v22, v23, vcc
	v_cmp_eq_u32_e32 vcc, 2, v0
	v_cndmask_b32_e32 v95, v95, v24, vcc
	;; [unrolled: 2-line block ×15, first 2 shown]
	v_cmp_eq_u32_e32 vcc, 16, v0
	ds_read_b32 v96, v94
	v_cndmask_b32_e32 v95, v95, v38, vcc
	v_cmp_eq_u32_e32 vcc, 17, v0
	v_cndmask_b32_e32 v95, v95, v39, vcc
	v_cmp_eq_u32_e32 vcc, 18, v0
	;; [unrolled: 2-line block ×3, first 2 shown]
	v_cndmask_b32_e32 v95, v95, v41, vcc
	s_waitcnt lgkmcnt(0)
	v_mul_f32_e32 v95, v95, v96
	s_cbranch_execz .LBB19_229
	s_branch .LBB19_230
.LBB19_228:
                                        ; implicit-def: $vgpr95
.LBB19_229:
	ds_read_b32 v95, v94
.LBB19_230:
	s_and_saveexec_b64 s[6:7], s[0:1]
	s_cbranch_execz .LBB19_240
; %bb.231:
	v_add_u32_e32 v96, -5, v0
	v_add_u32_e32 v97, -4, v0
	v_cmp_lt_u32_e32 vcc, 6, v96
	v_mov_b32_e32 v96, 4
	s_and_saveexec_b64 s[0:1], vcc
	s_cbranch_execz .LBB19_235
; %bb.232:
	v_and_b32_e32 v96, -8, v97
	v_sub_u32_e32 v98, 0, v96
	s_mov_b64 s[8:9], 5
	s_movk_i32 s12, 0x60
	s_mov_b64 s[10:11], 0
.LBB19_233:                             ; =>This Inner Loop Header: Depth=1
	s_add_i32 s13, s8, -1
	v_mov_b32_e32 v96, s12
	s_set_gpr_idx_on s13, gpr_idx(SRC0)
	v_mov_b32_e32 v107, v22
	s_set_gpr_idx_off
	s_add_i32 s14, s8, 1
	ds_read_b128 v[99:102], v96
	ds_read_b128 v[103:106], v96 offset:16
	s_set_gpr_idx_on s8, gpr_idx(SRC0)
	v_mov_b32_e32 v108, v22
	s_set_gpr_idx_off
	s_add_i32 s15, s8, 2
	s_set_gpr_idx_on s14, gpr_idx(SRC0)
	v_mov_b32_e32 v109, v22
	s_set_gpr_idx_off
	s_add_i32 s16, s8, 3
	;; [unrolled: 4-line block ×4, first 2 shown]
	s_waitcnt lgkmcnt(1)
	v_fmac_f32_e32 v95, v107, v99
	s_set_gpr_idx_on s17, gpr_idx(SRC0)
	v_mov_b32_e32 v99, v22
	s_set_gpr_idx_off
	s_add_i32 s19, s8, 6
	v_fmac_f32_e32 v95, v108, v100
	s_set_gpr_idx_on s18, gpr_idx(SRC0)
	v_mov_b32_e32 v100, v22
	s_set_gpr_idx_off
	v_fmac_f32_e32 v95, v109, v101
	s_set_gpr_idx_on s19, gpr_idx(SRC0)
	v_mov_b32_e32 v101, v22
	s_set_gpr_idx_off
	v_fmac_f32_e32 v95, v110, v102
	s_add_u32 s8, s8, 8
	s_waitcnt lgkmcnt(0)
	v_fmac_f32_e32 v95, v111, v103
	v_add_u32_e32 v96, s8, v98
	v_fmac_f32_e32 v95, v99, v104
	s_addc_u32 s9, s9, 0
	s_add_i32 s12, s12, 32
	s_add_i32 s13, s8, -1
	v_cmp_eq_u32_e32 vcc, 5, v96
	v_fmac_f32_e32 v95, v100, v105
	v_mov_b32_e32 v96, s13
	s_or_b64 s[10:11], vcc, s[10:11]
	v_fmac_f32_e32 v95, v101, v106
	s_andn2_b64 exec, exec, s[10:11]
	s_cbranch_execnz .LBB19_233
; %bb.234:
	s_or_b64 exec, exec, s[10:11]
.LBB19_235:
	s_or_b64 exec, exec, s[0:1]
	v_and_b32_e32 v42, 7, v97
	v_cmp_ne_u32_e32 vcc, 0, v42
	s_and_saveexec_b64 s[8:9], vcc
	s_cbranch_execz .LBB19_239
; %bb.236:
	v_mov_b32_e32 v43, 0x50
	v_lshl_add_u32 v43, v96, 2, v43
	v_mov_b32_e32 v44, 0
	s_mov_b64 s[10:11], 0
.LBB19_237:                             ; =>This Inner Loop Header: Depth=1
	v_cmp_eq_u32_e32 vcc, 1, v96
	v_cndmask_b32_e32 v45, v22, v23, vcc
	v_add_u32_e32 v42, -1, v42
	v_cmp_eq_u32_e32 vcc, 2, v96
	v_cndmask_b32_e32 v45, v45, v24, vcc
	v_cmp_eq_u32_e32 vcc, 0, v42
	v_cmp_eq_u32_e64 s[0:1], 3, v96
	v_cndmask_b32_e64 v45, v45, v25, s[0:1]
	s_or_b64 s[10:11], vcc, s[10:11]
	v_cmp_eq_u32_e32 vcc, 4, v96
	v_cndmask_b32_e32 v45, v45, v26, vcc
	v_cmp_eq_u32_e32 vcc, 5, v96
	v_cndmask_b32_e32 v45, v45, v27, vcc
	;; [unrolled: 2-line block ×11, first 2 shown]
	v_cmp_eq_u32_e32 vcc, 15, v96
	ds_read_b32 v46, v43
	v_cndmask_b32_e32 v45, v45, v37, vcc
	v_cmp_eq_u32_e32 vcc, 16, v96
	v_cndmask_b32_e32 v45, v45, v38, vcc
	v_cmp_eq_u32_e32 vcc, 17, v96
	;; [unrolled: 2-line block ×4, first 2 shown]
	v_add_co_u32_e64 v96, s[0:1], 1, v96
	v_cndmask_b32_e32 v45, v45, v41, vcc
	v_add_u32_e32 v43, 4, v43
	v_addc_co_u32_e64 v44, s[0:1], 0, v44, s[0:1]
	s_waitcnt lgkmcnt(0)
	v_fmac_f32_e32 v95, v45, v46
	s_andn2_b64 exec, exec, s[10:11]
	s_cbranch_execnz .LBB19_237
; %bb.238:
	s_or_b64 exec, exec, s[10:11]
.LBB19_239:
	s_or_b64 exec, exec, s[8:9]
.LBB19_240:
	s_or_b64 exec, exec, s[6:7]
	v_mov_b32_e32 v25, 0
	ds_read_b32 v25, v25 offset:12
	s_waitcnt lgkmcnt(0)
	v_mul_f32_e32 v25, v95, v25
.LBB19_241:
	s_or_b64 exec, exec, s[4:5]
	v_cmp_lt_u32_e64 s[0:1], 2, v0
	ds_write_b32 v94, v24
	s_waitcnt lgkmcnt(0)
	; wave barrier
	s_and_saveexec_b64 s[4:5], s[0:1]
	s_cbranch_execz .LBB19_257
; %bb.242:
	s_andn2_b64 vcc, exec, s[42:43]
	s_cbranch_vccnz .LBB19_244
; %bb.243:
	v_cmp_eq_u32_e32 vcc, 1, v0
	v_cndmask_b32_e32 v95, v22, v23, vcc
	v_cmp_eq_u32_e32 vcc, 2, v0
	v_cndmask_b32_e32 v95, v95, v24, vcc
	;; [unrolled: 2-line block ×15, first 2 shown]
	v_cmp_eq_u32_e32 vcc, 16, v0
	ds_read_b32 v96, v94
	v_cndmask_b32_e32 v95, v95, v38, vcc
	v_cmp_eq_u32_e32 vcc, 17, v0
	v_cndmask_b32_e32 v95, v95, v39, vcc
	v_cmp_eq_u32_e32 vcc, 18, v0
	;; [unrolled: 2-line block ×3, first 2 shown]
	v_cndmask_b32_e32 v95, v95, v41, vcc
	s_waitcnt lgkmcnt(0)
	v_mul_f32_e32 v95, v95, v96
	s_cbranch_execz .LBB19_245
	s_branch .LBB19_246
.LBB19_244:
                                        ; implicit-def: $vgpr95
.LBB19_245:
	ds_read_b32 v95, v94
.LBB19_246:
	s_and_saveexec_b64 s[6:7], s[2:3]
	s_cbranch_execz .LBB19_256
; %bb.247:
	v_add_u32_e32 v96, -4, v0
	v_add_u32_e32 v97, -3, v0
	v_cmp_lt_u32_e32 vcc, 6, v96
	v_mov_b32_e32 v96, 3
	s_and_saveexec_b64 s[2:3], vcc
	s_cbranch_execz .LBB19_251
; %bb.248:
	v_and_b32_e32 v96, -8, v97
	v_sub_u32_e32 v98, 0, v96
	s_mov_b64 s[8:9], 10
	s_movk_i32 s12, 0x5c
	s_mov_b64 s[10:11], 0
.LBB19_249:                             ; =>This Inner Loop Header: Depth=1
	s_add_i32 s13, s8, -7
	v_mov_b32_e32 v96, s12
	s_add_i32 s14, s8, -6
	s_set_gpr_idx_on s13, gpr_idx(SRC0)
	v_mov_b32_e32 v105, v22
	s_set_gpr_idx_off
	ds_read2_b32 v[99:100], v96 offset1:1
	s_add_i32 s15, s8, -5
	s_set_gpr_idx_on s14, gpr_idx(SRC0)
	v_mov_b32_e32 v106, v22
	s_set_gpr_idx_off
	s_add_i32 s16, s8, -4
	s_set_gpr_idx_on s15, gpr_idx(SRC0)
	v_mov_b32_e32 v107, v22
	s_set_gpr_idx_off
	ds_read2_b32 v[101:102], v96 offset0:2 offset1:3
	s_add_i32 s17, s8, -3
	s_set_gpr_idx_on s16, gpr_idx(SRC0)
	v_mov_b32_e32 v108, v22
	s_set_gpr_idx_off
	s_add_i32 s18, s8, -2
	s_set_gpr_idx_on s17, gpr_idx(SRC0)
	v_mov_b32_e32 v109, v22
	s_set_gpr_idx_off
	ds_read2_b32 v[103:104], v96 offset0:4 offset1:5
	s_add_i32 s19, s8, -1
	s_waitcnt lgkmcnt(2)
	v_fmac_f32_e32 v95, v105, v99
	s_set_gpr_idx_on s18, gpr_idx(SRC0)
	v_mov_b32_e32 v105, v22
	s_set_gpr_idx_off
	v_fmac_f32_e32 v95, v106, v100
	s_set_gpr_idx_on s19, gpr_idx(SRC0)
	v_mov_b32_e32 v106, v22
	s_set_gpr_idx_off
	ds_read2_b32 v[99:100], v96 offset0:6 offset1:7
	s_waitcnt lgkmcnt(2)
	v_fmac_f32_e32 v95, v107, v101
	s_set_gpr_idx_on s8, gpr_idx(SRC0)
	v_mov_b32_e32 v101, v22
	s_set_gpr_idx_off
	v_fmac_f32_e32 v95, v108, v102
	s_add_u32 s8, s8, 8
	s_waitcnt lgkmcnt(1)
	v_fmac_f32_e32 v95, v109, v103
	v_add_u32_e32 v96, s8, v98
	v_fmac_f32_e32 v95, v105, v104
	s_addc_u32 s9, s9, 0
	s_add_i32 s12, s12, 32
	s_add_i32 s13, s8, -7
	v_cmp_eq_u32_e32 vcc, 10, v96
	s_waitcnt lgkmcnt(0)
	v_fmac_f32_e32 v95, v106, v99
	v_mov_b32_e32 v96, s13
	s_or_b64 s[10:11], vcc, s[10:11]
	v_fmac_f32_e32 v95, v101, v100
	s_andn2_b64 exec, exec, s[10:11]
	s_cbranch_execnz .LBB19_249
; %bb.250:
	s_or_b64 exec, exec, s[10:11]
.LBB19_251:
	s_or_b64 exec, exec, s[2:3]
	v_and_b32_e32 v42, 7, v97
	v_cmp_ne_u32_e32 vcc, 0, v42
	s_and_saveexec_b64 s[8:9], vcc
	s_cbranch_execz .LBB19_255
; %bb.252:
	v_mov_b32_e32 v43, 0x50
	v_lshl_add_u32 v43, v96, 2, v43
	v_mov_b32_e32 v44, 0
	s_mov_b64 s[10:11], 0
.LBB19_253:                             ; =>This Inner Loop Header: Depth=1
	v_cmp_eq_u32_e32 vcc, 1, v96
	v_cndmask_b32_e32 v45, v22, v23, vcc
	v_add_u32_e32 v42, -1, v42
	v_cmp_eq_u32_e32 vcc, 2, v96
	v_cndmask_b32_e32 v45, v45, v24, vcc
	v_cmp_eq_u32_e32 vcc, 0, v42
	v_cmp_eq_u32_e64 s[2:3], 3, v96
	v_cndmask_b32_e64 v45, v45, v25, s[2:3]
	s_or_b64 s[10:11], vcc, s[10:11]
	v_cmp_eq_u32_e32 vcc, 4, v96
	v_cndmask_b32_e32 v45, v45, v26, vcc
	v_cmp_eq_u32_e32 vcc, 5, v96
	v_cndmask_b32_e32 v45, v45, v27, vcc
	;; [unrolled: 2-line block ×11, first 2 shown]
	v_cmp_eq_u32_e32 vcc, 15, v96
	ds_read_b32 v46, v43
	v_cndmask_b32_e32 v45, v45, v37, vcc
	v_cmp_eq_u32_e32 vcc, 16, v96
	v_cndmask_b32_e32 v45, v45, v38, vcc
	v_cmp_eq_u32_e32 vcc, 17, v96
	;; [unrolled: 2-line block ×4, first 2 shown]
	v_add_co_u32_e64 v96, s[2:3], 1, v96
	v_cndmask_b32_e32 v45, v45, v41, vcc
	v_add_u32_e32 v43, 4, v43
	v_addc_co_u32_e64 v44, s[2:3], 0, v44, s[2:3]
	s_waitcnt lgkmcnt(0)
	v_fmac_f32_e32 v95, v45, v46
	s_andn2_b64 exec, exec, s[10:11]
	s_cbranch_execnz .LBB19_253
; %bb.254:
	s_or_b64 exec, exec, s[10:11]
.LBB19_255:
	s_or_b64 exec, exec, s[8:9]
.LBB19_256:
	s_or_b64 exec, exec, s[6:7]
	v_mov_b32_e32 v24, 0
	ds_read_b32 v24, v24 offset:8
	s_waitcnt lgkmcnt(0)
	v_mul_f32_e32 v24, v95, v24
.LBB19_257:
	s_or_b64 exec, exec, s[4:5]
	v_cmp_lt_u32_e64 s[2:3], 1, v0
	ds_write_b32 v94, v23
	s_waitcnt lgkmcnt(0)
	; wave barrier
	s_and_saveexec_b64 s[4:5], s[2:3]
	s_cbranch_execz .LBB19_273
; %bb.258:
	s_andn2_b64 vcc, exec, s[42:43]
	s_cbranch_vccnz .LBB19_260
; %bb.259:
	v_cmp_eq_u32_e32 vcc, 1, v0
	v_cndmask_b32_e32 v95, v22, v23, vcc
	v_cmp_eq_u32_e32 vcc, 2, v0
	v_cndmask_b32_e32 v95, v95, v24, vcc
	;; [unrolled: 2-line block ×15, first 2 shown]
	v_cmp_eq_u32_e32 vcc, 16, v0
	ds_read_b32 v96, v94
	v_cndmask_b32_e32 v95, v95, v38, vcc
	v_cmp_eq_u32_e32 vcc, 17, v0
	v_cndmask_b32_e32 v95, v95, v39, vcc
	v_cmp_eq_u32_e32 vcc, 18, v0
	;; [unrolled: 2-line block ×3, first 2 shown]
	v_cndmask_b32_e32 v95, v95, v41, vcc
	s_waitcnt lgkmcnt(0)
	v_mul_f32_e32 v95, v95, v96
	s_cbranch_execz .LBB19_261
	s_branch .LBB19_262
.LBB19_260:
                                        ; implicit-def: $vgpr95
.LBB19_261:
	ds_read_b32 v95, v94
.LBB19_262:
	s_and_saveexec_b64 s[6:7], s[0:1]
	s_cbranch_execz .LBB19_272
; %bb.263:
	v_add_u32_e32 v96, -3, v0
	v_add_u32_e32 v97, -2, v0
	v_cmp_lt_u32_e32 vcc, 6, v96
	v_mov_b32_e32 v96, 2
	s_and_saveexec_b64 s[0:1], vcc
	s_cbranch_execz .LBB19_267
; %bb.264:
	v_and_b32_e32 v96, -8, v97
	v_sub_u32_e32 v98, 0, v96
	s_mov_b64 s[8:9], 9
	s_movk_i32 s12, 0x58
	s_mov_b64 s[10:11], 0
.LBB19_265:                             ; =>This Inner Loop Header: Depth=1
	s_add_i32 s13, s8, -7
	v_mov_b32_e32 v96, s12
	s_add_i32 s14, s8, -6
	s_set_gpr_idx_on s13, gpr_idx(SRC0)
	v_mov_b32_e32 v107, v22
	s_set_gpr_idx_off
	ds_read2_b64 v[99:102], v96 offset1:1
	s_add_i32 s15, s8, -5
	s_set_gpr_idx_on s14, gpr_idx(SRC0)
	v_mov_b32_e32 v108, v22
	s_set_gpr_idx_off
	s_add_i32 s16, s8, -4
	s_set_gpr_idx_on s15, gpr_idx(SRC0)
	v_mov_b32_e32 v109, v22
	s_set_gpr_idx_off
	;; [unrolled: 4-line block ×4, first 2 shown]
	ds_read2_b64 v[103:106], v96 offset0:2 offset1:3
	s_add_i32 s19, s8, -1
	s_waitcnt lgkmcnt(1)
	v_fmac_f32_e32 v95, v107, v99
	s_set_gpr_idx_on s18, gpr_idx(SRC0)
	v_mov_b32_e32 v99, v22
	s_set_gpr_idx_off
	v_fmac_f32_e32 v95, v108, v100
	s_set_gpr_idx_on s19, gpr_idx(SRC0)
	v_mov_b32_e32 v100, v22
	s_set_gpr_idx_off
	;; [unrolled: 4-line block ×3, first 2 shown]
	v_fmac_f32_e32 v95, v110, v102
	s_add_u32 s8, s8, 8
	s_waitcnt lgkmcnt(0)
	v_fmac_f32_e32 v95, v111, v103
	v_add_u32_e32 v96, s8, v98
	v_fmac_f32_e32 v95, v99, v104
	s_addc_u32 s9, s9, 0
	s_add_i32 s12, s12, 32
	s_add_i32 s13, s8, -7
	v_cmp_eq_u32_e32 vcc, 9, v96
	v_fmac_f32_e32 v95, v100, v105
	v_mov_b32_e32 v96, s13
	s_or_b64 s[10:11], vcc, s[10:11]
	v_fmac_f32_e32 v95, v101, v106
	s_andn2_b64 exec, exec, s[10:11]
	s_cbranch_execnz .LBB19_265
; %bb.266:
	s_or_b64 exec, exec, s[10:11]
.LBB19_267:
	s_or_b64 exec, exec, s[0:1]
	v_and_b32_e32 v42, 7, v97
	v_cmp_ne_u32_e32 vcc, 0, v42
	s_and_saveexec_b64 s[8:9], vcc
	s_cbranch_execz .LBB19_271
; %bb.268:
	v_mov_b32_e32 v43, 0x50
	v_lshl_add_u32 v43, v96, 2, v43
	v_mov_b32_e32 v44, 0
	s_mov_b64 s[10:11], 0
.LBB19_269:                             ; =>This Inner Loop Header: Depth=1
	v_cmp_eq_u32_e32 vcc, 1, v96
	v_cndmask_b32_e32 v45, v22, v23, vcc
	v_add_u32_e32 v42, -1, v42
	v_cmp_eq_u32_e32 vcc, 2, v96
	v_cndmask_b32_e32 v45, v45, v24, vcc
	v_cmp_eq_u32_e32 vcc, 0, v42
	v_cmp_eq_u32_e64 s[0:1], 3, v96
	v_cndmask_b32_e64 v45, v45, v25, s[0:1]
	s_or_b64 s[10:11], vcc, s[10:11]
	v_cmp_eq_u32_e32 vcc, 4, v96
	v_cndmask_b32_e32 v45, v45, v26, vcc
	v_cmp_eq_u32_e32 vcc, 5, v96
	v_cndmask_b32_e32 v45, v45, v27, vcc
	;; [unrolled: 2-line block ×11, first 2 shown]
	v_cmp_eq_u32_e32 vcc, 15, v96
	ds_read_b32 v46, v43
	v_cndmask_b32_e32 v45, v45, v37, vcc
	v_cmp_eq_u32_e32 vcc, 16, v96
	v_cndmask_b32_e32 v45, v45, v38, vcc
	v_cmp_eq_u32_e32 vcc, 17, v96
	;; [unrolled: 2-line block ×4, first 2 shown]
	v_add_co_u32_e64 v96, s[0:1], 1, v96
	v_cndmask_b32_e32 v45, v45, v41, vcc
	v_add_u32_e32 v43, 4, v43
	v_addc_co_u32_e64 v44, s[0:1], 0, v44, s[0:1]
	s_waitcnt lgkmcnt(0)
	v_fmac_f32_e32 v95, v45, v46
	s_andn2_b64 exec, exec, s[10:11]
	s_cbranch_execnz .LBB19_269
; %bb.270:
	s_or_b64 exec, exec, s[10:11]
.LBB19_271:
	s_or_b64 exec, exec, s[8:9]
.LBB19_272:
	s_or_b64 exec, exec, s[6:7]
	v_mov_b32_e32 v23, 0
	ds_read_b32 v23, v23 offset:4
	s_waitcnt lgkmcnt(0)
	v_mul_f32_e32 v23, v95, v23
.LBB19_273:
	s_or_b64 exec, exec, s[4:5]
	v_cmp_ne_u32_e32 vcc, 0, v0
	ds_write_b32 v94, v22
	s_waitcnt lgkmcnt(0)
	; wave barrier
	s_and_saveexec_b64 s[4:5], vcc
	s_cbranch_execz .LBB19_289
; %bb.274:
	s_andn2_b64 vcc, exec, s[42:43]
	s_cbranch_vccnz .LBB19_276
; %bb.275:
	v_cmp_eq_u32_e32 vcc, 1, v0
	v_cndmask_b32_e32 v95, v22, v23, vcc
	v_cmp_eq_u32_e32 vcc, 2, v0
	v_cndmask_b32_e32 v95, v95, v24, vcc
	v_cmp_eq_u32_e32 vcc, 3, v0
	v_cndmask_b32_e32 v95, v95, v25, vcc
	v_cmp_eq_u32_e32 vcc, 4, v0
	v_cndmask_b32_e32 v95, v95, v26, vcc
	v_cmp_eq_u32_e32 vcc, 5, v0
	v_cndmask_b32_e32 v95, v95, v27, vcc
	v_cmp_eq_u32_e32 vcc, 6, v0
	v_cndmask_b32_e32 v95, v95, v28, vcc
	v_cmp_eq_u32_e32 vcc, 7, v0
	v_cndmask_b32_e32 v95, v95, v29, vcc
	v_cmp_eq_u32_e32 vcc, 8, v0
	v_cndmask_b32_e32 v95, v95, v30, vcc
	v_cmp_eq_u32_e32 vcc, 9, v0
	v_cndmask_b32_e32 v95, v95, v31, vcc
	v_cmp_eq_u32_e32 vcc, 10, v0
	v_cndmask_b32_e32 v95, v95, v32, vcc
	v_cmp_eq_u32_e32 vcc, 11, v0
	v_cndmask_b32_e32 v95, v95, v33, vcc
	v_cmp_eq_u32_e32 vcc, 12, v0
	v_cndmask_b32_e32 v95, v95, v34, vcc
	v_cmp_eq_u32_e32 vcc, 13, v0
	v_cndmask_b32_e32 v95, v95, v35, vcc
	v_cmp_eq_u32_e32 vcc, 14, v0
	v_cndmask_b32_e32 v95, v95, v36, vcc
	v_cmp_eq_u32_e32 vcc, 15, v0
	v_cndmask_b32_e32 v95, v95, v37, vcc
	v_cmp_eq_u32_e32 vcc, 16, v0
	ds_read_b32 v96, v94
	v_cndmask_b32_e32 v95, v95, v38, vcc
	v_cmp_eq_u32_e32 vcc, 17, v0
	v_cndmask_b32_e32 v95, v95, v39, vcc
	v_cmp_eq_u32_e32 vcc, 18, v0
	;; [unrolled: 2-line block ×3, first 2 shown]
	v_cndmask_b32_e32 v95, v95, v41, vcc
	s_waitcnt lgkmcnt(0)
	v_mul_f32_e32 v95, v95, v96
	s_cbranch_execz .LBB19_277
	s_branch .LBB19_278
.LBB19_276:
                                        ; implicit-def: $vgpr95
.LBB19_277:
	ds_read_b32 v95, v94
.LBB19_278:
	s_and_saveexec_b64 s[6:7], s[2:3]
	s_cbranch_execz .LBB19_288
; %bb.279:
	v_add_u32_e32 v96, -2, v0
	v_add_u32_e32 v97, -1, v0
	v_cmp_lt_u32_e32 vcc, 6, v96
	v_mov_b32_e32 v96, 1
	s_and_saveexec_b64 s[0:1], vcc
	s_cbranch_execz .LBB19_283
; %bb.280:
	v_and_b32_e32 v96, -8, v97
	v_sub_u32_e32 v98, 0, v96
	s_mov_b64 s[2:3], 8
	s_movk_i32 s10, 0x54
	s_mov_b64 s[8:9], 0
.LBB19_281:                             ; =>This Inner Loop Header: Depth=1
	s_add_i32 s11, s2, -7
	v_mov_b32_e32 v96, s10
	s_add_i32 s12, s2, -6
	s_set_gpr_idx_on s11, gpr_idx(SRC0)
	v_mov_b32_e32 v105, v22
	s_set_gpr_idx_off
	ds_read2_b32 v[99:100], v96 offset1:1
	s_add_i32 s13, s2, -5
	s_set_gpr_idx_on s12, gpr_idx(SRC0)
	v_mov_b32_e32 v106, v22
	s_set_gpr_idx_off
	s_add_i32 s14, s2, -4
	s_set_gpr_idx_on s13, gpr_idx(SRC0)
	v_mov_b32_e32 v107, v22
	s_set_gpr_idx_off
	ds_read2_b32 v[101:102], v96 offset0:2 offset1:3
	s_add_i32 s15, s2, -3
	s_set_gpr_idx_on s14, gpr_idx(SRC0)
	v_mov_b32_e32 v108, v22
	s_set_gpr_idx_off
	s_add_i32 s16, s2, -2
	s_set_gpr_idx_on s15, gpr_idx(SRC0)
	v_mov_b32_e32 v109, v22
	s_set_gpr_idx_off
	ds_read2_b32 v[103:104], v96 offset0:4 offset1:5
	s_add_i32 s17, s2, -1
	s_waitcnt lgkmcnt(2)
	v_fmac_f32_e32 v95, v105, v99
	s_set_gpr_idx_on s16, gpr_idx(SRC0)
	v_mov_b32_e32 v105, v22
	s_set_gpr_idx_off
	v_fmac_f32_e32 v95, v106, v100
	s_set_gpr_idx_on s17, gpr_idx(SRC0)
	v_mov_b32_e32 v106, v22
	s_set_gpr_idx_off
	ds_read2_b32 v[99:100], v96 offset0:6 offset1:7
	s_waitcnt lgkmcnt(2)
	v_fmac_f32_e32 v95, v107, v101
	s_set_gpr_idx_on s2, gpr_idx(SRC0)
	v_mov_b32_e32 v101, v22
	s_set_gpr_idx_off
	v_fmac_f32_e32 v95, v108, v102
	s_add_u32 s2, s2, 8
	s_waitcnt lgkmcnt(1)
	v_fmac_f32_e32 v95, v109, v103
	v_add_u32_e32 v96, s2, v98
	v_fmac_f32_e32 v95, v105, v104
	s_addc_u32 s3, s3, 0
	s_add_i32 s10, s10, 32
	s_add_i32 s11, s2, -7
	v_cmp_eq_u32_e32 vcc, 8, v96
	s_waitcnt lgkmcnt(0)
	v_fmac_f32_e32 v95, v106, v99
	v_mov_b32_e32 v96, s11
	s_or_b64 s[8:9], vcc, s[8:9]
	v_fmac_f32_e32 v95, v101, v100
	s_andn2_b64 exec, exec, s[8:9]
	s_cbranch_execnz .LBB19_281
; %bb.282:
	s_or_b64 exec, exec, s[8:9]
.LBB19_283:
	s_or_b64 exec, exec, s[0:1]
	v_and_b32_e32 v42, 7, v97
	v_cmp_ne_u32_e32 vcc, 0, v42
	s_and_saveexec_b64 s[2:3], vcc
	s_cbranch_execz .LBB19_287
; %bb.284:
	v_mov_b32_e32 v43, 0x50
	v_lshl_add_u32 v43, v96, 2, v43
	v_mov_b32_e32 v44, 0
	s_mov_b64 s[8:9], 0
.LBB19_285:                             ; =>This Inner Loop Header: Depth=1
	v_cmp_eq_u32_e32 vcc, 1, v96
	v_cndmask_b32_e32 v45, v22, v23, vcc
	v_add_u32_e32 v42, -1, v42
	v_cmp_eq_u32_e32 vcc, 2, v96
	v_cndmask_b32_e32 v45, v45, v24, vcc
	v_cmp_eq_u32_e32 vcc, 0, v42
	v_cmp_eq_u32_e64 s[0:1], 3, v96
	v_cndmask_b32_e64 v45, v45, v25, s[0:1]
	s_or_b64 s[8:9], vcc, s[8:9]
	v_cmp_eq_u32_e32 vcc, 4, v96
	v_cndmask_b32_e32 v45, v45, v26, vcc
	v_cmp_eq_u32_e32 vcc, 5, v96
	v_cndmask_b32_e32 v45, v45, v27, vcc
	;; [unrolled: 2-line block ×11, first 2 shown]
	v_cmp_eq_u32_e32 vcc, 15, v96
	ds_read_b32 v46, v43
	v_cndmask_b32_e32 v45, v45, v37, vcc
	v_cmp_eq_u32_e32 vcc, 16, v96
	v_cndmask_b32_e32 v45, v45, v38, vcc
	v_cmp_eq_u32_e32 vcc, 17, v96
	;; [unrolled: 2-line block ×4, first 2 shown]
	v_add_co_u32_e64 v96, s[0:1], 1, v96
	v_cndmask_b32_e32 v45, v45, v41, vcc
	v_add_u32_e32 v43, 4, v43
	v_addc_co_u32_e64 v44, s[0:1], 0, v44, s[0:1]
	s_waitcnt lgkmcnt(0)
	v_fmac_f32_e32 v95, v45, v46
	s_andn2_b64 exec, exec, s[8:9]
	s_cbranch_execnz .LBB19_285
; %bb.286:
	s_or_b64 exec, exec, s[8:9]
.LBB19_287:
	s_or_b64 exec, exec, s[2:3]
.LBB19_288:
	s_or_b64 exec, exec, s[6:7]
	v_mov_b32_e32 v22, 0
	ds_read_b32 v22, v22
	s_waitcnt lgkmcnt(0)
	v_mul_f32_e32 v22, v95, v22
.LBB19_289:
	s_or_b64 exec, exec, s[4:5]
	s_branch .LBB19_483
.LBB19_290:
	v_cmp_eq_u32_e64 s[2:3], 0, v0
	s_waitcnt vmcnt(19)
	ds_write_b32 v94, v3
	s_waitcnt lgkmcnt(0)
	; wave barrier
	s_and_saveexec_b64 s[0:1], s[2:3]
	s_cbranch_execz .LBB19_296
; %bb.291:
	s_and_b64 vcc, exec, s[42:43]
	s_cbranch_vccz .LBB19_293
; %bb.292:
	v_cmp_eq_u32_e32 vcc, 1, v0
	s_waitcnt vmcnt(3)
	v_cndmask_b32_e32 v3, v2, v3, vcc
	v_cmp_eq_u32_e32 vcc, 2, v0
	v_cndmask_b32_e32 v3, v3, v4, vcc
	v_cmp_eq_u32_e32 vcc, 3, v0
	;; [unrolled: 2-line block ×15, first 2 shown]
	ds_read_b32 v22, v94
	v_cndmask_b32_e32 v3, v3, v18, vcc
	v_cmp_eq_u32_e32 vcc, 17, v0
	s_waitcnt vmcnt(2)
	v_cndmask_b32_e32 v3, v3, v19, vcc
	v_cmp_eq_u32_e32 vcc, 18, v0
	s_waitcnt vmcnt(1)
	;; [unrolled: 3-line block ×3, first 2 shown]
	v_cndmask_b32_e32 v3, v3, v21, vcc
	s_waitcnt lgkmcnt(0)
	v_mul_f32_e32 v3, v3, v22
	s_cbranch_execz .LBB19_294
	s_branch .LBB19_295
.LBB19_293:
                                        ; implicit-def: $vgpr3
.LBB19_294:
	ds_read_b32 v3, v94
.LBB19_295:
	v_mov_b32_e32 v22, 0
	ds_read_b32 v22, v22 offset:4
	s_waitcnt lgkmcnt(0)
	v_mul_f32_e32 v3, v3, v22
.LBB19_296:
	s_or_b64 exec, exec, s[0:1]
	v_cndmask_b32_e64 v22, 0, 1, s[42:43]
	v_cmp_gt_u32_e32 vcc, 2, v0
	v_cmp_ne_u32_e64 s[0:1], 1, v22
	s_waitcnt vmcnt(18)
	ds_write_b32 v94, v4
	s_waitcnt lgkmcnt(0)
	; wave barrier
	s_and_saveexec_b64 s[4:5], vcc
	s_cbranch_execz .LBB19_302
; %bb.297:
	s_and_b64 vcc, exec, s[0:1]
	s_cbranch_vccnz .LBB19_299
; %bb.298:
	v_cmp_eq_u32_e32 vcc, 1, v0
	s_waitcnt vmcnt(3)
	v_cndmask_b32_e32 v22, v2, v3, vcc
	v_cmp_eq_u32_e32 vcc, 2, v0
	v_cndmask_b32_e32 v4, v22, v4, vcc
	v_cmp_eq_u32_e32 vcc, 3, v0
	;; [unrolled: 2-line block ×15, first 2 shown]
	ds_read_b32 v22, v94
	v_cndmask_b32_e32 v4, v4, v18, vcc
	v_cmp_eq_u32_e32 vcc, 17, v0
	s_waitcnt vmcnt(2)
	v_cndmask_b32_e32 v4, v4, v19, vcc
	v_cmp_eq_u32_e32 vcc, 18, v0
	s_waitcnt vmcnt(1)
	;; [unrolled: 3-line block ×3, first 2 shown]
	v_cndmask_b32_e32 v4, v4, v21, vcc
	s_waitcnt lgkmcnt(0)
	v_mul_f32_e32 v4, v4, v22
	s_cbranch_execz .LBB19_300
	s_branch .LBB19_301
.LBB19_299:
                                        ; implicit-def: $vgpr4
.LBB19_300:
	ds_read_b32 v4, v94
.LBB19_301:
	v_mov_b32_e32 v22, 0
	ds_read2_b32 v[22:23], v22 offset0:2 offset1:21
	s_waitcnt lgkmcnt(0)
	v_fma_f32 v23, v3, v23, v4
	v_cndmask_b32_e64 v4, v4, v23, s[2:3]
	v_mul_f32_e32 v4, v4, v22
.LBB19_302:
	s_or_b64 exec, exec, s[4:5]
	v_add_u32_e32 v24, 1, v0
	v_cmp_gt_u32_e64 s[4:5], 3, v0
	s_waitcnt vmcnt(17)
	ds_write_b32 v94, v5
	s_waitcnt lgkmcnt(0)
	; wave barrier
	s_and_saveexec_b64 s[6:7], s[4:5]
	s_cbranch_execz .LBB19_310
; %bb.303:
	s_and_b64 vcc, exec, s[0:1]
	s_cbranch_vccnz .LBB19_305
; %bb.304:
	v_cmp_eq_u32_e32 vcc, 1, v0
	s_waitcnt vmcnt(3)
	v_cndmask_b32_e32 v22, v2, v3, vcc
	v_cmp_eq_u32_e32 vcc, 2, v0
	v_cndmask_b32_e32 v22, v22, v4, vcc
	v_cmp_eq_u32_e32 vcc, 3, v0
	v_cndmask_b32_e32 v22, v22, v5, vcc
	v_cmp_eq_u32_e32 vcc, 4, v0
	v_cndmask_b32_e32 v22, v22, v6, vcc
	v_cmp_eq_u32_e32 vcc, 5, v0
	v_cndmask_b32_e32 v22, v22, v7, vcc
	v_cmp_eq_u32_e32 vcc, 6, v0
	v_cndmask_b32_e32 v22, v22, v8, vcc
	v_cmp_eq_u32_e32 vcc, 7, v0
	v_cndmask_b32_e32 v22, v22, v9, vcc
	v_cmp_eq_u32_e32 vcc, 8, v0
	v_cndmask_b32_e32 v22, v22, v10, vcc
	v_cmp_eq_u32_e32 vcc, 9, v0
	v_cndmask_b32_e32 v22, v22, v11, vcc
	v_cmp_eq_u32_e32 vcc, 10, v0
	v_cndmask_b32_e32 v22, v22, v12, vcc
	v_cmp_eq_u32_e32 vcc, 11, v0
	v_cndmask_b32_e32 v22, v22, v13, vcc
	v_cmp_eq_u32_e32 vcc, 12, v0
	v_cndmask_b32_e32 v22, v22, v14, vcc
	v_cmp_eq_u32_e32 vcc, 13, v0
	v_cndmask_b32_e32 v22, v22, v15, vcc
	v_cmp_eq_u32_e32 vcc, 14, v0
	v_cndmask_b32_e32 v22, v22, v16, vcc
	v_cmp_eq_u32_e32 vcc, 15, v0
	v_cndmask_b32_e32 v22, v22, v17, vcc
	v_cmp_eq_u32_e32 vcc, 16, v0
	ds_read_b32 v23, v94
	v_cndmask_b32_e32 v22, v22, v18, vcc
	v_cmp_eq_u32_e32 vcc, 17, v0
	s_waitcnt vmcnt(2)
	v_cndmask_b32_e32 v22, v22, v19, vcc
	v_cmp_eq_u32_e32 vcc, 18, v0
	s_waitcnt vmcnt(1)
	;; [unrolled: 3-line block ×3, first 2 shown]
	v_cndmask_b32_e32 v22, v22, v21, vcc
	s_waitcnt lgkmcnt(0)
	v_mul_f32_e32 v22, v22, v23
	s_cbranch_execz .LBB19_306
	s_branch .LBB19_307
.LBB19_305:
                                        ; implicit-def: $vgpr22
.LBB19_306:
	ds_read_b32 v22, v94
.LBB19_307:
	v_cmp_ne_u32_e32 vcc, 2, v0
	s_and_saveexec_b64 s[8:9], vcc
	s_cbranch_execz .LBB19_309
; %bb.308:
	v_cmp_eq_u32_e32 vcc, 1, v24
	s_waitcnt vmcnt(3)
	v_cndmask_b32_e32 v23, v2, v3, vcc
	v_cmp_eq_u32_e32 vcc, 2, v24
	v_cndmask_b32_e32 v23, v23, v4, vcc
	v_cmp_eq_u32_e32 vcc, 3, v24
	;; [unrolled: 2-line block ×15, first 2 shown]
	v_mov_b32_e32 v23, 0
	v_cndmask_b32_e32 v5, v5, v18, vcc
	v_cmp_eq_u32_e32 vcc, 17, v24
	ds_read_b32 v25, v94 offset:4
	ds_read_b32 v23, v23 offset:88
	s_waitcnt vmcnt(2)
	v_cndmask_b32_e32 v5, v5, v19, vcc
	v_cmp_eq_u32_e32 vcc, 18, v24
	s_waitcnt vmcnt(1)
	v_cndmask_b32_e32 v5, v5, v20, vcc
	v_cmp_eq_u32_e32 vcc, 19, v24
	s_waitcnt vmcnt(0)
	v_cndmask_b32_e32 v5, v5, v21, vcc
	s_waitcnt lgkmcnt(1)
	v_fmac_f32_e32 v22, v5, v25
	s_waitcnt lgkmcnt(0)
	v_fma_f32 v5, v4, v23, v22
	v_cndmask_b32_e64 v22, v22, v5, s[2:3]
.LBB19_309:
	s_or_b64 exec, exec, s[8:9]
	v_mov_b32_e32 v5, 0
	ds_read_b32 v5, v5 offset:12
	s_waitcnt lgkmcnt(0)
	v_mul_f32_e32 v5, v22, v5
.LBB19_310:
	s_or_b64 exec, exec, s[6:7]
	v_cmp_gt_u32_e32 vcc, 4, v0
	s_waitcnt vmcnt(16)
	ds_write_b32 v94, v6
	s_waitcnt lgkmcnt(0)
	; wave barrier
	s_and_saveexec_b64 s[8:9], vcc
	s_cbranch_execz .LBB19_320
; %bb.311:
	s_and_b64 vcc, exec, s[0:1]
	s_cbranch_vccnz .LBB19_313
; %bb.312:
	v_cmp_eq_u32_e32 vcc, 1, v0
	s_waitcnt vmcnt(3)
	v_cndmask_b32_e32 v22, v2, v3, vcc
	v_cmp_eq_u32_e32 vcc, 2, v0
	v_cndmask_b32_e32 v22, v22, v4, vcc
	v_cmp_eq_u32_e32 vcc, 3, v0
	;; [unrolled: 2-line block ×15, first 2 shown]
	ds_read_b32 v23, v94
	v_cndmask_b32_e32 v22, v22, v18, vcc
	v_cmp_eq_u32_e32 vcc, 17, v0
	s_waitcnt vmcnt(2)
	v_cndmask_b32_e32 v22, v22, v19, vcc
	v_cmp_eq_u32_e32 vcc, 18, v0
	s_waitcnt vmcnt(1)
	;; [unrolled: 3-line block ×3, first 2 shown]
	v_cndmask_b32_e32 v22, v22, v21, vcc
	s_waitcnt lgkmcnt(0)
	v_mul_f32_e32 v25, v22, v23
	s_cbranch_execz .LBB19_314
	s_branch .LBB19_315
.LBB19_313:
                                        ; implicit-def: $vgpr25
.LBB19_314:
	ds_read_b32 v25, v94
.LBB19_315:
	v_cmp_ne_u32_e32 vcc, 3, v0
	s_and_saveexec_b64 s[10:11], vcc
	s_cbranch_execz .LBB19_319
; %bb.316:
	v_mov_b32_e32 v22, 0x54
	v_lshl_add_u32 v26, v0, 2, v22
	v_mov_b32_e32 v23, v1
	s_mov_b64 s[12:13], 0
	v_mov_b32_e32 v22, v0
.LBB19_317:                             ; =>This Inner Loop Header: Depth=1
	v_add_co_u32_e32 v22, vcc, 1, v22
	v_addc_co_u32_e32 v23, vcc, 0, v23, vcc
	v_cmp_eq_u32_e32 vcc, 1, v22
	s_waitcnt vmcnt(3)
	v_cndmask_b32_e32 v28, v2, v3, vcc
	v_cmp_lt_u32_e32 vcc, 2, v22
	v_cmp_eq_u32_e64 s[6:7], 2, v22
	v_cndmask_b32_e64 v28, v28, v4, s[6:7]
	s_or_b64 s[12:13], vcc, s[12:13]
	v_cmp_eq_u32_e32 vcc, 3, v22
	v_cndmask_b32_e32 v28, v28, v5, vcc
	v_cmp_eq_u32_e32 vcc, 4, v22
	v_cndmask_b32_e32 v28, v28, v6, vcc
	v_cmp_eq_u32_e32 vcc, 5, v22
	v_cndmask_b32_e32 v28, v28, v7, vcc
	v_cmp_eq_u32_e32 vcc, 6, v22
	v_cndmask_b32_e32 v28, v28, v8, vcc
	v_cmp_eq_u32_e32 vcc, 7, v22
	v_cndmask_b32_e32 v28, v28, v9, vcc
	v_cmp_eq_u32_e32 vcc, 8, v22
	v_cndmask_b32_e32 v28, v28, v10, vcc
	v_cmp_eq_u32_e32 vcc, 9, v22
	v_cndmask_b32_e32 v28, v28, v11, vcc
	v_cmp_eq_u32_e32 vcc, 10, v22
	v_cndmask_b32_e32 v28, v28, v12, vcc
	v_cmp_eq_u32_e32 vcc, 11, v22
	v_cndmask_b32_e32 v28, v28, v13, vcc
	v_cmp_eq_u32_e32 vcc, 12, v22
	v_cndmask_b32_e32 v28, v28, v14, vcc
	v_cmp_eq_u32_e32 vcc, 13, v22
	v_cndmask_b32_e32 v28, v28, v15, vcc
	v_cmp_eq_u32_e32 vcc, 14, v22
	v_cndmask_b32_e32 v28, v28, v16, vcc
	v_cmp_eq_u32_e32 vcc, 15, v22
	ds_read_b32 v27, v26
	v_cndmask_b32_e32 v28, v28, v17, vcc
	v_cmp_eq_u32_e32 vcc, 16, v22
	v_cndmask_b32_e32 v28, v28, v18, vcc
	v_cmp_eq_u32_e32 vcc, 17, v22
	s_waitcnt vmcnt(2)
	v_cndmask_b32_e32 v28, v28, v19, vcc
	v_cmp_eq_u32_e32 vcc, 18, v22
	s_waitcnt vmcnt(1)
	;; [unrolled: 3-line block ×3, first 2 shown]
	v_cndmask_b32_e32 v28, v28, v21, vcc
	v_add_u32_e32 v26, 4, v26
	s_waitcnt lgkmcnt(0)
	v_fmac_f32_e32 v25, v28, v27
	s_andn2_b64 exec, exec, s[12:13]
	s_cbranch_execnz .LBB19_317
; %bb.318:
	s_or_b64 exec, exec, s[12:13]
.LBB19_319:
	s_or_b64 exec, exec, s[10:11]
	v_mov_b32_e32 v6, 0
	ds_read_b32 v6, v6 offset:16
	s_waitcnt lgkmcnt(0)
	v_mul_f32_e32 v6, v25, v6
.LBB19_320:
	s_or_b64 exec, exec, s[8:9]
	v_cmp_gt_u32_e64 s[6:7], 5, v0
	s_waitcnt vmcnt(15)
	ds_write_b32 v94, v7
	s_waitcnt lgkmcnt(0)
	; wave barrier
	s_and_saveexec_b64 s[10:11], s[6:7]
	s_cbranch_execz .LBB19_330
; %bb.321:
	s_and_b64 vcc, exec, s[0:1]
	s_cbranch_vccnz .LBB19_323
; %bb.322:
	v_cmp_eq_u32_e32 vcc, 1, v0
	s_waitcnt vmcnt(3)
	v_cndmask_b32_e32 v22, v2, v3, vcc
	v_cmp_eq_u32_e32 vcc, 2, v0
	v_cndmask_b32_e32 v22, v22, v4, vcc
	v_cmp_eq_u32_e32 vcc, 3, v0
	;; [unrolled: 2-line block ×15, first 2 shown]
	ds_read_b32 v23, v94
	v_cndmask_b32_e32 v22, v22, v18, vcc
	v_cmp_eq_u32_e32 vcc, 17, v0
	s_waitcnt vmcnt(2)
	v_cndmask_b32_e32 v22, v22, v19, vcc
	v_cmp_eq_u32_e32 vcc, 18, v0
	s_waitcnt vmcnt(1)
	;; [unrolled: 3-line block ×3, first 2 shown]
	v_cndmask_b32_e32 v22, v22, v21, vcc
	s_waitcnt lgkmcnt(0)
	v_mul_f32_e32 v25, v22, v23
	s_cbranch_execz .LBB19_324
	s_branch .LBB19_325
.LBB19_323:
                                        ; implicit-def: $vgpr25
.LBB19_324:
	ds_read_b32 v25, v94
.LBB19_325:
	v_cmp_ne_u32_e32 vcc, 4, v0
	s_and_saveexec_b64 s[12:13], vcc
	s_cbranch_execz .LBB19_329
; %bb.326:
	v_mov_b32_e32 v22, 0x54
	v_lshl_add_u32 v26, v0, 2, v22
	v_mov_b32_e32 v23, v1
	s_mov_b64 s[14:15], 0
	v_mov_b32_e32 v22, v0
.LBB19_327:                             ; =>This Inner Loop Header: Depth=1
	v_add_co_u32_e32 v22, vcc, 1, v22
	v_addc_co_u32_e32 v23, vcc, 0, v23, vcc
	v_cmp_eq_u32_e32 vcc, 1, v22
	s_waitcnt vmcnt(3)
	v_cndmask_b32_e32 v28, v2, v3, vcc
	v_cmp_lt_u32_e32 vcc, 3, v22
	v_cmp_eq_u32_e64 s[8:9], 2, v22
	v_cndmask_b32_e64 v28, v28, v4, s[8:9]
	s_or_b64 s[14:15], vcc, s[14:15]
	v_cmp_eq_u32_e32 vcc, 3, v22
	v_cndmask_b32_e32 v28, v28, v5, vcc
	v_cmp_eq_u32_e32 vcc, 4, v22
	v_cndmask_b32_e32 v28, v28, v6, vcc
	;; [unrolled: 2-line block ×12, first 2 shown]
	v_cmp_eq_u32_e32 vcc, 15, v22
	ds_read_b32 v27, v26
	v_cndmask_b32_e32 v28, v28, v17, vcc
	v_cmp_eq_u32_e32 vcc, 16, v22
	v_cndmask_b32_e32 v28, v28, v18, vcc
	v_cmp_eq_u32_e32 vcc, 17, v22
	s_waitcnt vmcnt(2)
	v_cndmask_b32_e32 v28, v28, v19, vcc
	v_cmp_eq_u32_e32 vcc, 18, v22
	s_waitcnt vmcnt(1)
	;; [unrolled: 3-line block ×3, first 2 shown]
	v_cndmask_b32_e32 v28, v28, v21, vcc
	v_add_u32_e32 v26, 4, v26
	s_waitcnt lgkmcnt(0)
	v_fmac_f32_e32 v25, v28, v27
	s_andn2_b64 exec, exec, s[14:15]
	s_cbranch_execnz .LBB19_327
; %bb.328:
	s_or_b64 exec, exec, s[14:15]
.LBB19_329:
	s_or_b64 exec, exec, s[12:13]
	v_mov_b32_e32 v7, 0
	ds_read_b32 v7, v7 offset:20
	s_waitcnt lgkmcnt(0)
	v_mul_f32_e32 v7, v25, v7
.LBB19_330:
	s_or_b64 exec, exec, s[10:11]
	v_cmp_gt_u32_e32 vcc, 6, v0
	s_waitcnt vmcnt(14)
	ds_write_b32 v94, v8
	s_waitcnt lgkmcnt(0)
	; wave barrier
	s_and_saveexec_b64 s[10:11], vcc
	s_cbranch_execz .LBB19_340
; %bb.331:
	s_and_b64 vcc, exec, s[0:1]
	s_cbranch_vccnz .LBB19_333
; %bb.332:
	v_cmp_eq_u32_e32 vcc, 1, v0
	s_waitcnt vmcnt(3)
	v_cndmask_b32_e32 v22, v2, v3, vcc
	v_cmp_eq_u32_e32 vcc, 2, v0
	v_cndmask_b32_e32 v22, v22, v4, vcc
	v_cmp_eq_u32_e32 vcc, 3, v0
	;; [unrolled: 2-line block ×15, first 2 shown]
	ds_read_b32 v23, v94
	v_cndmask_b32_e32 v22, v22, v18, vcc
	v_cmp_eq_u32_e32 vcc, 17, v0
	s_waitcnt vmcnt(2)
	v_cndmask_b32_e32 v22, v22, v19, vcc
	v_cmp_eq_u32_e32 vcc, 18, v0
	s_waitcnt vmcnt(1)
	;; [unrolled: 3-line block ×3, first 2 shown]
	v_cndmask_b32_e32 v22, v22, v21, vcc
	s_waitcnt lgkmcnt(0)
	v_mul_f32_e32 v25, v22, v23
	s_cbranch_execz .LBB19_334
	s_branch .LBB19_335
.LBB19_333:
                                        ; implicit-def: $vgpr25
.LBB19_334:
	ds_read_b32 v25, v94
.LBB19_335:
	v_cmp_ne_u32_e32 vcc, 5, v0
	s_and_saveexec_b64 s[12:13], vcc
	s_cbranch_execz .LBB19_339
; %bb.336:
	v_mov_b32_e32 v22, 0x54
	v_lshl_add_u32 v26, v0, 2, v22
	v_mov_b32_e32 v23, v1
	s_mov_b64 s[14:15], 0
	v_mov_b32_e32 v22, v0
.LBB19_337:                             ; =>This Inner Loop Header: Depth=1
	v_add_co_u32_e32 v22, vcc, 1, v22
	v_addc_co_u32_e32 v23, vcc, 0, v23, vcc
	v_cmp_eq_u32_e32 vcc, 1, v22
	s_waitcnt vmcnt(3)
	v_cndmask_b32_e32 v28, v2, v3, vcc
	v_cmp_lt_u32_e32 vcc, 4, v22
	v_cmp_eq_u32_e64 s[8:9], 2, v22
	v_cndmask_b32_e64 v28, v28, v4, s[8:9]
	s_or_b64 s[14:15], vcc, s[14:15]
	v_cmp_eq_u32_e32 vcc, 3, v22
	v_cndmask_b32_e32 v28, v28, v5, vcc
	v_cmp_eq_u32_e32 vcc, 4, v22
	v_cndmask_b32_e32 v28, v28, v6, vcc
	;; [unrolled: 2-line block ×12, first 2 shown]
	v_cmp_eq_u32_e32 vcc, 15, v22
	ds_read_b32 v27, v26
	v_cndmask_b32_e32 v28, v28, v17, vcc
	v_cmp_eq_u32_e32 vcc, 16, v22
	v_cndmask_b32_e32 v28, v28, v18, vcc
	v_cmp_eq_u32_e32 vcc, 17, v22
	s_waitcnt vmcnt(2)
	v_cndmask_b32_e32 v28, v28, v19, vcc
	v_cmp_eq_u32_e32 vcc, 18, v22
	s_waitcnt vmcnt(1)
	;; [unrolled: 3-line block ×3, first 2 shown]
	v_cndmask_b32_e32 v28, v28, v21, vcc
	v_add_u32_e32 v26, 4, v26
	s_waitcnt lgkmcnt(0)
	v_fmac_f32_e32 v25, v28, v27
	s_andn2_b64 exec, exec, s[14:15]
	s_cbranch_execnz .LBB19_337
; %bb.338:
	s_or_b64 exec, exec, s[14:15]
.LBB19_339:
	s_or_b64 exec, exec, s[12:13]
	v_mov_b32_e32 v8, 0
	ds_read_b32 v8, v8 offset:24
	s_waitcnt lgkmcnt(0)
	v_mul_f32_e32 v8, v25, v8
.LBB19_340:
	s_or_b64 exec, exec, s[10:11]
	v_cmp_gt_u32_e64 s[8:9], 7, v0
	s_waitcnt vmcnt(13)
	ds_write_b32 v94, v9
	s_waitcnt lgkmcnt(0)
	; wave barrier
	s_and_saveexec_b64 s[12:13], s[8:9]
	s_cbranch_execz .LBB19_350
; %bb.341:
	s_and_b64 vcc, exec, s[0:1]
	s_cbranch_vccnz .LBB19_343
; %bb.342:
	v_cmp_eq_u32_e32 vcc, 1, v0
	s_waitcnt vmcnt(3)
	v_cndmask_b32_e32 v22, v2, v3, vcc
	v_cmp_eq_u32_e32 vcc, 2, v0
	v_cndmask_b32_e32 v22, v22, v4, vcc
	v_cmp_eq_u32_e32 vcc, 3, v0
	v_cndmask_b32_e32 v22, v22, v5, vcc
	v_cmp_eq_u32_e32 vcc, 4, v0
	v_cndmask_b32_e32 v22, v22, v6, vcc
	v_cmp_eq_u32_e32 vcc, 5, v0
	v_cndmask_b32_e32 v22, v22, v7, vcc
	v_cmp_eq_u32_e32 vcc, 6, v0
	v_cndmask_b32_e32 v22, v22, v8, vcc
	v_cmp_eq_u32_e32 vcc, 7, v0
	v_cndmask_b32_e32 v22, v22, v9, vcc
	v_cmp_eq_u32_e32 vcc, 8, v0
	v_cndmask_b32_e32 v22, v22, v10, vcc
	v_cmp_eq_u32_e32 vcc, 9, v0
	v_cndmask_b32_e32 v22, v22, v11, vcc
	v_cmp_eq_u32_e32 vcc, 10, v0
	v_cndmask_b32_e32 v22, v22, v12, vcc
	v_cmp_eq_u32_e32 vcc, 11, v0
	v_cndmask_b32_e32 v22, v22, v13, vcc
	v_cmp_eq_u32_e32 vcc, 12, v0
	v_cndmask_b32_e32 v22, v22, v14, vcc
	v_cmp_eq_u32_e32 vcc, 13, v0
	v_cndmask_b32_e32 v22, v22, v15, vcc
	v_cmp_eq_u32_e32 vcc, 14, v0
	v_cndmask_b32_e32 v22, v22, v16, vcc
	v_cmp_eq_u32_e32 vcc, 15, v0
	v_cndmask_b32_e32 v22, v22, v17, vcc
	v_cmp_eq_u32_e32 vcc, 16, v0
	ds_read_b32 v23, v94
	v_cndmask_b32_e32 v22, v22, v18, vcc
	v_cmp_eq_u32_e32 vcc, 17, v0
	s_waitcnt vmcnt(2)
	v_cndmask_b32_e32 v22, v22, v19, vcc
	v_cmp_eq_u32_e32 vcc, 18, v0
	s_waitcnt vmcnt(1)
	;; [unrolled: 3-line block ×3, first 2 shown]
	v_cndmask_b32_e32 v22, v22, v21, vcc
	s_waitcnt lgkmcnt(0)
	v_mul_f32_e32 v25, v22, v23
	s_cbranch_execz .LBB19_344
	s_branch .LBB19_345
.LBB19_343:
                                        ; implicit-def: $vgpr25
.LBB19_344:
	ds_read_b32 v25, v94
.LBB19_345:
	v_cmp_ne_u32_e32 vcc, 6, v0
	s_and_saveexec_b64 s[14:15], vcc
	s_cbranch_execz .LBB19_349
; %bb.346:
	v_mov_b32_e32 v22, 0x54
	v_lshl_add_u32 v26, v0, 2, v22
	v_mov_b32_e32 v23, v1
	s_mov_b64 s[16:17], 0
	v_mov_b32_e32 v22, v0
.LBB19_347:                             ; =>This Inner Loop Header: Depth=1
	v_add_co_u32_e32 v22, vcc, 1, v22
	v_addc_co_u32_e32 v23, vcc, 0, v23, vcc
	v_cmp_eq_u32_e32 vcc, 1, v22
	s_waitcnt vmcnt(3)
	v_cndmask_b32_e32 v28, v2, v3, vcc
	v_cmp_lt_u32_e32 vcc, 5, v22
	v_cmp_eq_u32_e64 s[10:11], 2, v22
	v_cndmask_b32_e64 v28, v28, v4, s[10:11]
	s_or_b64 s[16:17], vcc, s[16:17]
	v_cmp_eq_u32_e32 vcc, 3, v22
	v_cndmask_b32_e32 v28, v28, v5, vcc
	v_cmp_eq_u32_e32 vcc, 4, v22
	v_cndmask_b32_e32 v28, v28, v6, vcc
	;; [unrolled: 2-line block ×12, first 2 shown]
	v_cmp_eq_u32_e32 vcc, 15, v22
	ds_read_b32 v27, v26
	v_cndmask_b32_e32 v28, v28, v17, vcc
	v_cmp_eq_u32_e32 vcc, 16, v22
	v_cndmask_b32_e32 v28, v28, v18, vcc
	v_cmp_eq_u32_e32 vcc, 17, v22
	s_waitcnt vmcnt(2)
	v_cndmask_b32_e32 v28, v28, v19, vcc
	v_cmp_eq_u32_e32 vcc, 18, v22
	s_waitcnt vmcnt(1)
	;; [unrolled: 3-line block ×3, first 2 shown]
	v_cndmask_b32_e32 v28, v28, v21, vcc
	v_add_u32_e32 v26, 4, v26
	s_waitcnt lgkmcnt(0)
	v_fmac_f32_e32 v25, v28, v27
	s_andn2_b64 exec, exec, s[16:17]
	s_cbranch_execnz .LBB19_347
; %bb.348:
	s_or_b64 exec, exec, s[16:17]
.LBB19_349:
	s_or_b64 exec, exec, s[14:15]
	v_mov_b32_e32 v9, 0
	ds_read_b32 v9, v9 offset:28
	s_waitcnt lgkmcnt(0)
	v_mul_f32_e32 v9, v25, v9
.LBB19_350:
	s_or_b64 exec, exec, s[12:13]
	v_cmp_gt_u32_e32 vcc, 8, v0
	s_waitcnt vmcnt(12)
	ds_write_b32 v94, v10
	s_waitcnt lgkmcnt(0)
	; wave barrier
	s_and_saveexec_b64 s[12:13], vcc
	s_cbranch_execz .LBB19_360
; %bb.351:
	s_and_b64 vcc, exec, s[0:1]
	s_cbranch_vccnz .LBB19_353
; %bb.352:
	v_cmp_eq_u32_e32 vcc, 1, v0
	s_waitcnt vmcnt(3)
	v_cndmask_b32_e32 v22, v2, v3, vcc
	v_cmp_eq_u32_e32 vcc, 2, v0
	v_cndmask_b32_e32 v22, v22, v4, vcc
	v_cmp_eq_u32_e32 vcc, 3, v0
	;; [unrolled: 2-line block ×15, first 2 shown]
	ds_read_b32 v23, v94
	v_cndmask_b32_e32 v22, v22, v18, vcc
	v_cmp_eq_u32_e32 vcc, 17, v0
	s_waitcnt vmcnt(2)
	v_cndmask_b32_e32 v22, v22, v19, vcc
	v_cmp_eq_u32_e32 vcc, 18, v0
	s_waitcnt vmcnt(1)
	;; [unrolled: 3-line block ×3, first 2 shown]
	v_cndmask_b32_e32 v22, v22, v21, vcc
	s_waitcnt lgkmcnt(0)
	v_mul_f32_e32 v25, v22, v23
	s_cbranch_execz .LBB19_354
	s_branch .LBB19_355
.LBB19_353:
                                        ; implicit-def: $vgpr25
.LBB19_354:
	ds_read_b32 v25, v94
.LBB19_355:
	v_cmp_ne_u32_e32 vcc, 7, v0
	s_and_saveexec_b64 s[14:15], vcc
	s_cbranch_execz .LBB19_359
; %bb.356:
	v_mov_b32_e32 v22, 0x54
	v_lshl_add_u32 v26, v0, 2, v22
	v_mov_b32_e32 v23, v1
	s_mov_b64 s[16:17], 0
	v_mov_b32_e32 v22, v0
.LBB19_357:                             ; =>This Inner Loop Header: Depth=1
	v_add_co_u32_e32 v22, vcc, 1, v22
	v_addc_co_u32_e32 v23, vcc, 0, v23, vcc
	v_cmp_eq_u32_e32 vcc, 1, v22
	s_waitcnt vmcnt(3)
	v_cndmask_b32_e32 v28, v2, v3, vcc
	v_cmp_lt_u32_e32 vcc, 6, v22
	v_cmp_eq_u32_e64 s[10:11], 2, v22
	v_cndmask_b32_e64 v28, v28, v4, s[10:11]
	s_or_b64 s[16:17], vcc, s[16:17]
	v_cmp_eq_u32_e32 vcc, 3, v22
	v_cndmask_b32_e32 v28, v28, v5, vcc
	v_cmp_eq_u32_e32 vcc, 4, v22
	v_cndmask_b32_e32 v28, v28, v6, vcc
	;; [unrolled: 2-line block ×12, first 2 shown]
	v_cmp_eq_u32_e32 vcc, 15, v22
	ds_read_b32 v27, v26
	v_cndmask_b32_e32 v28, v28, v17, vcc
	v_cmp_eq_u32_e32 vcc, 16, v22
	v_cndmask_b32_e32 v28, v28, v18, vcc
	v_cmp_eq_u32_e32 vcc, 17, v22
	s_waitcnt vmcnt(2)
	v_cndmask_b32_e32 v28, v28, v19, vcc
	v_cmp_eq_u32_e32 vcc, 18, v22
	s_waitcnt vmcnt(1)
	;; [unrolled: 3-line block ×3, first 2 shown]
	v_cndmask_b32_e32 v28, v28, v21, vcc
	v_add_u32_e32 v26, 4, v26
	s_waitcnt lgkmcnt(0)
	v_fmac_f32_e32 v25, v28, v27
	s_andn2_b64 exec, exec, s[16:17]
	s_cbranch_execnz .LBB19_357
; %bb.358:
	s_or_b64 exec, exec, s[16:17]
.LBB19_359:
	s_or_b64 exec, exec, s[14:15]
	v_mov_b32_e32 v10, 0
	ds_read_b32 v10, v10 offset:32
	s_waitcnt lgkmcnt(0)
	v_mul_f32_e32 v10, v25, v10
.LBB19_360:
	s_or_b64 exec, exec, s[12:13]
	v_cmp_gt_u32_e32 vcc, 9, v0
	s_waitcnt vmcnt(11)
	ds_write_b32 v94, v11
	s_waitcnt lgkmcnt(0)
	; wave barrier
	s_and_saveexec_b64 s[10:11], vcc
	s_cbranch_execz .LBB19_382
; %bb.361:
	s_and_b64 vcc, exec, s[0:1]
	s_cbranch_vccnz .LBB19_363
; %bb.362:
	v_cmp_eq_u32_e32 vcc, 1, v0
	s_waitcnt vmcnt(3)
	v_cndmask_b32_e32 v22, v2, v3, vcc
	v_cmp_eq_u32_e32 vcc, 2, v0
	v_cndmask_b32_e32 v22, v22, v4, vcc
	v_cmp_eq_u32_e32 vcc, 3, v0
	;; [unrolled: 2-line block ×15, first 2 shown]
	ds_read_b32 v23, v94
	v_cndmask_b32_e32 v22, v22, v18, vcc
	v_cmp_eq_u32_e32 vcc, 17, v0
	s_waitcnt vmcnt(2)
	v_cndmask_b32_e32 v22, v22, v19, vcc
	v_cmp_eq_u32_e32 vcc, 18, v0
	s_waitcnt vmcnt(1)
	;; [unrolled: 3-line block ×3, first 2 shown]
	v_cndmask_b32_e32 v22, v22, v21, vcc
	s_waitcnt lgkmcnt(0)
	v_mul_f32_e32 v22, v22, v23
	s_cbranch_execz .LBB19_364
	s_branch .LBB19_365
.LBB19_363:
                                        ; implicit-def: $vgpr22
.LBB19_364:
	ds_read_b32 v22, v94
.LBB19_365:
	v_cmp_ne_u32_e32 vcc, 8, v0
	s_and_saveexec_b64 s[12:13], vcc
	s_cbranch_execz .LBB19_381
; %bb.366:
	v_cmp_eq_u32_e32 vcc, 1, v24
	s_waitcnt vmcnt(3)
	v_cndmask_b32_e32 v23, v2, v3, vcc
	v_cmp_eq_u32_e32 vcc, 2, v24
	v_cndmask_b32_e32 v23, v23, v4, vcc
	v_cmp_eq_u32_e32 vcc, 3, v24
	;; [unrolled: 2-line block ×15, first 2 shown]
	ds_read_b32 v25, v94 offset:4
	v_cndmask_b32_e32 v23, v23, v18, vcc
	v_cmp_eq_u32_e32 vcc, 17, v24
	s_waitcnt vmcnt(2)
	v_cndmask_b32_e32 v23, v23, v19, vcc
	v_cmp_eq_u32_e32 vcc, 18, v24
	s_waitcnt vmcnt(1)
	;; [unrolled: 3-line block ×3, first 2 shown]
	v_cndmask_b32_e32 v23, v23, v21, vcc
	s_waitcnt lgkmcnt(0)
	v_fmac_f32_e32 v22, v23, v25
	s_and_saveexec_b64 s[14:15], s[8:9]
	s_cbranch_execz .LBB19_380
; %bb.367:
	v_add_u32_e32 v23, 2, v0
	v_cmp_eq_u32_e32 vcc, 1, v23
	v_cndmask_b32_e32 v24, v2, v3, vcc
	v_cmp_eq_u32_e32 vcc, 2, v23
	v_cndmask_b32_e32 v24, v24, v4, vcc
	;; [unrolled: 2-line block ×15, first 2 shown]
	v_cmp_eq_u32_e32 vcc, 16, v23
	ds_read_b32 v25, v94 offset:8
	v_cndmask_b32_e32 v24, v24, v18, vcc
	v_cmp_eq_u32_e32 vcc, 17, v23
	v_cndmask_b32_e32 v24, v24, v19, vcc
	v_cmp_eq_u32_e32 vcc, 18, v23
	;; [unrolled: 2-line block ×3, first 2 shown]
	v_cndmask_b32_e32 v23, v24, v21, vcc
	s_waitcnt lgkmcnt(0)
	v_fmac_f32_e32 v22, v23, v25
	v_cmp_ne_u32_e32 vcc, 6, v0
	s_and_saveexec_b64 s[8:9], vcc
	s_cbranch_execz .LBB19_379
; %bb.368:
	v_add_u32_e32 v23, 3, v0
	v_cmp_eq_u32_e32 vcc, 1, v23
	v_cndmask_b32_e32 v24, v2, v3, vcc
	v_cmp_eq_u32_e32 vcc, 2, v23
	v_cndmask_b32_e32 v24, v24, v4, vcc
	v_cmp_eq_u32_e32 vcc, 3, v23
	v_cndmask_b32_e32 v24, v24, v5, vcc
	v_cmp_eq_u32_e32 vcc, 4, v23
	v_cndmask_b32_e32 v24, v24, v6, vcc
	v_cmp_eq_u32_e32 vcc, 5, v23
	v_cndmask_b32_e32 v24, v24, v7, vcc
	v_cmp_eq_u32_e32 vcc, 6, v23
	v_cndmask_b32_e32 v24, v24, v8, vcc
	v_cmp_eq_u32_e32 vcc, 7, v23
	v_cndmask_b32_e32 v24, v24, v9, vcc
	v_cmp_eq_u32_e32 vcc, 8, v23
	v_cndmask_b32_e32 v24, v24, v10, vcc
	v_cmp_eq_u32_e32 vcc, 9, v23
	v_cndmask_b32_e32 v24, v24, v11, vcc
	v_cmp_eq_u32_e32 vcc, 10, v23
	v_cndmask_b32_e32 v24, v24, v12, vcc
	v_cmp_eq_u32_e32 vcc, 11, v23
	v_cndmask_b32_e32 v24, v24, v13, vcc
	v_cmp_eq_u32_e32 vcc, 12, v23
	v_cndmask_b32_e32 v24, v24, v14, vcc
	v_cmp_eq_u32_e32 vcc, 13, v23
	v_cndmask_b32_e32 v24, v24, v15, vcc
	v_cmp_eq_u32_e32 vcc, 14, v23
	v_cndmask_b32_e32 v24, v24, v16, vcc
	v_cmp_eq_u32_e32 vcc, 15, v23
	v_cndmask_b32_e32 v24, v24, v17, vcc
	v_cmp_eq_u32_e32 vcc, 16, v23
	ds_read_b32 v25, v94 offset:12
	v_cndmask_b32_e32 v24, v24, v18, vcc
	v_cmp_eq_u32_e32 vcc, 17, v23
	v_cndmask_b32_e32 v24, v24, v19, vcc
	v_cmp_eq_u32_e32 vcc, 18, v23
	;; [unrolled: 2-line block ×3, first 2 shown]
	v_cndmask_b32_e32 v23, v24, v21, vcc
	s_waitcnt lgkmcnt(0)
	v_fmac_f32_e32 v22, v23, v25
	s_and_saveexec_b64 s[16:17], s[6:7]
	s_cbranch_execz .LBB19_378
; %bb.369:
	v_add_u32_e32 v23, 4, v0
	v_cmp_eq_u32_e32 vcc, 1, v23
	v_cndmask_b32_e32 v24, v2, v3, vcc
	v_cmp_eq_u32_e32 vcc, 2, v23
	v_cndmask_b32_e32 v24, v24, v4, vcc
	v_cmp_eq_u32_e32 vcc, 3, v23
	v_cndmask_b32_e32 v24, v24, v5, vcc
	v_cmp_eq_u32_e32 vcc, 4, v23
	v_cndmask_b32_e32 v24, v24, v6, vcc
	v_cmp_eq_u32_e32 vcc, 5, v23
	v_cndmask_b32_e32 v24, v24, v7, vcc
	v_cmp_eq_u32_e32 vcc, 6, v23
	v_cndmask_b32_e32 v24, v24, v8, vcc
	v_cmp_eq_u32_e32 vcc, 7, v23
	v_cndmask_b32_e32 v24, v24, v9, vcc
	v_cmp_eq_u32_e32 vcc, 8, v23
	v_cndmask_b32_e32 v24, v24, v10, vcc
	v_cmp_eq_u32_e32 vcc, 9, v23
	v_cndmask_b32_e32 v24, v24, v11, vcc
	v_cmp_eq_u32_e32 vcc, 10, v23
	v_cndmask_b32_e32 v24, v24, v12, vcc
	v_cmp_eq_u32_e32 vcc, 11, v23
	v_cndmask_b32_e32 v24, v24, v13, vcc
	v_cmp_eq_u32_e32 vcc, 12, v23
	v_cndmask_b32_e32 v24, v24, v14, vcc
	v_cmp_eq_u32_e32 vcc, 13, v23
	v_cndmask_b32_e32 v24, v24, v15, vcc
	v_cmp_eq_u32_e32 vcc, 14, v23
	v_cndmask_b32_e32 v24, v24, v16, vcc
	v_cmp_eq_u32_e32 vcc, 15, v23
	v_cndmask_b32_e32 v24, v24, v17, vcc
	v_cmp_eq_u32_e32 vcc, 16, v23
	ds_read_b32 v25, v94 offset:16
	v_cndmask_b32_e32 v24, v24, v18, vcc
	v_cmp_eq_u32_e32 vcc, 17, v23
	v_cndmask_b32_e32 v24, v24, v19, vcc
	v_cmp_eq_u32_e32 vcc, 18, v23
	;; [unrolled: 2-line block ×3, first 2 shown]
	v_cndmask_b32_e32 v23, v24, v21, vcc
	s_waitcnt lgkmcnt(0)
	v_fmac_f32_e32 v22, v23, v25
	v_cmp_ne_u32_e32 vcc, 4, v0
	s_and_saveexec_b64 s[6:7], vcc
	s_cbranch_execz .LBB19_377
; %bb.370:
	v_add_u32_e32 v23, 5, v0
	v_cmp_eq_u32_e32 vcc, 1, v23
	v_cndmask_b32_e32 v24, v2, v3, vcc
	v_cmp_eq_u32_e32 vcc, 2, v23
	v_cndmask_b32_e32 v24, v24, v4, vcc
	;; [unrolled: 2-line block ×15, first 2 shown]
	v_cmp_eq_u32_e32 vcc, 16, v23
	ds_read_b32 v25, v94 offset:20
	v_cndmask_b32_e32 v24, v24, v18, vcc
	v_cmp_eq_u32_e32 vcc, 17, v23
	v_cndmask_b32_e32 v24, v24, v19, vcc
	v_cmp_eq_u32_e32 vcc, 18, v23
	;; [unrolled: 2-line block ×3, first 2 shown]
	v_cndmask_b32_e32 v23, v24, v21, vcc
	s_waitcnt lgkmcnt(0)
	v_fmac_f32_e32 v22, v23, v25
	s_and_saveexec_b64 s[18:19], s[4:5]
	s_cbranch_execz .LBB19_376
; %bb.371:
	v_add_u32_e32 v23, 6, v0
	v_cmp_eq_u32_e32 vcc, 1, v23
	v_cndmask_b32_e32 v24, v2, v3, vcc
	v_cmp_eq_u32_e32 vcc, 2, v23
	v_cndmask_b32_e32 v24, v24, v4, vcc
	;; [unrolled: 2-line block ×15, first 2 shown]
	v_cmp_eq_u32_e32 vcc, 16, v23
	ds_read_b32 v25, v94 offset:24
	v_cndmask_b32_e32 v24, v24, v18, vcc
	v_cmp_eq_u32_e32 vcc, 17, v23
	v_cndmask_b32_e32 v24, v24, v19, vcc
	v_cmp_eq_u32_e32 vcc, 18, v23
	;; [unrolled: 2-line block ×3, first 2 shown]
	v_cndmask_b32_e32 v23, v24, v21, vcc
	s_waitcnt lgkmcnt(0)
	v_fmac_f32_e32 v22, v23, v25
	v_cmp_ne_u32_e32 vcc, 2, v0
	s_and_saveexec_b64 s[4:5], vcc
	s_cbranch_execz .LBB19_375
; %bb.372:
	v_add_u32_e32 v23, 7, v0
	v_cmp_eq_u32_e32 vcc, 1, v23
	v_cndmask_b32_e32 v24, v2, v3, vcc
	v_cmp_eq_u32_e32 vcc, 2, v23
	v_cndmask_b32_e32 v24, v24, v4, vcc
	;; [unrolled: 2-line block ×15, first 2 shown]
	v_cmp_eq_u32_e32 vcc, 16, v23
	ds_read_b32 v24, v94 offset:28
	v_cndmask_b32_e32 v11, v11, v18, vcc
	v_cmp_eq_u32_e32 vcc, 17, v23
	v_cndmask_b32_e32 v11, v11, v19, vcc
	v_cmp_eq_u32_e32 vcc, 18, v23
	v_cndmask_b32_e32 v11, v11, v20, vcc
	v_cmp_eq_u32_e32 vcc, 19, v23
	v_cndmask_b32_e32 v11, v11, v21, vcc
	s_waitcnt lgkmcnt(0)
	v_fmac_f32_e32 v22, v11, v24
	s_and_saveexec_b64 s[20:21], s[2:3]
	s_cbranch_execz .LBB19_374
; %bb.373:
	ds_read_b32 v11, v94 offset:32
	s_waitcnt lgkmcnt(0)
	v_fmac_f32_e32 v22, v10, v11
.LBB19_374:
	s_or_b64 exec, exec, s[20:21]
.LBB19_375:
	s_or_b64 exec, exec, s[4:5]
.LBB19_376:
	s_or_b64 exec, exec, s[18:19]
.LBB19_377:
	s_or_b64 exec, exec, s[6:7]
.LBB19_378:
	s_or_b64 exec, exec, s[16:17]
.LBB19_379:
	s_or_b64 exec, exec, s[8:9]
.LBB19_380:
	s_or_b64 exec, exec, s[14:15]
.LBB19_381:
	s_or_b64 exec, exec, s[12:13]
	v_mov_b32_e32 v11, 0
	ds_read_b32 v11, v11 offset:36
	s_waitcnt lgkmcnt(0)
	v_mul_f32_e32 v11, v22, v11
.LBB19_382:
	s_or_b64 exec, exec, s[10:11]
	v_cmp_gt_u32_e32 vcc, 10, v0
	s_waitcnt vmcnt(10)
	ds_write_b32 v94, v12
	s_waitcnt lgkmcnt(0)
	; wave barrier
	s_and_saveexec_b64 s[4:5], vcc
	s_cbranch_execz .LBB19_392
; %bb.383:
	s_and_b64 vcc, exec, s[0:1]
	s_cbranch_vccnz .LBB19_385
; %bb.384:
	v_cmp_eq_u32_e32 vcc, 1, v0
	s_waitcnt vmcnt(3)
	v_cndmask_b32_e32 v22, v2, v3, vcc
	v_cmp_eq_u32_e32 vcc, 2, v0
	v_cndmask_b32_e32 v22, v22, v4, vcc
	v_cmp_eq_u32_e32 vcc, 3, v0
	;; [unrolled: 2-line block ×15, first 2 shown]
	ds_read_b32 v23, v94
	v_cndmask_b32_e32 v22, v22, v18, vcc
	v_cmp_eq_u32_e32 vcc, 17, v0
	s_waitcnt vmcnt(2)
	v_cndmask_b32_e32 v22, v22, v19, vcc
	v_cmp_eq_u32_e32 vcc, 18, v0
	s_waitcnt vmcnt(1)
	;; [unrolled: 3-line block ×3, first 2 shown]
	v_cndmask_b32_e32 v22, v22, v21, vcc
	s_waitcnt lgkmcnt(0)
	v_mul_f32_e32 v24, v22, v23
	s_cbranch_execz .LBB19_386
	s_branch .LBB19_387
.LBB19_385:
                                        ; implicit-def: $vgpr24
.LBB19_386:
	ds_read_b32 v24, v94
.LBB19_387:
	v_cmp_ne_u32_e32 vcc, 9, v0
	s_and_saveexec_b64 s[6:7], vcc
	s_cbranch_execz .LBB19_391
; %bb.388:
	v_mov_b32_e32 v22, 0x54
	v_lshl_add_u32 v25, v0, 2, v22
	v_mov_b32_e32 v23, v1
	s_mov_b64 s[8:9], 0
	v_mov_b32_e32 v22, v0
.LBB19_389:                             ; =>This Inner Loop Header: Depth=1
	v_add_co_u32_e32 v22, vcc, 1, v22
	v_addc_co_u32_e32 v23, vcc, 0, v23, vcc
	v_cmp_eq_u32_e32 vcc, 1, v22
	s_waitcnt vmcnt(3)
	v_cndmask_b32_e32 v27, v2, v3, vcc
	v_cmp_lt_u32_e32 vcc, 8, v22
	v_cmp_eq_u32_e64 s[2:3], 2, v22
	v_cndmask_b32_e64 v27, v27, v4, s[2:3]
	s_or_b64 s[8:9], vcc, s[8:9]
	v_cmp_eq_u32_e32 vcc, 3, v22
	v_cndmask_b32_e32 v27, v27, v5, vcc
	v_cmp_eq_u32_e32 vcc, 4, v22
	v_cndmask_b32_e32 v27, v27, v6, vcc
	;; [unrolled: 2-line block ×12, first 2 shown]
	v_cmp_eq_u32_e32 vcc, 15, v22
	ds_read_b32 v26, v25
	v_cndmask_b32_e32 v27, v27, v17, vcc
	v_cmp_eq_u32_e32 vcc, 16, v22
	v_cndmask_b32_e32 v27, v27, v18, vcc
	v_cmp_eq_u32_e32 vcc, 17, v22
	s_waitcnt vmcnt(2)
	v_cndmask_b32_e32 v27, v27, v19, vcc
	v_cmp_eq_u32_e32 vcc, 18, v22
	s_waitcnt vmcnt(1)
	;; [unrolled: 3-line block ×3, first 2 shown]
	v_cndmask_b32_e32 v27, v27, v21, vcc
	v_add_u32_e32 v25, 4, v25
	s_waitcnt lgkmcnt(0)
	v_fmac_f32_e32 v24, v27, v26
	s_andn2_b64 exec, exec, s[8:9]
	s_cbranch_execnz .LBB19_389
; %bb.390:
	s_or_b64 exec, exec, s[8:9]
.LBB19_391:
	s_or_b64 exec, exec, s[6:7]
	v_mov_b32_e32 v12, 0
	ds_read_b32 v12, v12 offset:40
	s_waitcnt lgkmcnt(0)
	v_mul_f32_e32 v12, v24, v12
.LBB19_392:
	s_or_b64 exec, exec, s[4:5]
	v_cmp_gt_u32_e32 vcc, 11, v0
	s_waitcnt vmcnt(9)
	ds_write_b32 v94, v13
	s_waitcnt lgkmcnt(0)
	; wave barrier
	s_and_saveexec_b64 s[4:5], vcc
	s_cbranch_execz .LBB19_402
; %bb.393:
	s_and_b64 vcc, exec, s[0:1]
	s_cbranch_vccnz .LBB19_395
; %bb.394:
	v_cmp_eq_u32_e32 vcc, 1, v0
	s_waitcnt vmcnt(3)
	v_cndmask_b32_e32 v22, v2, v3, vcc
	v_cmp_eq_u32_e32 vcc, 2, v0
	v_cndmask_b32_e32 v22, v22, v4, vcc
	v_cmp_eq_u32_e32 vcc, 3, v0
	;; [unrolled: 2-line block ×15, first 2 shown]
	ds_read_b32 v23, v94
	v_cndmask_b32_e32 v22, v22, v18, vcc
	v_cmp_eq_u32_e32 vcc, 17, v0
	s_waitcnt vmcnt(2)
	v_cndmask_b32_e32 v22, v22, v19, vcc
	v_cmp_eq_u32_e32 vcc, 18, v0
	s_waitcnt vmcnt(1)
	;; [unrolled: 3-line block ×3, first 2 shown]
	v_cndmask_b32_e32 v22, v22, v21, vcc
	s_waitcnt lgkmcnt(0)
	v_mul_f32_e32 v24, v22, v23
	s_cbranch_execz .LBB19_396
	s_branch .LBB19_397
.LBB19_395:
                                        ; implicit-def: $vgpr24
.LBB19_396:
	ds_read_b32 v24, v94
.LBB19_397:
	v_cmp_ne_u32_e32 vcc, 10, v0
	s_and_saveexec_b64 s[6:7], vcc
	s_cbranch_execz .LBB19_401
; %bb.398:
	v_mov_b32_e32 v22, 0x54
	v_lshl_add_u32 v25, v0, 2, v22
	v_mov_b32_e32 v23, v1
	s_mov_b64 s[8:9], 0
	v_mov_b32_e32 v22, v0
.LBB19_399:                             ; =>This Inner Loop Header: Depth=1
	v_add_co_u32_e32 v22, vcc, 1, v22
	v_addc_co_u32_e32 v23, vcc, 0, v23, vcc
	v_cmp_eq_u32_e32 vcc, 1, v22
	s_waitcnt vmcnt(3)
	v_cndmask_b32_e32 v27, v2, v3, vcc
	v_cmp_lt_u32_e32 vcc, 9, v22
	v_cmp_eq_u32_e64 s[2:3], 2, v22
	v_cndmask_b32_e64 v27, v27, v4, s[2:3]
	s_or_b64 s[8:9], vcc, s[8:9]
	v_cmp_eq_u32_e32 vcc, 3, v22
	v_cndmask_b32_e32 v27, v27, v5, vcc
	v_cmp_eq_u32_e32 vcc, 4, v22
	v_cndmask_b32_e32 v27, v27, v6, vcc
	;; [unrolled: 2-line block ×12, first 2 shown]
	v_cmp_eq_u32_e32 vcc, 15, v22
	ds_read_b32 v26, v25
	v_cndmask_b32_e32 v27, v27, v17, vcc
	v_cmp_eq_u32_e32 vcc, 16, v22
	v_cndmask_b32_e32 v27, v27, v18, vcc
	v_cmp_eq_u32_e32 vcc, 17, v22
	s_waitcnt vmcnt(2)
	v_cndmask_b32_e32 v27, v27, v19, vcc
	v_cmp_eq_u32_e32 vcc, 18, v22
	s_waitcnt vmcnt(1)
	;; [unrolled: 3-line block ×3, first 2 shown]
	v_cndmask_b32_e32 v27, v27, v21, vcc
	v_add_u32_e32 v25, 4, v25
	s_waitcnt lgkmcnt(0)
	v_fmac_f32_e32 v24, v27, v26
	s_andn2_b64 exec, exec, s[8:9]
	s_cbranch_execnz .LBB19_399
; %bb.400:
	s_or_b64 exec, exec, s[8:9]
.LBB19_401:
	s_or_b64 exec, exec, s[6:7]
	v_mov_b32_e32 v13, 0
	ds_read_b32 v13, v13 offset:44
	s_waitcnt lgkmcnt(0)
	v_mul_f32_e32 v13, v24, v13
.LBB19_402:
	s_or_b64 exec, exec, s[4:5]
	v_cmp_gt_u32_e32 vcc, 12, v0
	s_waitcnt vmcnt(8)
	ds_write_b32 v94, v14
	s_waitcnt lgkmcnt(0)
	; wave barrier
	s_and_saveexec_b64 s[4:5], vcc
	s_cbranch_execz .LBB19_412
; %bb.403:
	s_and_b64 vcc, exec, s[0:1]
	s_cbranch_vccnz .LBB19_405
; %bb.404:
	v_cmp_eq_u32_e32 vcc, 1, v0
	s_waitcnt vmcnt(3)
	v_cndmask_b32_e32 v22, v2, v3, vcc
	v_cmp_eq_u32_e32 vcc, 2, v0
	v_cndmask_b32_e32 v22, v22, v4, vcc
	v_cmp_eq_u32_e32 vcc, 3, v0
	;; [unrolled: 2-line block ×15, first 2 shown]
	ds_read_b32 v23, v94
	v_cndmask_b32_e32 v22, v22, v18, vcc
	v_cmp_eq_u32_e32 vcc, 17, v0
	s_waitcnt vmcnt(2)
	v_cndmask_b32_e32 v22, v22, v19, vcc
	v_cmp_eq_u32_e32 vcc, 18, v0
	s_waitcnt vmcnt(1)
	;; [unrolled: 3-line block ×3, first 2 shown]
	v_cndmask_b32_e32 v22, v22, v21, vcc
	s_waitcnt lgkmcnt(0)
	v_mul_f32_e32 v24, v22, v23
	s_cbranch_execz .LBB19_406
	s_branch .LBB19_407
.LBB19_405:
                                        ; implicit-def: $vgpr24
.LBB19_406:
	ds_read_b32 v24, v94
.LBB19_407:
	v_cmp_ne_u32_e32 vcc, 11, v0
	s_and_saveexec_b64 s[6:7], vcc
	s_cbranch_execz .LBB19_411
; %bb.408:
	v_mov_b32_e32 v22, 0x54
	v_lshl_add_u32 v25, v0, 2, v22
	v_mov_b32_e32 v23, v1
	s_mov_b64 s[8:9], 0
	v_mov_b32_e32 v22, v0
.LBB19_409:                             ; =>This Inner Loop Header: Depth=1
	v_add_co_u32_e32 v22, vcc, 1, v22
	v_addc_co_u32_e32 v23, vcc, 0, v23, vcc
	v_cmp_eq_u32_e32 vcc, 1, v22
	s_waitcnt vmcnt(3)
	v_cndmask_b32_e32 v27, v2, v3, vcc
	v_cmp_lt_u32_e32 vcc, 10, v22
	v_cmp_eq_u32_e64 s[2:3], 2, v22
	v_cndmask_b32_e64 v27, v27, v4, s[2:3]
	s_or_b64 s[8:9], vcc, s[8:9]
	v_cmp_eq_u32_e32 vcc, 3, v22
	v_cndmask_b32_e32 v27, v27, v5, vcc
	v_cmp_eq_u32_e32 vcc, 4, v22
	v_cndmask_b32_e32 v27, v27, v6, vcc
	;; [unrolled: 2-line block ×12, first 2 shown]
	v_cmp_eq_u32_e32 vcc, 15, v22
	ds_read_b32 v26, v25
	v_cndmask_b32_e32 v27, v27, v17, vcc
	v_cmp_eq_u32_e32 vcc, 16, v22
	v_cndmask_b32_e32 v27, v27, v18, vcc
	v_cmp_eq_u32_e32 vcc, 17, v22
	s_waitcnt vmcnt(2)
	v_cndmask_b32_e32 v27, v27, v19, vcc
	v_cmp_eq_u32_e32 vcc, 18, v22
	s_waitcnt vmcnt(1)
	;; [unrolled: 3-line block ×3, first 2 shown]
	v_cndmask_b32_e32 v27, v27, v21, vcc
	v_add_u32_e32 v25, 4, v25
	s_waitcnt lgkmcnt(0)
	v_fmac_f32_e32 v24, v27, v26
	s_andn2_b64 exec, exec, s[8:9]
	s_cbranch_execnz .LBB19_409
; %bb.410:
	s_or_b64 exec, exec, s[8:9]
.LBB19_411:
	s_or_b64 exec, exec, s[6:7]
	v_mov_b32_e32 v14, 0
	ds_read_b32 v14, v14 offset:48
	s_waitcnt lgkmcnt(0)
	v_mul_f32_e32 v14, v24, v14
.LBB19_412:
	s_or_b64 exec, exec, s[4:5]
	v_cmp_gt_u32_e32 vcc, 13, v0
	s_waitcnt vmcnt(7)
	ds_write_b32 v94, v15
	s_waitcnt lgkmcnt(0)
	; wave barrier
	s_and_saveexec_b64 s[4:5], vcc
	s_cbranch_execz .LBB19_422
; %bb.413:
	s_and_b64 vcc, exec, s[0:1]
	s_cbranch_vccnz .LBB19_415
; %bb.414:
	v_cmp_eq_u32_e32 vcc, 1, v0
	s_waitcnt vmcnt(3)
	v_cndmask_b32_e32 v22, v2, v3, vcc
	v_cmp_eq_u32_e32 vcc, 2, v0
	v_cndmask_b32_e32 v22, v22, v4, vcc
	v_cmp_eq_u32_e32 vcc, 3, v0
	;; [unrolled: 2-line block ×15, first 2 shown]
	ds_read_b32 v23, v94
	v_cndmask_b32_e32 v22, v22, v18, vcc
	v_cmp_eq_u32_e32 vcc, 17, v0
	s_waitcnt vmcnt(2)
	v_cndmask_b32_e32 v22, v22, v19, vcc
	v_cmp_eq_u32_e32 vcc, 18, v0
	s_waitcnt vmcnt(1)
	;; [unrolled: 3-line block ×3, first 2 shown]
	v_cndmask_b32_e32 v22, v22, v21, vcc
	s_waitcnt lgkmcnt(0)
	v_mul_f32_e32 v24, v22, v23
	s_cbranch_execz .LBB19_416
	s_branch .LBB19_417
.LBB19_415:
                                        ; implicit-def: $vgpr24
.LBB19_416:
	ds_read_b32 v24, v94
.LBB19_417:
	v_cmp_ne_u32_e32 vcc, 12, v0
	s_and_saveexec_b64 s[6:7], vcc
	s_cbranch_execz .LBB19_421
; %bb.418:
	v_mov_b32_e32 v22, 0x54
	v_lshl_add_u32 v25, v0, 2, v22
	v_mov_b32_e32 v23, v1
	s_mov_b64 s[8:9], 0
	v_mov_b32_e32 v22, v0
.LBB19_419:                             ; =>This Inner Loop Header: Depth=1
	v_add_co_u32_e32 v22, vcc, 1, v22
	v_addc_co_u32_e32 v23, vcc, 0, v23, vcc
	v_cmp_eq_u32_e32 vcc, 1, v22
	s_waitcnt vmcnt(3)
	v_cndmask_b32_e32 v27, v2, v3, vcc
	v_cmp_lt_u32_e32 vcc, 11, v22
	v_cmp_eq_u32_e64 s[2:3], 2, v22
	v_cndmask_b32_e64 v27, v27, v4, s[2:3]
	s_or_b64 s[8:9], vcc, s[8:9]
	v_cmp_eq_u32_e32 vcc, 3, v22
	v_cndmask_b32_e32 v27, v27, v5, vcc
	v_cmp_eq_u32_e32 vcc, 4, v22
	v_cndmask_b32_e32 v27, v27, v6, vcc
	;; [unrolled: 2-line block ×12, first 2 shown]
	v_cmp_eq_u32_e32 vcc, 15, v22
	ds_read_b32 v26, v25
	v_cndmask_b32_e32 v27, v27, v17, vcc
	v_cmp_eq_u32_e32 vcc, 16, v22
	v_cndmask_b32_e32 v27, v27, v18, vcc
	v_cmp_eq_u32_e32 vcc, 17, v22
	s_waitcnt vmcnt(2)
	v_cndmask_b32_e32 v27, v27, v19, vcc
	v_cmp_eq_u32_e32 vcc, 18, v22
	s_waitcnt vmcnt(1)
	;; [unrolled: 3-line block ×3, first 2 shown]
	v_cndmask_b32_e32 v27, v27, v21, vcc
	v_add_u32_e32 v25, 4, v25
	s_waitcnt lgkmcnt(0)
	v_fmac_f32_e32 v24, v27, v26
	s_andn2_b64 exec, exec, s[8:9]
	s_cbranch_execnz .LBB19_419
; %bb.420:
	s_or_b64 exec, exec, s[8:9]
.LBB19_421:
	s_or_b64 exec, exec, s[6:7]
	v_mov_b32_e32 v15, 0
	ds_read_b32 v15, v15 offset:52
	s_waitcnt lgkmcnt(0)
	v_mul_f32_e32 v15, v24, v15
.LBB19_422:
	s_or_b64 exec, exec, s[4:5]
	v_cmp_gt_u32_e32 vcc, 14, v0
	s_waitcnt vmcnt(6)
	ds_write_b32 v94, v16
	s_waitcnt lgkmcnt(0)
	; wave barrier
	s_and_saveexec_b64 s[4:5], vcc
	s_cbranch_execz .LBB19_432
; %bb.423:
	s_and_b64 vcc, exec, s[0:1]
	s_cbranch_vccnz .LBB19_425
; %bb.424:
	v_cmp_eq_u32_e32 vcc, 1, v0
	s_waitcnt vmcnt(3)
	v_cndmask_b32_e32 v22, v2, v3, vcc
	v_cmp_eq_u32_e32 vcc, 2, v0
	v_cndmask_b32_e32 v22, v22, v4, vcc
	v_cmp_eq_u32_e32 vcc, 3, v0
	;; [unrolled: 2-line block ×15, first 2 shown]
	ds_read_b32 v23, v94
	v_cndmask_b32_e32 v22, v22, v18, vcc
	v_cmp_eq_u32_e32 vcc, 17, v0
	s_waitcnt vmcnt(2)
	v_cndmask_b32_e32 v22, v22, v19, vcc
	v_cmp_eq_u32_e32 vcc, 18, v0
	s_waitcnt vmcnt(1)
	;; [unrolled: 3-line block ×3, first 2 shown]
	v_cndmask_b32_e32 v22, v22, v21, vcc
	s_waitcnt lgkmcnt(0)
	v_mul_f32_e32 v24, v22, v23
	s_cbranch_execz .LBB19_426
	s_branch .LBB19_427
.LBB19_425:
                                        ; implicit-def: $vgpr24
.LBB19_426:
	ds_read_b32 v24, v94
.LBB19_427:
	v_cmp_ne_u32_e32 vcc, 13, v0
	s_and_saveexec_b64 s[6:7], vcc
	s_cbranch_execz .LBB19_431
; %bb.428:
	v_mov_b32_e32 v22, 0x54
	v_lshl_add_u32 v25, v0, 2, v22
	v_mov_b32_e32 v23, v1
	s_mov_b64 s[8:9], 0
	v_mov_b32_e32 v22, v0
.LBB19_429:                             ; =>This Inner Loop Header: Depth=1
	v_add_co_u32_e32 v22, vcc, 1, v22
	v_addc_co_u32_e32 v23, vcc, 0, v23, vcc
	v_cmp_eq_u32_e32 vcc, 1, v22
	s_waitcnt vmcnt(3)
	v_cndmask_b32_e32 v27, v2, v3, vcc
	v_cmp_lt_u32_e32 vcc, 12, v22
	v_cmp_eq_u32_e64 s[2:3], 2, v22
	v_cndmask_b32_e64 v27, v27, v4, s[2:3]
	s_or_b64 s[8:9], vcc, s[8:9]
	v_cmp_eq_u32_e32 vcc, 3, v22
	v_cndmask_b32_e32 v27, v27, v5, vcc
	v_cmp_eq_u32_e32 vcc, 4, v22
	v_cndmask_b32_e32 v27, v27, v6, vcc
	;; [unrolled: 2-line block ×12, first 2 shown]
	v_cmp_eq_u32_e32 vcc, 15, v22
	ds_read_b32 v26, v25
	v_cndmask_b32_e32 v27, v27, v17, vcc
	v_cmp_eq_u32_e32 vcc, 16, v22
	v_cndmask_b32_e32 v27, v27, v18, vcc
	v_cmp_eq_u32_e32 vcc, 17, v22
	s_waitcnt vmcnt(2)
	v_cndmask_b32_e32 v27, v27, v19, vcc
	v_cmp_eq_u32_e32 vcc, 18, v22
	s_waitcnt vmcnt(1)
	;; [unrolled: 3-line block ×3, first 2 shown]
	v_cndmask_b32_e32 v27, v27, v21, vcc
	v_add_u32_e32 v25, 4, v25
	s_waitcnt lgkmcnt(0)
	v_fmac_f32_e32 v24, v27, v26
	s_andn2_b64 exec, exec, s[8:9]
	s_cbranch_execnz .LBB19_429
; %bb.430:
	s_or_b64 exec, exec, s[8:9]
.LBB19_431:
	s_or_b64 exec, exec, s[6:7]
	v_mov_b32_e32 v16, 0
	ds_read_b32 v16, v16 offset:56
	s_waitcnt lgkmcnt(0)
	v_mul_f32_e32 v16, v24, v16
.LBB19_432:
	s_or_b64 exec, exec, s[4:5]
	v_cmp_gt_u32_e32 vcc, 15, v0
	s_waitcnt vmcnt(5)
	ds_write_b32 v94, v17
	s_waitcnt lgkmcnt(0)
	; wave barrier
	s_and_saveexec_b64 s[4:5], vcc
	s_cbranch_execz .LBB19_442
; %bb.433:
	s_and_b64 vcc, exec, s[0:1]
	s_cbranch_vccnz .LBB19_435
; %bb.434:
	v_cmp_eq_u32_e32 vcc, 1, v0
	s_waitcnt vmcnt(3)
	v_cndmask_b32_e32 v22, v2, v3, vcc
	v_cmp_eq_u32_e32 vcc, 2, v0
	v_cndmask_b32_e32 v22, v22, v4, vcc
	v_cmp_eq_u32_e32 vcc, 3, v0
	;; [unrolled: 2-line block ×15, first 2 shown]
	ds_read_b32 v23, v94
	v_cndmask_b32_e32 v22, v22, v18, vcc
	v_cmp_eq_u32_e32 vcc, 17, v0
	s_waitcnt vmcnt(2)
	v_cndmask_b32_e32 v22, v22, v19, vcc
	v_cmp_eq_u32_e32 vcc, 18, v0
	s_waitcnt vmcnt(1)
	;; [unrolled: 3-line block ×3, first 2 shown]
	v_cndmask_b32_e32 v22, v22, v21, vcc
	s_waitcnt lgkmcnt(0)
	v_mul_f32_e32 v24, v22, v23
	s_cbranch_execz .LBB19_436
	s_branch .LBB19_437
.LBB19_435:
                                        ; implicit-def: $vgpr24
.LBB19_436:
	ds_read_b32 v24, v94
.LBB19_437:
	v_cmp_ne_u32_e32 vcc, 14, v0
	s_and_saveexec_b64 s[6:7], vcc
	s_cbranch_execz .LBB19_441
; %bb.438:
	v_mov_b32_e32 v22, 0x54
	v_lshl_add_u32 v25, v0, 2, v22
	v_mov_b32_e32 v23, v1
	s_mov_b64 s[8:9], 0
	v_mov_b32_e32 v22, v0
.LBB19_439:                             ; =>This Inner Loop Header: Depth=1
	v_add_co_u32_e32 v22, vcc, 1, v22
	v_addc_co_u32_e32 v23, vcc, 0, v23, vcc
	v_cmp_eq_u32_e32 vcc, 1, v22
	s_waitcnt vmcnt(3)
	v_cndmask_b32_e32 v27, v2, v3, vcc
	v_cmp_lt_u32_e32 vcc, 13, v22
	v_cmp_eq_u32_e64 s[2:3], 2, v22
	v_cndmask_b32_e64 v27, v27, v4, s[2:3]
	s_or_b64 s[8:9], vcc, s[8:9]
	v_cmp_eq_u32_e32 vcc, 3, v22
	v_cndmask_b32_e32 v27, v27, v5, vcc
	v_cmp_eq_u32_e32 vcc, 4, v22
	v_cndmask_b32_e32 v27, v27, v6, vcc
	;; [unrolled: 2-line block ×12, first 2 shown]
	v_cmp_eq_u32_e32 vcc, 15, v22
	ds_read_b32 v26, v25
	v_cndmask_b32_e32 v27, v27, v17, vcc
	v_cmp_eq_u32_e32 vcc, 16, v22
	v_cndmask_b32_e32 v27, v27, v18, vcc
	v_cmp_eq_u32_e32 vcc, 17, v22
	s_waitcnt vmcnt(2)
	v_cndmask_b32_e32 v27, v27, v19, vcc
	v_cmp_eq_u32_e32 vcc, 18, v22
	s_waitcnt vmcnt(1)
	;; [unrolled: 3-line block ×3, first 2 shown]
	v_cndmask_b32_e32 v27, v27, v21, vcc
	v_add_u32_e32 v25, 4, v25
	s_waitcnt lgkmcnt(0)
	v_fmac_f32_e32 v24, v27, v26
	s_andn2_b64 exec, exec, s[8:9]
	s_cbranch_execnz .LBB19_439
; %bb.440:
	s_or_b64 exec, exec, s[8:9]
.LBB19_441:
	s_or_b64 exec, exec, s[6:7]
	v_mov_b32_e32 v17, 0
	ds_read_b32 v17, v17 offset:60
	s_waitcnt lgkmcnt(0)
	v_mul_f32_e32 v17, v24, v17
.LBB19_442:
	s_or_b64 exec, exec, s[4:5]
	v_cmp_gt_u32_e32 vcc, 16, v0
	s_waitcnt vmcnt(4)
	ds_write_b32 v94, v18
	s_waitcnt lgkmcnt(0)
	; wave barrier
	s_and_saveexec_b64 s[4:5], vcc
	s_cbranch_execz .LBB19_452
; %bb.443:
	s_and_b64 vcc, exec, s[0:1]
	s_cbranch_vccnz .LBB19_445
; %bb.444:
	v_cmp_eq_u32_e32 vcc, 1, v0
	s_waitcnt vmcnt(3)
	v_cndmask_b32_e32 v22, v2, v3, vcc
	v_cmp_eq_u32_e32 vcc, 2, v0
	v_cndmask_b32_e32 v22, v22, v4, vcc
	v_cmp_eq_u32_e32 vcc, 3, v0
	;; [unrolled: 2-line block ×15, first 2 shown]
	ds_read_b32 v23, v94
	v_cndmask_b32_e32 v22, v22, v18, vcc
	v_cmp_eq_u32_e32 vcc, 17, v0
	s_waitcnt vmcnt(2)
	v_cndmask_b32_e32 v22, v22, v19, vcc
	v_cmp_eq_u32_e32 vcc, 18, v0
	s_waitcnt vmcnt(1)
	;; [unrolled: 3-line block ×3, first 2 shown]
	v_cndmask_b32_e32 v22, v22, v21, vcc
	s_waitcnt lgkmcnt(0)
	v_mul_f32_e32 v24, v22, v23
	s_cbranch_execz .LBB19_446
	s_branch .LBB19_447
.LBB19_445:
                                        ; implicit-def: $vgpr24
.LBB19_446:
	ds_read_b32 v24, v94
.LBB19_447:
	v_cmp_ne_u32_e32 vcc, 15, v0
	s_and_saveexec_b64 s[6:7], vcc
	s_cbranch_execz .LBB19_451
; %bb.448:
	v_mov_b32_e32 v22, 0x54
	v_lshl_add_u32 v25, v0, 2, v22
	v_mov_b32_e32 v23, v1
	s_mov_b64 s[8:9], 0
	v_mov_b32_e32 v22, v0
.LBB19_449:                             ; =>This Inner Loop Header: Depth=1
	v_add_co_u32_e32 v22, vcc, 1, v22
	v_addc_co_u32_e32 v23, vcc, 0, v23, vcc
	v_cmp_eq_u32_e32 vcc, 1, v22
	s_waitcnt vmcnt(3)
	v_cndmask_b32_e32 v27, v2, v3, vcc
	v_cmp_lt_u32_e32 vcc, 14, v22
	v_cmp_eq_u32_e64 s[2:3], 2, v22
	v_cndmask_b32_e64 v27, v27, v4, s[2:3]
	s_or_b64 s[8:9], vcc, s[8:9]
	v_cmp_eq_u32_e32 vcc, 3, v22
	v_cndmask_b32_e32 v27, v27, v5, vcc
	v_cmp_eq_u32_e32 vcc, 4, v22
	v_cndmask_b32_e32 v27, v27, v6, vcc
	;; [unrolled: 2-line block ×12, first 2 shown]
	v_cmp_eq_u32_e32 vcc, 15, v22
	ds_read_b32 v26, v25
	v_cndmask_b32_e32 v27, v27, v17, vcc
	v_cmp_eq_u32_e32 vcc, 16, v22
	v_cndmask_b32_e32 v27, v27, v18, vcc
	v_cmp_eq_u32_e32 vcc, 17, v22
	s_waitcnt vmcnt(2)
	v_cndmask_b32_e32 v27, v27, v19, vcc
	v_cmp_eq_u32_e32 vcc, 18, v22
	s_waitcnt vmcnt(1)
	;; [unrolled: 3-line block ×3, first 2 shown]
	v_cndmask_b32_e32 v27, v27, v21, vcc
	v_add_u32_e32 v25, 4, v25
	s_waitcnt lgkmcnt(0)
	v_fmac_f32_e32 v24, v27, v26
	s_andn2_b64 exec, exec, s[8:9]
	s_cbranch_execnz .LBB19_449
; %bb.450:
	s_or_b64 exec, exec, s[8:9]
.LBB19_451:
	s_or_b64 exec, exec, s[6:7]
	v_mov_b32_e32 v18, 0
	ds_read_b32 v18, v18 offset:64
	s_waitcnt lgkmcnt(0)
	v_mul_f32_e32 v18, v24, v18
.LBB19_452:
	s_or_b64 exec, exec, s[4:5]
	v_cmp_gt_u32_e32 vcc, 17, v0
	s_waitcnt vmcnt(2)
	ds_write_b32 v94, v19
	s_waitcnt lgkmcnt(0)
	; wave barrier
	s_and_saveexec_b64 s[4:5], vcc
	s_cbranch_execz .LBB19_462
; %bb.453:
	s_and_b64 vcc, exec, s[0:1]
	s_cbranch_vccnz .LBB19_455
; %bb.454:
	v_cmp_eq_u32_e32 vcc, 1, v0
	v_cndmask_b32_e32 v22, v2, v3, vcc
	v_cmp_eq_u32_e32 vcc, 2, v0
	v_cndmask_b32_e32 v22, v22, v4, vcc
	;; [unrolled: 2-line block ×15, first 2 shown]
	v_cmp_eq_u32_e32 vcc, 16, v0
	ds_read_b32 v23, v94
	v_cndmask_b32_e32 v22, v22, v18, vcc
	v_cmp_eq_u32_e32 vcc, 17, v0
	v_cndmask_b32_e32 v22, v22, v19, vcc
	v_cmp_eq_u32_e32 vcc, 18, v0
	s_waitcnt vmcnt(1)
	v_cndmask_b32_e32 v22, v22, v20, vcc
	v_cmp_eq_u32_e32 vcc, 19, v0
	s_waitcnt vmcnt(0)
	v_cndmask_b32_e32 v22, v22, v21, vcc
	s_waitcnt lgkmcnt(0)
	v_mul_f32_e32 v24, v22, v23
	s_cbranch_execz .LBB19_456
	s_branch .LBB19_457
.LBB19_455:
                                        ; implicit-def: $vgpr24
.LBB19_456:
	ds_read_b32 v24, v94
.LBB19_457:
	v_cmp_ne_u32_e32 vcc, 16, v0
	s_and_saveexec_b64 s[6:7], vcc
	s_cbranch_execz .LBB19_461
; %bb.458:
	v_mov_b32_e32 v22, 0x54
	v_lshl_add_u32 v25, v0, 2, v22
	v_mov_b32_e32 v23, v1
	s_mov_b64 s[8:9], 0
	v_mov_b32_e32 v22, v0
.LBB19_459:                             ; =>This Inner Loop Header: Depth=1
	v_add_co_u32_e32 v22, vcc, 1, v22
	v_addc_co_u32_e32 v23, vcc, 0, v23, vcc
	v_cmp_eq_u32_e32 vcc, 1, v22
	v_cndmask_b32_e32 v27, v2, v3, vcc
	v_cmp_lt_u32_e32 vcc, 15, v22
	v_cmp_eq_u32_e64 s[2:3], 2, v22
	v_cndmask_b32_e64 v27, v27, v4, s[2:3]
	s_or_b64 s[8:9], vcc, s[8:9]
	v_cmp_eq_u32_e32 vcc, 3, v22
	v_cndmask_b32_e32 v27, v27, v5, vcc
	v_cmp_eq_u32_e32 vcc, 4, v22
	v_cndmask_b32_e32 v27, v27, v6, vcc
	;; [unrolled: 2-line block ×12, first 2 shown]
	v_cmp_eq_u32_e32 vcc, 15, v22
	ds_read_b32 v26, v25
	v_cndmask_b32_e32 v27, v27, v17, vcc
	v_cmp_eq_u32_e32 vcc, 16, v22
	v_cndmask_b32_e32 v27, v27, v18, vcc
	v_cmp_eq_u32_e32 vcc, 17, v22
	v_cndmask_b32_e32 v27, v27, v19, vcc
	v_cmp_eq_u32_e32 vcc, 18, v22
	s_waitcnt vmcnt(1)
	v_cndmask_b32_e32 v27, v27, v20, vcc
	v_cmp_eq_u32_e32 vcc, 19, v22
	s_waitcnt vmcnt(0)
	v_cndmask_b32_e32 v27, v27, v21, vcc
	v_add_u32_e32 v25, 4, v25
	s_waitcnt lgkmcnt(0)
	v_fmac_f32_e32 v24, v27, v26
	s_andn2_b64 exec, exec, s[8:9]
	s_cbranch_execnz .LBB19_459
; %bb.460:
	s_or_b64 exec, exec, s[8:9]
.LBB19_461:
	s_or_b64 exec, exec, s[6:7]
	v_mov_b32_e32 v19, 0
	ds_read_b32 v19, v19 offset:68
	s_waitcnt lgkmcnt(0)
	v_mul_f32_e32 v19, v24, v19
.LBB19_462:
	s_or_b64 exec, exec, s[4:5]
	v_cmp_gt_u32_e64 s[2:3], 18, v0
	s_waitcnt vmcnt(1)
	ds_write_b32 v94, v20
	s_waitcnt lgkmcnt(0)
	; wave barrier
	s_and_saveexec_b64 s[6:7], s[2:3]
	s_cbranch_execz .LBB19_472
; %bb.463:
	s_and_b64 vcc, exec, s[0:1]
	s_cbranch_vccnz .LBB19_465
; %bb.464:
	v_cmp_eq_u32_e32 vcc, 1, v0
	v_cndmask_b32_e32 v22, v2, v3, vcc
	v_cmp_eq_u32_e32 vcc, 2, v0
	v_cndmask_b32_e32 v22, v22, v4, vcc
	;; [unrolled: 2-line block ×15, first 2 shown]
	v_cmp_eq_u32_e32 vcc, 16, v0
	ds_read_b32 v23, v94
	v_cndmask_b32_e32 v22, v22, v18, vcc
	v_cmp_eq_u32_e32 vcc, 17, v0
	v_cndmask_b32_e32 v22, v22, v19, vcc
	v_cmp_eq_u32_e32 vcc, 18, v0
	;; [unrolled: 2-line block ×3, first 2 shown]
	s_waitcnt vmcnt(0)
	v_cndmask_b32_e32 v22, v22, v21, vcc
	s_waitcnt lgkmcnt(0)
	v_mul_f32_e32 v24, v22, v23
	s_cbranch_execz .LBB19_466
	s_branch .LBB19_467
.LBB19_465:
                                        ; implicit-def: $vgpr24
.LBB19_466:
	ds_read_b32 v24, v94
.LBB19_467:
	v_cmp_ne_u32_e32 vcc, 17, v0
	s_and_saveexec_b64 s[8:9], vcc
	s_cbranch_execz .LBB19_471
; %bb.468:
	v_mov_b32_e32 v22, 0x54
	v_lshl_add_u32 v25, v0, 2, v22
	v_mov_b32_e32 v23, v1
	s_mov_b64 s[10:11], 0
	v_mov_b32_e32 v22, v0
.LBB19_469:                             ; =>This Inner Loop Header: Depth=1
	v_add_co_u32_e32 v22, vcc, 1, v22
	v_addc_co_u32_e32 v23, vcc, 0, v23, vcc
	v_cmp_eq_u32_e32 vcc, 1, v22
	v_cndmask_b32_e32 v27, v2, v3, vcc
	v_cmp_lt_u32_e32 vcc, 16, v22
	v_cmp_eq_u32_e64 s[4:5], 2, v22
	v_cndmask_b32_e64 v27, v27, v4, s[4:5]
	s_or_b64 s[10:11], vcc, s[10:11]
	v_cmp_eq_u32_e32 vcc, 3, v22
	v_cndmask_b32_e32 v27, v27, v5, vcc
	v_cmp_eq_u32_e32 vcc, 4, v22
	v_cndmask_b32_e32 v27, v27, v6, vcc
	;; [unrolled: 2-line block ×12, first 2 shown]
	v_cmp_eq_u32_e32 vcc, 15, v22
	ds_read_b32 v26, v25
	v_cndmask_b32_e32 v27, v27, v17, vcc
	v_cmp_eq_u32_e32 vcc, 16, v22
	v_cndmask_b32_e32 v27, v27, v18, vcc
	v_cmp_eq_u32_e32 vcc, 17, v22
	;; [unrolled: 2-line block ×4, first 2 shown]
	s_waitcnt vmcnt(0)
	v_cndmask_b32_e32 v27, v27, v21, vcc
	v_add_u32_e32 v25, 4, v25
	s_waitcnt lgkmcnt(0)
	v_fmac_f32_e32 v24, v27, v26
	s_andn2_b64 exec, exec, s[10:11]
	s_cbranch_execnz .LBB19_469
; %bb.470:
	s_or_b64 exec, exec, s[10:11]
.LBB19_471:
	s_or_b64 exec, exec, s[8:9]
	v_mov_b32_e32 v20, 0
	ds_read_b32 v20, v20 offset:72
	s_waitcnt lgkmcnt(0)
	v_mul_f32_e32 v20, v24, v20
.LBB19_472:
	s_or_b64 exec, exec, s[6:7]
	v_cmp_ne_u32_e32 vcc, 19, v0
	s_waitcnt vmcnt(0)
	ds_write_b32 v94, v21
	s_waitcnt lgkmcnt(0)
	; wave barrier
	s_and_saveexec_b64 s[4:5], vcc
	s_cbranch_execz .LBB19_482
; %bb.473:
	s_and_b64 vcc, exec, s[0:1]
	s_cbranch_vccnz .LBB19_475
; %bb.474:
	v_cmp_eq_u32_e32 vcc, 1, v0
	v_cndmask_b32_e32 v22, v2, v3, vcc
	v_cmp_eq_u32_e32 vcc, 2, v0
	v_cndmask_b32_e32 v22, v22, v4, vcc
	;; [unrolled: 2-line block ×15, first 2 shown]
	v_cmp_eq_u32_e32 vcc, 16, v0
	ds_read_b32 v23, v94
	v_cndmask_b32_e32 v22, v22, v18, vcc
	v_cmp_eq_u32_e32 vcc, 17, v0
	v_cndmask_b32_e32 v22, v22, v19, vcc
	v_cmp_eq_u32_e32 vcc, 18, v0
	;; [unrolled: 2-line block ×3, first 2 shown]
	v_cndmask_b32_e32 v22, v22, v21, vcc
	s_waitcnt lgkmcnt(0)
	v_mul_f32_e32 v22, v22, v23
	s_cbranch_execz .LBB19_476
	s_branch .LBB19_477
.LBB19_475:
                                        ; implicit-def: $vgpr22
.LBB19_476:
	ds_read_b32 v22, v94
.LBB19_477:
	s_and_saveexec_b64 s[6:7], s[2:3]
	s_cbranch_execz .LBB19_481
; %bb.478:
	v_mov_b32_e32 v23, 0x54
	v_lshl_add_u32 v23, v0, 2, v23
	s_mov_b64 s[2:3], 0
.LBB19_479:                             ; =>This Inner Loop Header: Depth=1
	v_add_co_u32_e32 v0, vcc, 1, v0
	v_addc_co_u32_e32 v1, vcc, 0, v1, vcc
	v_cmp_eq_u32_e32 vcc, 1, v0
	v_cndmask_b32_e32 v25, v2, v3, vcc
	v_cmp_lt_u32_e32 vcc, 17, v0
	v_cmp_eq_u32_e64 s[0:1], 2, v0
	v_cndmask_b32_e64 v25, v25, v4, s[0:1]
	s_or_b64 s[2:3], vcc, s[2:3]
	v_cmp_eq_u32_e32 vcc, 3, v0
	v_cndmask_b32_e32 v25, v25, v5, vcc
	v_cmp_eq_u32_e32 vcc, 4, v0
	v_cndmask_b32_e32 v25, v25, v6, vcc
	;; [unrolled: 2-line block ×12, first 2 shown]
	v_cmp_eq_u32_e32 vcc, 15, v0
	ds_read_b32 v24, v23
	v_cndmask_b32_e32 v25, v25, v17, vcc
	v_cmp_eq_u32_e32 vcc, 16, v0
	v_cndmask_b32_e32 v25, v25, v18, vcc
	v_cmp_eq_u32_e32 vcc, 17, v0
	;; [unrolled: 2-line block ×4, first 2 shown]
	v_cndmask_b32_e32 v25, v25, v21, vcc
	v_add_u32_e32 v23, 4, v23
	s_waitcnt lgkmcnt(0)
	v_fmac_f32_e32 v22, v25, v24
	s_andn2_b64 exec, exec, s[2:3]
	s_cbranch_execnz .LBB19_479
; %bb.480:
	s_or_b64 exec, exec, s[2:3]
.LBB19_481:
	s_or_b64 exec, exec, s[6:7]
	v_mov_b32_e32 v0, 0
	ds_read_b32 v0, v0 offset:76
	s_waitcnt lgkmcnt(0)
	v_mul_f32_e32 v21, v22, v0
.LBB19_482:
	s_or_b64 exec, exec, s[4:5]
	v_mov_b32_e32 v53, v33
	v_mov_b32_e32 v52, v32
	;; [unrolled: 1-line block ×32, first 2 shown]
.LBB19_483:
	global_store_dword v[90:91], v22, off
	global_store_dword v[92:93], v23, off
	;; [unrolled: 1-line block ×20, first 2 shown]
.LBB19_484:
	s_endpgm
	.section	.rodata,"a",@progbits
	.p2align	6, 0x0
	.amdhsa_kernel _ZN9rocsolver6v33100L18trti2_kernel_smallILi20EfPfEEv13rocblas_fill_17rocblas_diagonal_T1_iil
		.amdhsa_group_segment_fixed_size 160
		.amdhsa_private_segment_fixed_size 0
		.amdhsa_kernarg_size 32
		.amdhsa_user_sgpr_count 6
		.amdhsa_user_sgpr_private_segment_buffer 1
		.amdhsa_user_sgpr_dispatch_ptr 0
		.amdhsa_user_sgpr_queue_ptr 0
		.amdhsa_user_sgpr_kernarg_segment_ptr 1
		.amdhsa_user_sgpr_dispatch_id 0
		.amdhsa_user_sgpr_flat_scratch_init 0
		.amdhsa_user_sgpr_private_segment_size 0
		.amdhsa_uses_dynamic_stack 0
		.amdhsa_system_sgpr_private_segment_wavefront_offset 0
		.amdhsa_system_sgpr_workgroup_id_x 1
		.amdhsa_system_sgpr_workgroup_id_y 0
		.amdhsa_system_sgpr_workgroup_id_z 0
		.amdhsa_system_sgpr_workgroup_info 0
		.amdhsa_system_vgpr_workitem_id 0
		.amdhsa_next_free_vgpr 112
		.amdhsa_next_free_sgpr 52
		.amdhsa_reserve_vcc 1
		.amdhsa_reserve_flat_scratch 0
		.amdhsa_float_round_mode_32 0
		.amdhsa_float_round_mode_16_64 0
		.amdhsa_float_denorm_mode_32 3
		.amdhsa_float_denorm_mode_16_64 3
		.amdhsa_dx10_clamp 1
		.amdhsa_ieee_mode 1
		.amdhsa_fp16_overflow 0
		.amdhsa_exception_fp_ieee_invalid_op 0
		.amdhsa_exception_fp_denorm_src 0
		.amdhsa_exception_fp_ieee_div_zero 0
		.amdhsa_exception_fp_ieee_overflow 0
		.amdhsa_exception_fp_ieee_underflow 0
		.amdhsa_exception_fp_ieee_inexact 0
		.amdhsa_exception_int_div_zero 0
	.end_amdhsa_kernel
	.section	.text._ZN9rocsolver6v33100L18trti2_kernel_smallILi20EfPfEEv13rocblas_fill_17rocblas_diagonal_T1_iil,"axG",@progbits,_ZN9rocsolver6v33100L18trti2_kernel_smallILi20EfPfEEv13rocblas_fill_17rocblas_diagonal_T1_iil,comdat
.Lfunc_end19:
	.size	_ZN9rocsolver6v33100L18trti2_kernel_smallILi20EfPfEEv13rocblas_fill_17rocblas_diagonal_T1_iil, .Lfunc_end19-_ZN9rocsolver6v33100L18trti2_kernel_smallILi20EfPfEEv13rocblas_fill_17rocblas_diagonal_T1_iil
                                        ; -- End function
	.set _ZN9rocsolver6v33100L18trti2_kernel_smallILi20EfPfEEv13rocblas_fill_17rocblas_diagonal_T1_iil.num_vgpr, 112
	.set _ZN9rocsolver6v33100L18trti2_kernel_smallILi20EfPfEEv13rocblas_fill_17rocblas_diagonal_T1_iil.num_agpr, 0
	.set _ZN9rocsolver6v33100L18trti2_kernel_smallILi20EfPfEEv13rocblas_fill_17rocblas_diagonal_T1_iil.numbered_sgpr, 52
	.set _ZN9rocsolver6v33100L18trti2_kernel_smallILi20EfPfEEv13rocblas_fill_17rocblas_diagonal_T1_iil.num_named_barrier, 0
	.set _ZN9rocsolver6v33100L18trti2_kernel_smallILi20EfPfEEv13rocblas_fill_17rocblas_diagonal_T1_iil.private_seg_size, 0
	.set _ZN9rocsolver6v33100L18trti2_kernel_smallILi20EfPfEEv13rocblas_fill_17rocblas_diagonal_T1_iil.uses_vcc, 1
	.set _ZN9rocsolver6v33100L18trti2_kernel_smallILi20EfPfEEv13rocblas_fill_17rocblas_diagonal_T1_iil.uses_flat_scratch, 0
	.set _ZN9rocsolver6v33100L18trti2_kernel_smallILi20EfPfEEv13rocblas_fill_17rocblas_diagonal_T1_iil.has_dyn_sized_stack, 0
	.set _ZN9rocsolver6v33100L18trti2_kernel_smallILi20EfPfEEv13rocblas_fill_17rocblas_diagonal_T1_iil.has_recursion, 0
	.set _ZN9rocsolver6v33100L18trti2_kernel_smallILi20EfPfEEv13rocblas_fill_17rocblas_diagonal_T1_iil.has_indirect_call, 0
	.section	.AMDGPU.csdata,"",@progbits
; Kernel info:
; codeLenInByte = 26604
; TotalNumSgprs: 56
; NumVgprs: 112
; ScratchSize: 0
; MemoryBound: 0
; FloatMode: 240
; IeeeMode: 1
; LDSByteSize: 160 bytes/workgroup (compile time only)
; SGPRBlocks: 6
; VGPRBlocks: 27
; NumSGPRsForWavesPerEU: 56
; NumVGPRsForWavesPerEU: 112
; Occupancy: 2
; WaveLimiterHint : 0
; COMPUTE_PGM_RSRC2:SCRATCH_EN: 0
; COMPUTE_PGM_RSRC2:USER_SGPR: 6
; COMPUTE_PGM_RSRC2:TRAP_HANDLER: 0
; COMPUTE_PGM_RSRC2:TGID_X_EN: 1
; COMPUTE_PGM_RSRC2:TGID_Y_EN: 0
; COMPUTE_PGM_RSRC2:TGID_Z_EN: 0
; COMPUTE_PGM_RSRC2:TIDIG_COMP_CNT: 0
	.section	.text._ZN9rocsolver6v33100L18trti2_kernel_smallILi21EfPfEEv13rocblas_fill_17rocblas_diagonal_T1_iil,"axG",@progbits,_ZN9rocsolver6v33100L18trti2_kernel_smallILi21EfPfEEv13rocblas_fill_17rocblas_diagonal_T1_iil,comdat
	.globl	_ZN9rocsolver6v33100L18trti2_kernel_smallILi21EfPfEEv13rocblas_fill_17rocblas_diagonal_T1_iil ; -- Begin function _ZN9rocsolver6v33100L18trti2_kernel_smallILi21EfPfEEv13rocblas_fill_17rocblas_diagonal_T1_iil
	.p2align	8
	.type	_ZN9rocsolver6v33100L18trti2_kernel_smallILi21EfPfEEv13rocblas_fill_17rocblas_diagonal_T1_iil,@function
_ZN9rocsolver6v33100L18trti2_kernel_smallILi21EfPfEEv13rocblas_fill_17rocblas_diagonal_T1_iil: ; @_ZN9rocsolver6v33100L18trti2_kernel_smallILi21EfPfEEv13rocblas_fill_17rocblas_diagonal_T1_iil
; %bb.0:
	v_cmp_gt_u32_e32 vcc, 21, v0
	s_and_saveexec_b64 s[0:1], vcc
	s_cbranch_execz .LBB20_510
; %bb.1:
	s_load_dwordx8 s[44:51], s[4:5], 0x0
	s_ashr_i32 s2, s6, 31
	v_lshlrev_b32_e32 v23, 2, v0
	v_mov_b32_e32 v24, -1.0
	s_waitcnt lgkmcnt(0)
	s_mul_hi_u32 s3, s50, s6
	s_mul_i32 s2, s50, s2
	s_add_i32 s2, s3, s2
	s_mul_i32 s3, s51, s6
	s_add_i32 s3, s2, s3
	s_mul_i32 s2, s50, s6
	s_ashr_i32 s1, s48, 31
	s_lshl_b64 s[2:3], s[2:3], 2
	s_mov_b32 s0, s48
	s_add_u32 s2, s46, s2
	s_addc_u32 s3, s47, s3
	s_lshl_b64 s[0:1], s[0:1], 2
	s_add_u32 s0, s2, s0
	s_addc_u32 s1, s3, s1
	s_add_i32 s2, s49, s49
	v_add_u32_e32 v1, s2, v0
	v_ashrrev_i32_e32 v2, 31, v1
	v_lshlrev_b64 v[2:3], 2, v[1:2]
	v_add_u32_e32 v1, s49, v1
	v_mov_b32_e32 v4, s1
	v_add_co_u32_e32 v55, vcc, s0, v2
	v_ashrrev_i32_e32 v2, 31, v1
	v_addc_co_u32_e32 v56, vcc, v4, v3, vcc
	v_lshlrev_b64 v[2:3], 2, v[1:2]
	v_add_u32_e32 v1, s49, v1
	v_add_co_u32_e32 v57, vcc, s0, v2
	v_ashrrev_i32_e32 v2, 31, v1
	v_addc_co_u32_e32 v58, vcc, v4, v3, vcc
	v_lshlrev_b64 v[2:3], 2, v[1:2]
	v_add_u32_e32 v1, s49, v1
	;; [unrolled: 5-line block ×17, first 2 shown]
	v_add_co_u32_e32 v89, vcc, s0, v2
	v_ashrrev_i32_e32 v2, 31, v1
	v_lshlrev_b64 v[1:2], 2, v[1:2]
	v_addc_co_u32_e32 v90, vcc, v4, v3, vcc
	v_mov_b32_e32 v3, s1
	v_add_co_u32_e32 v91, vcc, s0, v1
	v_addc_co_u32_e32 v92, vcc, v3, v2, vcc
	v_mov_b32_e32 v1, s1
	v_add_co_u32_e32 v93, vcc, s0, v23
	s_ashr_i32 s3, s49, 31
	s_mov_b32 s2, s49
	v_addc_co_u32_e32 v94, vcc, 0, v1, vcc
	s_lshl_b64 s[2:3], s[2:3], 2
	v_mov_b32_e32 v1, s3
	v_add_co_u32_e32 v95, vcc, s2, v93
	v_addc_co_u32_e32 v96, vcc, v94, v1, vcc
	global_load_dword v3, v[95:96], off
	global_load_dword v4, v[55:56], off
	;; [unrolled: 1-line block ×16, first 2 shown]
	global_load_dword v2, v23, s[0:1]
	global_load_dword v19, v[85:86], off
	global_load_dword v20, v[87:88], off
	;; [unrolled: 1-line block ×4, first 2 shown]
	s_cmpk_lg_i32 s45, 0x84
	v_mov_b32_e32 v1, 0
	s_cselect_b64 s[46:47], -1, 0
	s_cmpk_eq_i32 s45, 0x84
	v_cmp_eq_u32_e64 s[0:1], 0, v0
	s_cbranch_scc1 .LBB20_3
; %bb.2:
	v_cmp_eq_u32_e64 s[2:3], 1, v0
	s_waitcnt vmcnt(4)
	v_cndmask_b32_e64 v24, v2, v3, s[2:3]
	v_cmp_eq_u32_e64 s[4:5], 2, v0
	v_cndmask_b32_e64 v24, v24, v4, s[4:5]
	v_cmp_eq_u32_e64 s[6:7], 3, v0
	;; [unrolled: 2-line block ×16, first 2 shown]
	s_waitcnt vmcnt(3)
	v_cndmask_b32_e64 v24, v24, v19, s[36:37]
	v_cmp_eq_u32_e64 s[38:39], 18, v0
	s_waitcnt vmcnt(2)
	v_cndmask_b32_e64 v24, v24, v20, s[38:39]
	v_cmp_eq_u32_e64 s[40:41], 19, v0
	;; [unrolled: 3-line block ×3, first 2 shown]
	s_waitcnt vmcnt(0)
	v_cndmask_b32_e64 v24, v24, v22, s[42:43]
	v_div_scale_f32 v25, s[48:49], v24, v24, 1.0
	v_div_scale_f32 v26, vcc, 1.0, v24, 1.0
	v_rcp_f32_e32 v27, v25
	v_fma_f32 v28, -v25, v27, 1.0
	v_fmac_f32_e32 v27, v28, v27
	v_mul_f32_e32 v28, v26, v27
	v_fma_f32 v29, -v25, v28, v26
	v_fmac_f32_e32 v28, v29, v27
	v_fma_f32 v25, -v25, v28, v26
	v_div_fmas_f32 v25, v25, v27, v28
	v_div_fixup_f32 v24, v25, v24, 1.0
	v_cndmask_b32_e64 v22, v22, v24, s[42:43]
	v_cndmask_b32_e64 v21, v21, v24, s[40:41]
	;; [unrolled: 1-line block ×21, first 2 shown]
	v_xor_b32_e32 v24, 0x80000000, v24
.LBB20_3:
	s_cmpk_eq_i32 s44, 0x79
	v_add_u32_e32 v97, 0x60, v23
	ds_write_b32 v23, v24
	s_cbranch_scc1 .LBB20_7
; %bb.4:
	s_waitcnt vmcnt(0)
	v_mov_b32_e32 v54, v33
	v_mov_b32_e32 v53, v32
	;; [unrolled: 1-line block ×32, first 2 shown]
	v_cmp_eq_u32_e64 s[2:3], 20, v0
	ds_write_b32 v97, v21
	s_waitcnt lgkmcnt(0)
	; wave barrier
	s_and_saveexec_b64 s[0:1], s[2:3]
	s_cbranch_execz .LBB20_11
; %bb.5:
	s_and_b64 vcc, exec, s[46:47]
	s_cbranch_vccz .LBB20_8
; %bb.6:
	v_cmp_eq_u32_e32 vcc, 1, v0
	v_cndmask_b32_e32 v23, v2, v3, vcc
	v_cmp_eq_u32_e32 vcc, 2, v0
	v_cndmask_b32_e32 v23, v23, v4, vcc
	;; [unrolled: 2-line block ×16, first 2 shown]
	v_cmp_eq_u32_e32 vcc, 17, v0
	ds_read_b32 v24, v97
	v_cndmask_b32_e32 v23, v23, v19, vcc
	v_cmp_eq_u32_e32 vcc, 18, v0
	v_cndmask_b32_e32 v23, v23, v20, vcc
	v_cmp_eq_u32_e32 vcc, 19, v0
	v_cndmask_b32_e32 v23, v23, v21, vcc
	v_cmp_eq_u32_e32 vcc, 20, v0
	v_cndmask_b32_e32 v23, v23, v22, vcc
	s_waitcnt lgkmcnt(0)
	v_mul_f32_e32 v27, v23, v24
	s_cbranch_execz .LBB20_9
	s_branch .LBB20_10
.LBB20_7:
                                        ; implicit-def: $vgpr23_vgpr24_vgpr25_vgpr26_vgpr27_vgpr28_vgpr29_vgpr30_vgpr31_vgpr32_vgpr33_vgpr34_vgpr35_vgpr36_vgpr37_vgpr38_vgpr39_vgpr40_vgpr41_vgpr42_vgpr43_vgpr44_vgpr45_vgpr46_vgpr47_vgpr48_vgpr49_vgpr50_vgpr51_vgpr52_vgpr53_vgpr54
	s_cbranch_execnz .LBB20_306
	s_branch .LBB20_509
.LBB20_8:
                                        ; implicit-def: $vgpr27
.LBB20_9:
	ds_read_b32 v27, v97
.LBB20_10:
	v_mov_b32_e32 v23, 0
	ds_read_b32 v28, v23 offset:76
	v_mov_b32_e32 v23, v2
	v_mov_b32_e32 v24, v3
	;; [unrolled: 1-line block ×4, first 2 shown]
	s_waitcnt lgkmcnt(0)
	v_mul_f32_e32 v42, v27, v28
	v_mov_b32_e32 v27, v6
	v_mov_b32_e32 v28, v7
	;; [unrolled: 1-line block ×16, first 2 shown]
.LBB20_11:
	s_or_b64 exec, exec, s[0:1]
	v_cmp_lt_u32_e64 s[0:1], 18, v0
	ds_write_b32 v97, v41
	s_waitcnt lgkmcnt(0)
	; wave barrier
	s_and_saveexec_b64 s[4:5], s[0:1]
	s_cbranch_execz .LBB20_17
; %bb.12:
	s_andn2_b64 vcc, exec, s[46:47]
	s_cbranch_vccnz .LBB20_14
; %bb.13:
	v_cmp_eq_u32_e32 vcc, 1, v0
	v_cndmask_b32_e32 v44, v23, v24, vcc
	v_cmp_eq_u32_e32 vcc, 2, v0
	v_cndmask_b32_e32 v44, v44, v25, vcc
	;; [unrolled: 2-line block ×18, first 2 shown]
	ds_read_b32 v44, v97
	v_cmp_eq_u32_e32 vcc, 19, v0
	v_cndmask_b32_e32 v41, v41, v42, vcc
	v_cmp_eq_u32_e32 vcc, 20, v0
	v_cndmask_b32_e32 v41, v41, v43, vcc
	s_waitcnt lgkmcnt(0)
	v_mul_f32_e32 v41, v41, v44
	s_cbranch_execz .LBB20_15
	s_branch .LBB20_16
.LBB20_14:
                                        ; implicit-def: $vgpr41
.LBB20_15:
	ds_read_b32 v41, v97
.LBB20_16:
	v_mov_b32_e32 v44, 0
	ds_read2_b32 v[44:45], v44 offset0:18 offset1:43
	s_waitcnt lgkmcnt(0)
	v_fma_f32 v45, v42, v45, v41
	v_cndmask_b32_e64 v41, v41, v45, s[2:3]
	v_mul_f32_e32 v41, v41, v44
.LBB20_17:
	s_or_b64 exec, exec, s[4:5]
	v_cmp_lt_u32_e64 s[2:3], 17, v0
	ds_write_b32 v97, v40
	s_waitcnt lgkmcnt(0)
	; wave barrier
	s_and_saveexec_b64 s[4:5], s[2:3]
	s_cbranch_execz .LBB20_33
; %bb.18:
	s_andn2_b64 vcc, exec, s[46:47]
	s_cbranch_vccnz .LBB20_20
; %bb.19:
	v_cmp_eq_u32_e32 vcc, 1, v0
	v_cndmask_b32_e32 v98, v23, v24, vcc
	v_cmp_eq_u32_e32 vcc, 2, v0
	v_cndmask_b32_e32 v98, v98, v25, vcc
	;; [unrolled: 2-line block ×16, first 2 shown]
	v_cmp_eq_u32_e32 vcc, 17, v0
	ds_read_b32 v99, v97
	v_cndmask_b32_e32 v98, v98, v40, vcc
	v_cmp_eq_u32_e32 vcc, 18, v0
	v_cndmask_b32_e32 v98, v98, v41, vcc
	v_cmp_eq_u32_e32 vcc, 19, v0
	;; [unrolled: 2-line block ×3, first 2 shown]
	v_cndmask_b32_e32 v98, v98, v43, vcc
	s_waitcnt lgkmcnt(0)
	v_mul_f32_e32 v98, v98, v99
	s_cbranch_execz .LBB20_21
	s_branch .LBB20_22
.LBB20_20:
                                        ; implicit-def: $vgpr98
.LBB20_21:
	ds_read_b32 v98, v97
.LBB20_22:
	s_and_saveexec_b64 s[6:7], s[0:1]
	s_cbranch_execz .LBB20_32
; %bb.23:
	v_subrev_u32_e32 v101, 19, v0
	v_mov_b32_e32 v99, 18
	v_subrev_u32_e32 v100, 18, v0
	v_cmp_lt_u32_e32 vcc, 6, v101
	s_and_saveexec_b64 s[0:1], vcc
	s_cbranch_execz .LBB20_27
; %bb.24:
	v_and_b32_e32 v99, -8, v100
	v_sub_u32_e32 v101, 0, v99
	s_mov_b64 s[8:9], 25
	s_movk_i32 s12, 0xa8
	s_mov_b64 s[10:11], 0
.LBB20_25:                              ; =>This Inner Loop Header: Depth=1
	s_add_i32 s13, s8, -7
	v_mov_b32_e32 v99, s12
	s_add_i32 s14, s8, -6
	s_set_gpr_idx_on s13, gpr_idx(SRC0)
	v_mov_b32_e32 v110, v23
	s_set_gpr_idx_off
	ds_read2_b64 v[102:105], v99 offset1:1
	s_add_i32 s15, s8, -5
	s_set_gpr_idx_on s14, gpr_idx(SRC0)
	v_mov_b32_e32 v111, v23
	s_set_gpr_idx_off
	s_add_i32 s16, s8, -4
	s_set_gpr_idx_on s15, gpr_idx(SRC0)
	v_mov_b32_e32 v112, v23
	s_set_gpr_idx_off
	;; [unrolled: 4-line block ×4, first 2 shown]
	ds_read2_b64 v[106:109], v99 offset0:2 offset1:3
	s_add_i32 s19, s8, -1
	s_waitcnt lgkmcnt(1)
	v_fmac_f32_e32 v98, v110, v102
	s_set_gpr_idx_on s18, gpr_idx(SRC0)
	v_mov_b32_e32 v102, v23
	s_set_gpr_idx_off
	v_fmac_f32_e32 v98, v111, v103
	s_set_gpr_idx_on s19, gpr_idx(SRC0)
	v_mov_b32_e32 v103, v23
	s_set_gpr_idx_off
	;; [unrolled: 4-line block ×3, first 2 shown]
	v_fmac_f32_e32 v98, v113, v105
	s_add_u32 s8, s8, 8
	s_waitcnt lgkmcnt(0)
	v_fmac_f32_e32 v98, v114, v106
	v_add_u32_e32 v99, s8, v101
	v_fmac_f32_e32 v98, v102, v107
	s_addc_u32 s9, s9, 0
	s_add_i32 s12, s12, 32
	s_add_i32 s13, s8, -7
	v_cmp_eq_u32_e32 vcc, 25, v99
	v_fmac_f32_e32 v98, v103, v108
	v_mov_b32_e32 v99, s13
	s_or_b64 s[10:11], vcc, s[10:11]
	v_fmac_f32_e32 v98, v104, v109
	s_andn2_b64 exec, exec, s[10:11]
	s_cbranch_execnz .LBB20_25
; %bb.26:
	s_or_b64 exec, exec, s[10:11]
.LBB20_27:
	s_or_b64 exec, exec, s[0:1]
	v_and_b32_e32 v44, 7, v100
	v_cmp_ne_u32_e32 vcc, 0, v44
	s_and_saveexec_b64 s[8:9], vcc
	s_cbranch_execz .LBB20_31
; %bb.28:
	v_mov_b32_e32 v45, 0x60
	v_lshl_add_u32 v45, v99, 2, v45
	v_mov_b32_e32 v46, 0
	s_mov_b64 s[10:11], 0
.LBB20_29:                              ; =>This Inner Loop Header: Depth=1
	v_cmp_eq_u32_e32 vcc, 1, v99
	v_cndmask_b32_e32 v47, v23, v24, vcc
	v_add_u32_e32 v44, -1, v44
	v_cmp_eq_u32_e32 vcc, 2, v99
	v_cndmask_b32_e32 v47, v47, v25, vcc
	v_cmp_eq_u32_e32 vcc, 0, v44
	v_cmp_eq_u32_e64 s[0:1], 3, v99
	v_cndmask_b32_e64 v47, v47, v26, s[0:1]
	s_or_b64 s[10:11], vcc, s[10:11]
	v_cmp_eq_u32_e32 vcc, 4, v99
	v_cndmask_b32_e32 v47, v47, v27, vcc
	v_cmp_eq_u32_e32 vcc, 5, v99
	v_cndmask_b32_e32 v47, v47, v28, vcc
	v_cmp_eq_u32_e32 vcc, 6, v99
	v_cndmask_b32_e32 v47, v47, v29, vcc
	v_cmp_eq_u32_e32 vcc, 7, v99
	v_cndmask_b32_e32 v47, v47, v30, vcc
	v_cmp_eq_u32_e32 vcc, 8, v99
	v_cndmask_b32_e32 v47, v47, v31, vcc
	v_cmp_eq_u32_e32 vcc, 9, v99
	v_cndmask_b32_e32 v47, v47, v32, vcc
	v_cmp_eq_u32_e32 vcc, 10, v99
	v_cndmask_b32_e32 v47, v47, v33, vcc
	v_cmp_eq_u32_e32 vcc, 11, v99
	v_cndmask_b32_e32 v47, v47, v34, vcc
	v_cmp_eq_u32_e32 vcc, 12, v99
	v_cndmask_b32_e32 v47, v47, v35, vcc
	v_cmp_eq_u32_e32 vcc, 13, v99
	v_cndmask_b32_e32 v47, v47, v36, vcc
	v_cmp_eq_u32_e32 vcc, 14, v99
	v_cndmask_b32_e32 v47, v47, v37, vcc
	v_cmp_eq_u32_e32 vcc, 15, v99
	v_cndmask_b32_e32 v47, v47, v38, vcc
	v_cmp_eq_u32_e32 vcc, 16, v99
	ds_read_b32 v48, v45
	v_cndmask_b32_e32 v47, v47, v39, vcc
	v_cmp_eq_u32_e32 vcc, 17, v99
	v_cndmask_b32_e32 v47, v47, v40, vcc
	v_cmp_eq_u32_e32 vcc, 18, v99
	;; [unrolled: 2-line block ×4, first 2 shown]
	v_add_co_u32_e64 v99, s[0:1], 1, v99
	v_cndmask_b32_e32 v47, v47, v43, vcc
	v_add_u32_e32 v45, 4, v45
	v_addc_co_u32_e64 v46, s[0:1], 0, v46, s[0:1]
	s_waitcnt lgkmcnt(0)
	v_fmac_f32_e32 v98, v47, v48
	s_andn2_b64 exec, exec, s[10:11]
	s_cbranch_execnz .LBB20_29
; %bb.30:
	s_or_b64 exec, exec, s[10:11]
.LBB20_31:
	s_or_b64 exec, exec, s[8:9]
.LBB20_32:
	s_or_b64 exec, exec, s[6:7]
	v_mov_b32_e32 v40, 0
	ds_read_b32 v40, v40 offset:68
	s_waitcnt lgkmcnt(0)
	v_mul_f32_e32 v40, v98, v40
.LBB20_33:
	s_or_b64 exec, exec, s[4:5]
	v_cmp_lt_u32_e64 s[0:1], 16, v0
	ds_write_b32 v97, v39
	s_waitcnt lgkmcnt(0)
	; wave barrier
	s_and_saveexec_b64 s[4:5], s[0:1]
	s_cbranch_execz .LBB20_49
; %bb.34:
	s_andn2_b64 vcc, exec, s[46:47]
	s_cbranch_vccnz .LBB20_36
; %bb.35:
	v_cmp_eq_u32_e32 vcc, 1, v0
	v_cndmask_b32_e32 v98, v23, v24, vcc
	v_cmp_eq_u32_e32 vcc, 2, v0
	v_cndmask_b32_e32 v98, v98, v25, vcc
	v_cmp_eq_u32_e32 vcc, 3, v0
	v_cndmask_b32_e32 v98, v98, v26, vcc
	v_cmp_eq_u32_e32 vcc, 4, v0
	v_cndmask_b32_e32 v98, v98, v27, vcc
	v_cmp_eq_u32_e32 vcc, 5, v0
	v_cndmask_b32_e32 v98, v98, v28, vcc
	v_cmp_eq_u32_e32 vcc, 6, v0
	v_cndmask_b32_e32 v98, v98, v29, vcc
	v_cmp_eq_u32_e32 vcc, 7, v0
	v_cndmask_b32_e32 v98, v98, v30, vcc
	v_cmp_eq_u32_e32 vcc, 8, v0
	v_cndmask_b32_e32 v98, v98, v31, vcc
	v_cmp_eq_u32_e32 vcc, 9, v0
	v_cndmask_b32_e32 v98, v98, v32, vcc
	v_cmp_eq_u32_e32 vcc, 10, v0
	v_cndmask_b32_e32 v98, v98, v33, vcc
	v_cmp_eq_u32_e32 vcc, 11, v0
	v_cndmask_b32_e32 v98, v98, v34, vcc
	v_cmp_eq_u32_e32 vcc, 12, v0
	v_cndmask_b32_e32 v98, v98, v35, vcc
	v_cmp_eq_u32_e32 vcc, 13, v0
	v_cndmask_b32_e32 v98, v98, v36, vcc
	v_cmp_eq_u32_e32 vcc, 14, v0
	v_cndmask_b32_e32 v98, v98, v37, vcc
	v_cmp_eq_u32_e32 vcc, 15, v0
	v_cndmask_b32_e32 v98, v98, v38, vcc
	v_cmp_eq_u32_e32 vcc, 16, v0
	v_cndmask_b32_e32 v98, v98, v39, vcc
	v_cmp_eq_u32_e32 vcc, 17, v0
	ds_read_b32 v99, v97
	v_cndmask_b32_e32 v98, v98, v40, vcc
	v_cmp_eq_u32_e32 vcc, 18, v0
	v_cndmask_b32_e32 v98, v98, v41, vcc
	v_cmp_eq_u32_e32 vcc, 19, v0
	;; [unrolled: 2-line block ×3, first 2 shown]
	v_cndmask_b32_e32 v98, v98, v43, vcc
	s_waitcnt lgkmcnt(0)
	v_mul_f32_e32 v98, v98, v99
	s_cbranch_execz .LBB20_37
	s_branch .LBB20_38
.LBB20_36:
                                        ; implicit-def: $vgpr98
.LBB20_37:
	ds_read_b32 v98, v97
.LBB20_38:
	s_and_saveexec_b64 s[6:7], s[2:3]
	s_cbranch_execz .LBB20_48
; %bb.39:
	v_subrev_u32_e32 v101, 18, v0
	v_mov_b32_e32 v99, 17
	v_subrev_u32_e32 v100, 17, v0
	v_cmp_lt_u32_e32 vcc, 6, v101
	s_and_saveexec_b64 s[2:3], vcc
	s_cbranch_execz .LBB20_43
; %bb.40:
	v_and_b32_e32 v99, -8, v100
	v_sub_u32_e32 v101, 0, v99
	s_mov_b64 s[8:9], 24
	s_movk_i32 s12, 0xa4
	s_mov_b64 s[10:11], 0
.LBB20_41:                              ; =>This Inner Loop Header: Depth=1
	s_add_i32 s13, s8, -7
	v_mov_b32_e32 v99, s12
	s_add_i32 s14, s8, -6
	s_set_gpr_idx_on s13, gpr_idx(SRC0)
	v_mov_b32_e32 v108, v23
	s_set_gpr_idx_off
	ds_read2_b32 v[102:103], v99 offset1:1
	s_add_i32 s15, s8, -5
	s_set_gpr_idx_on s14, gpr_idx(SRC0)
	v_mov_b32_e32 v109, v23
	s_set_gpr_idx_off
	s_add_i32 s16, s8, -4
	s_set_gpr_idx_on s15, gpr_idx(SRC0)
	v_mov_b32_e32 v110, v23
	s_set_gpr_idx_off
	ds_read2_b32 v[104:105], v99 offset0:2 offset1:3
	s_add_i32 s17, s8, -3
	s_set_gpr_idx_on s16, gpr_idx(SRC0)
	v_mov_b32_e32 v111, v23
	s_set_gpr_idx_off
	s_add_i32 s18, s8, -2
	s_set_gpr_idx_on s17, gpr_idx(SRC0)
	v_mov_b32_e32 v112, v23
	s_set_gpr_idx_off
	ds_read2_b32 v[106:107], v99 offset0:4 offset1:5
	s_add_i32 s19, s8, -1
	s_waitcnt lgkmcnt(2)
	v_fmac_f32_e32 v98, v108, v102
	s_set_gpr_idx_on s18, gpr_idx(SRC0)
	v_mov_b32_e32 v108, v23
	s_set_gpr_idx_off
	v_fmac_f32_e32 v98, v109, v103
	s_set_gpr_idx_on s19, gpr_idx(SRC0)
	v_mov_b32_e32 v109, v23
	s_set_gpr_idx_off
	ds_read2_b32 v[102:103], v99 offset0:6 offset1:7
	s_waitcnt lgkmcnt(2)
	v_fmac_f32_e32 v98, v110, v104
	s_set_gpr_idx_on s8, gpr_idx(SRC0)
	v_mov_b32_e32 v104, v23
	s_set_gpr_idx_off
	v_fmac_f32_e32 v98, v111, v105
	s_add_u32 s8, s8, 8
	s_waitcnt lgkmcnt(1)
	v_fmac_f32_e32 v98, v112, v106
	v_add_u32_e32 v99, s8, v101
	v_fmac_f32_e32 v98, v108, v107
	s_addc_u32 s9, s9, 0
	s_add_i32 s12, s12, 32
	s_add_i32 s13, s8, -7
	v_cmp_eq_u32_e32 vcc, 24, v99
	s_waitcnt lgkmcnt(0)
	v_fmac_f32_e32 v98, v109, v102
	v_mov_b32_e32 v99, s13
	s_or_b64 s[10:11], vcc, s[10:11]
	v_fmac_f32_e32 v98, v104, v103
	s_andn2_b64 exec, exec, s[10:11]
	s_cbranch_execnz .LBB20_41
; %bb.42:
	s_or_b64 exec, exec, s[10:11]
.LBB20_43:
	s_or_b64 exec, exec, s[2:3]
	v_and_b32_e32 v44, 7, v100
	v_cmp_ne_u32_e32 vcc, 0, v44
	s_and_saveexec_b64 s[8:9], vcc
	s_cbranch_execz .LBB20_47
; %bb.44:
	v_mov_b32_e32 v45, 0x60
	v_lshl_add_u32 v45, v99, 2, v45
	v_mov_b32_e32 v46, 0
	s_mov_b64 s[10:11], 0
.LBB20_45:                              ; =>This Inner Loop Header: Depth=1
	v_cmp_eq_u32_e32 vcc, 1, v99
	v_cndmask_b32_e32 v47, v23, v24, vcc
	v_add_u32_e32 v44, -1, v44
	v_cmp_eq_u32_e32 vcc, 2, v99
	v_cndmask_b32_e32 v47, v47, v25, vcc
	v_cmp_eq_u32_e32 vcc, 0, v44
	v_cmp_eq_u32_e64 s[2:3], 3, v99
	v_cndmask_b32_e64 v47, v47, v26, s[2:3]
	s_or_b64 s[10:11], vcc, s[10:11]
	v_cmp_eq_u32_e32 vcc, 4, v99
	v_cndmask_b32_e32 v47, v47, v27, vcc
	v_cmp_eq_u32_e32 vcc, 5, v99
	v_cndmask_b32_e32 v47, v47, v28, vcc
	;; [unrolled: 2-line block ×12, first 2 shown]
	v_cmp_eq_u32_e32 vcc, 16, v99
	ds_read_b32 v48, v45
	v_cndmask_b32_e32 v47, v47, v39, vcc
	v_cmp_eq_u32_e32 vcc, 17, v99
	v_cndmask_b32_e32 v47, v47, v40, vcc
	v_cmp_eq_u32_e32 vcc, 18, v99
	;; [unrolled: 2-line block ×4, first 2 shown]
	v_add_co_u32_e64 v99, s[2:3], 1, v99
	v_cndmask_b32_e32 v47, v47, v43, vcc
	v_add_u32_e32 v45, 4, v45
	v_addc_co_u32_e64 v46, s[2:3], 0, v46, s[2:3]
	s_waitcnt lgkmcnt(0)
	v_fmac_f32_e32 v98, v47, v48
	s_andn2_b64 exec, exec, s[10:11]
	s_cbranch_execnz .LBB20_45
; %bb.46:
	s_or_b64 exec, exec, s[10:11]
.LBB20_47:
	s_or_b64 exec, exec, s[8:9]
.LBB20_48:
	s_or_b64 exec, exec, s[6:7]
	v_mov_b32_e32 v39, 0
	ds_read_b32 v39, v39 offset:64
	s_waitcnt lgkmcnt(0)
	v_mul_f32_e32 v39, v98, v39
.LBB20_49:
	s_or_b64 exec, exec, s[4:5]
	v_cmp_lt_u32_e64 s[2:3], 15, v0
	ds_write_b32 v97, v38
	s_waitcnt lgkmcnt(0)
	; wave barrier
	s_and_saveexec_b64 s[4:5], s[2:3]
	s_cbranch_execz .LBB20_65
; %bb.50:
	s_andn2_b64 vcc, exec, s[46:47]
	s_cbranch_vccnz .LBB20_52
; %bb.51:
	v_cmp_eq_u32_e32 vcc, 1, v0
	v_cndmask_b32_e32 v98, v23, v24, vcc
	v_cmp_eq_u32_e32 vcc, 2, v0
	v_cndmask_b32_e32 v98, v98, v25, vcc
	;; [unrolled: 2-line block ×16, first 2 shown]
	v_cmp_eq_u32_e32 vcc, 17, v0
	ds_read_b32 v99, v97
	v_cndmask_b32_e32 v98, v98, v40, vcc
	v_cmp_eq_u32_e32 vcc, 18, v0
	v_cndmask_b32_e32 v98, v98, v41, vcc
	v_cmp_eq_u32_e32 vcc, 19, v0
	;; [unrolled: 2-line block ×3, first 2 shown]
	v_cndmask_b32_e32 v98, v98, v43, vcc
	s_waitcnt lgkmcnt(0)
	v_mul_f32_e32 v98, v98, v99
	s_cbranch_execz .LBB20_53
	s_branch .LBB20_54
.LBB20_52:
                                        ; implicit-def: $vgpr98
.LBB20_53:
	ds_read_b32 v98, v97
.LBB20_54:
	s_and_saveexec_b64 s[6:7], s[0:1]
	s_cbranch_execz .LBB20_64
; %bb.55:
	v_subrev_u32_e32 v99, 17, v0
	v_cmp_lt_u32_e32 vcc, 6, v99
	v_mov_b32_e32 v99, 16
	s_and_saveexec_b64 s[0:1], vcc
	s_cbranch_execz .LBB20_59
; %bb.56:
	v_and_b32_e32 v99, 24, v0
	v_sub_u32_e32 v100, 0, v99
	s_mov_b64 s[8:9], 23
	s_movk_i32 s12, 0xa0
	s_mov_b64 s[10:11], 0
.LBB20_57:                              ; =>This Inner Loop Header: Depth=1
	s_add_i32 s13, s8, -7
	v_mov_b32_e32 v99, s12
	s_add_i32 s14, s8, -6
	s_set_gpr_idx_on s13, gpr_idx(SRC0)
	v_mov_b32_e32 v109, v23
	s_set_gpr_idx_off
	s_add_i32 s15, s8, -5
	ds_read_b128 v[101:104], v99
	ds_read_b128 v[105:108], v99 offset:16
	s_set_gpr_idx_on s14, gpr_idx(SRC0)
	v_mov_b32_e32 v99, v23
	s_set_gpr_idx_off
	s_add_i32 s16, s8, -4
	s_set_gpr_idx_on s15, gpr_idx(SRC0)
	v_mov_b32_e32 v110, v23
	s_set_gpr_idx_off
	s_add_i32 s17, s8, -3
	;; [unrolled: 4-line block ×4, first 2 shown]
	s_waitcnt lgkmcnt(1)
	v_fmac_f32_e32 v98, v109, v101
	s_set_gpr_idx_on s18, gpr_idx(SRC0)
	v_mov_b32_e32 v101, v23
	s_set_gpr_idx_off
	v_fmac_f32_e32 v98, v99, v102
	s_set_gpr_idx_on s19, gpr_idx(SRC0)
	v_mov_b32_e32 v102, v23
	s_set_gpr_idx_off
	;; [unrolled: 4-line block ×3, first 2 shown]
	v_fmac_f32_e32 v98, v111, v104
	s_add_u32 s8, s8, 8
	s_waitcnt lgkmcnt(0)
	v_fmac_f32_e32 v98, v112, v105
	v_add_u32_e32 v99, s8, v100
	v_fmac_f32_e32 v98, v101, v106
	s_addc_u32 s9, s9, 0
	s_add_i32 s12, s12, 32
	s_add_i32 s13, s8, -7
	v_cmp_eq_u32_e32 vcc, 7, v99
	v_fmac_f32_e32 v98, v102, v107
	v_mov_b32_e32 v99, s13
	s_or_b64 s[10:11], vcc, s[10:11]
	v_fmac_f32_e32 v98, v103, v108
	s_andn2_b64 exec, exec, s[10:11]
	s_cbranch_execnz .LBB20_57
; %bb.58:
	s_or_b64 exec, exec, s[10:11]
.LBB20_59:
	s_or_b64 exec, exec, s[0:1]
	v_and_b32_e32 v44, 7, v0
	v_cmp_ne_u32_e32 vcc, 0, v44
	s_and_saveexec_b64 s[8:9], vcc
	s_cbranch_execz .LBB20_63
; %bb.60:
	v_mov_b32_e32 v45, 0x60
	v_lshl_add_u32 v45, v99, 2, v45
	v_mov_b32_e32 v46, 0
	s_mov_b64 s[10:11], 0
.LBB20_61:                              ; =>This Inner Loop Header: Depth=1
	v_cmp_eq_u32_e32 vcc, 1, v99
	v_cndmask_b32_e32 v47, v23, v24, vcc
	v_add_u32_e32 v44, -1, v44
	v_cmp_eq_u32_e32 vcc, 2, v99
	v_cndmask_b32_e32 v47, v47, v25, vcc
	v_cmp_eq_u32_e32 vcc, 0, v44
	v_cmp_eq_u32_e64 s[0:1], 3, v99
	v_cndmask_b32_e64 v47, v47, v26, s[0:1]
	s_or_b64 s[10:11], vcc, s[10:11]
	v_cmp_eq_u32_e32 vcc, 4, v99
	v_cndmask_b32_e32 v47, v47, v27, vcc
	v_cmp_eq_u32_e32 vcc, 5, v99
	v_cndmask_b32_e32 v47, v47, v28, vcc
	;; [unrolled: 2-line block ×12, first 2 shown]
	v_cmp_eq_u32_e32 vcc, 16, v99
	ds_read_b32 v48, v45
	v_cndmask_b32_e32 v47, v47, v39, vcc
	v_cmp_eq_u32_e32 vcc, 17, v99
	v_cndmask_b32_e32 v47, v47, v40, vcc
	v_cmp_eq_u32_e32 vcc, 18, v99
	;; [unrolled: 2-line block ×4, first 2 shown]
	v_add_co_u32_e64 v99, s[0:1], 1, v99
	v_cndmask_b32_e32 v47, v47, v43, vcc
	v_add_u32_e32 v45, 4, v45
	v_addc_co_u32_e64 v46, s[0:1], 0, v46, s[0:1]
	s_waitcnt lgkmcnt(0)
	v_fmac_f32_e32 v98, v47, v48
	s_andn2_b64 exec, exec, s[10:11]
	s_cbranch_execnz .LBB20_61
; %bb.62:
	s_or_b64 exec, exec, s[10:11]
.LBB20_63:
	s_or_b64 exec, exec, s[8:9]
.LBB20_64:
	s_or_b64 exec, exec, s[6:7]
	v_mov_b32_e32 v38, 0
	ds_read_b32 v38, v38 offset:60
	s_waitcnt lgkmcnt(0)
	v_mul_f32_e32 v38, v98, v38
.LBB20_65:
	s_or_b64 exec, exec, s[4:5]
	v_cmp_lt_u32_e64 s[0:1], 14, v0
	ds_write_b32 v97, v37
	s_waitcnt lgkmcnt(0)
	; wave barrier
	s_and_saveexec_b64 s[4:5], s[0:1]
	s_cbranch_execz .LBB20_81
; %bb.66:
	s_andn2_b64 vcc, exec, s[46:47]
	s_cbranch_vccnz .LBB20_68
; %bb.67:
	v_cmp_eq_u32_e32 vcc, 1, v0
	v_cndmask_b32_e32 v98, v23, v24, vcc
	v_cmp_eq_u32_e32 vcc, 2, v0
	v_cndmask_b32_e32 v98, v98, v25, vcc
	;; [unrolled: 2-line block ×16, first 2 shown]
	v_cmp_eq_u32_e32 vcc, 17, v0
	ds_read_b32 v99, v97
	v_cndmask_b32_e32 v98, v98, v40, vcc
	v_cmp_eq_u32_e32 vcc, 18, v0
	v_cndmask_b32_e32 v98, v98, v41, vcc
	v_cmp_eq_u32_e32 vcc, 19, v0
	;; [unrolled: 2-line block ×3, first 2 shown]
	v_cndmask_b32_e32 v98, v98, v43, vcc
	s_waitcnt lgkmcnt(0)
	v_mul_f32_e32 v98, v98, v99
	s_cbranch_execz .LBB20_69
	s_branch .LBB20_70
.LBB20_68:
                                        ; implicit-def: $vgpr98
.LBB20_69:
	ds_read_b32 v98, v97
.LBB20_70:
	s_and_saveexec_b64 s[6:7], s[2:3]
	s_cbranch_execz .LBB20_80
; %bb.71:
	v_add_u32_e32 v99, -16, v0
	v_add_u32_e32 v100, -15, v0
	v_cmp_lt_u32_e32 vcc, 6, v99
	v_mov_b32_e32 v99, 15
	s_and_saveexec_b64 s[2:3], vcc
	s_cbranch_execz .LBB20_75
; %bb.72:
	v_and_b32_e32 v99, -8, v100
	v_sub_u32_e32 v101, 0, v99
	s_mov_b64 s[8:9], 22
	s_movk_i32 s12, 0x9c
	s_mov_b64 s[10:11], 0
.LBB20_73:                              ; =>This Inner Loop Header: Depth=1
	s_add_i32 s13, s8, -7
	v_mov_b32_e32 v99, s12
	s_add_i32 s14, s8, -6
	s_set_gpr_idx_on s13, gpr_idx(SRC0)
	v_mov_b32_e32 v108, v23
	s_set_gpr_idx_off
	ds_read2_b32 v[102:103], v99 offset1:1
	s_add_i32 s15, s8, -5
	s_set_gpr_idx_on s14, gpr_idx(SRC0)
	v_mov_b32_e32 v109, v23
	s_set_gpr_idx_off
	s_add_i32 s16, s8, -4
	s_set_gpr_idx_on s15, gpr_idx(SRC0)
	v_mov_b32_e32 v110, v23
	s_set_gpr_idx_off
	ds_read2_b32 v[104:105], v99 offset0:2 offset1:3
	s_add_i32 s17, s8, -3
	s_set_gpr_idx_on s16, gpr_idx(SRC0)
	v_mov_b32_e32 v111, v23
	s_set_gpr_idx_off
	s_add_i32 s18, s8, -2
	s_set_gpr_idx_on s17, gpr_idx(SRC0)
	v_mov_b32_e32 v112, v23
	s_set_gpr_idx_off
	ds_read2_b32 v[106:107], v99 offset0:4 offset1:5
	s_add_i32 s19, s8, -1
	s_waitcnt lgkmcnt(2)
	v_fmac_f32_e32 v98, v108, v102
	s_set_gpr_idx_on s18, gpr_idx(SRC0)
	v_mov_b32_e32 v108, v23
	s_set_gpr_idx_off
	v_fmac_f32_e32 v98, v109, v103
	s_set_gpr_idx_on s19, gpr_idx(SRC0)
	v_mov_b32_e32 v109, v23
	s_set_gpr_idx_off
	ds_read2_b32 v[102:103], v99 offset0:6 offset1:7
	s_waitcnt lgkmcnt(2)
	v_fmac_f32_e32 v98, v110, v104
	s_set_gpr_idx_on s8, gpr_idx(SRC0)
	v_mov_b32_e32 v104, v23
	s_set_gpr_idx_off
	v_fmac_f32_e32 v98, v111, v105
	s_add_u32 s8, s8, 8
	s_waitcnt lgkmcnt(1)
	v_fmac_f32_e32 v98, v112, v106
	v_add_u32_e32 v99, s8, v101
	v_fmac_f32_e32 v98, v108, v107
	s_addc_u32 s9, s9, 0
	s_add_i32 s12, s12, 32
	s_add_i32 s13, s8, -7
	v_cmp_eq_u32_e32 vcc, 22, v99
	s_waitcnt lgkmcnt(0)
	v_fmac_f32_e32 v98, v109, v102
	v_mov_b32_e32 v99, s13
	s_or_b64 s[10:11], vcc, s[10:11]
	v_fmac_f32_e32 v98, v104, v103
	s_andn2_b64 exec, exec, s[10:11]
	s_cbranch_execnz .LBB20_73
; %bb.74:
	s_or_b64 exec, exec, s[10:11]
.LBB20_75:
	s_or_b64 exec, exec, s[2:3]
	v_and_b32_e32 v44, 7, v100
	v_cmp_ne_u32_e32 vcc, 0, v44
	s_and_saveexec_b64 s[8:9], vcc
	s_cbranch_execz .LBB20_79
; %bb.76:
	v_mov_b32_e32 v45, 0x60
	v_lshl_add_u32 v45, v99, 2, v45
	v_mov_b32_e32 v46, 0
	s_mov_b64 s[10:11], 0
.LBB20_77:                              ; =>This Inner Loop Header: Depth=1
	v_cmp_eq_u32_e32 vcc, 1, v99
	v_cndmask_b32_e32 v47, v23, v24, vcc
	v_add_u32_e32 v44, -1, v44
	v_cmp_eq_u32_e32 vcc, 2, v99
	v_cndmask_b32_e32 v47, v47, v25, vcc
	v_cmp_eq_u32_e32 vcc, 0, v44
	v_cmp_eq_u32_e64 s[2:3], 3, v99
	v_cndmask_b32_e64 v47, v47, v26, s[2:3]
	s_or_b64 s[10:11], vcc, s[10:11]
	v_cmp_eq_u32_e32 vcc, 4, v99
	v_cndmask_b32_e32 v47, v47, v27, vcc
	v_cmp_eq_u32_e32 vcc, 5, v99
	v_cndmask_b32_e32 v47, v47, v28, vcc
	;; [unrolled: 2-line block ×12, first 2 shown]
	v_cmp_eq_u32_e32 vcc, 16, v99
	ds_read_b32 v48, v45
	v_cndmask_b32_e32 v47, v47, v39, vcc
	v_cmp_eq_u32_e32 vcc, 17, v99
	v_cndmask_b32_e32 v47, v47, v40, vcc
	v_cmp_eq_u32_e32 vcc, 18, v99
	;; [unrolled: 2-line block ×4, first 2 shown]
	v_add_co_u32_e64 v99, s[2:3], 1, v99
	v_cndmask_b32_e32 v47, v47, v43, vcc
	v_add_u32_e32 v45, 4, v45
	v_addc_co_u32_e64 v46, s[2:3], 0, v46, s[2:3]
	s_waitcnt lgkmcnt(0)
	v_fmac_f32_e32 v98, v47, v48
	s_andn2_b64 exec, exec, s[10:11]
	s_cbranch_execnz .LBB20_77
; %bb.78:
	s_or_b64 exec, exec, s[10:11]
.LBB20_79:
	s_or_b64 exec, exec, s[8:9]
.LBB20_80:
	s_or_b64 exec, exec, s[6:7]
	v_mov_b32_e32 v37, 0
	ds_read_b32 v37, v37 offset:56
	s_waitcnt lgkmcnt(0)
	v_mul_f32_e32 v37, v98, v37
.LBB20_81:
	s_or_b64 exec, exec, s[4:5]
	v_cmp_lt_u32_e64 s[2:3], 13, v0
	ds_write_b32 v97, v36
	s_waitcnt lgkmcnt(0)
	; wave barrier
	s_and_saveexec_b64 s[4:5], s[2:3]
	s_cbranch_execz .LBB20_97
; %bb.82:
	s_andn2_b64 vcc, exec, s[46:47]
	s_cbranch_vccnz .LBB20_84
; %bb.83:
	v_cmp_eq_u32_e32 vcc, 1, v0
	v_cndmask_b32_e32 v98, v23, v24, vcc
	v_cmp_eq_u32_e32 vcc, 2, v0
	v_cndmask_b32_e32 v98, v98, v25, vcc
	;; [unrolled: 2-line block ×16, first 2 shown]
	v_cmp_eq_u32_e32 vcc, 17, v0
	ds_read_b32 v99, v97
	v_cndmask_b32_e32 v98, v98, v40, vcc
	v_cmp_eq_u32_e32 vcc, 18, v0
	v_cndmask_b32_e32 v98, v98, v41, vcc
	v_cmp_eq_u32_e32 vcc, 19, v0
	;; [unrolled: 2-line block ×3, first 2 shown]
	v_cndmask_b32_e32 v98, v98, v43, vcc
	s_waitcnt lgkmcnt(0)
	v_mul_f32_e32 v98, v98, v99
	s_cbranch_execz .LBB20_85
	s_branch .LBB20_86
.LBB20_84:
                                        ; implicit-def: $vgpr98
.LBB20_85:
	ds_read_b32 v98, v97
.LBB20_86:
	s_and_saveexec_b64 s[6:7], s[0:1]
	s_cbranch_execz .LBB20_96
; %bb.87:
	v_add_u32_e32 v99, -15, v0
	v_add_u32_e32 v100, -14, v0
	v_cmp_lt_u32_e32 vcc, 6, v99
	v_mov_b32_e32 v99, 14
	s_and_saveexec_b64 s[0:1], vcc
	s_cbranch_execz .LBB20_91
; %bb.88:
	v_and_b32_e32 v99, -8, v100
	v_sub_u32_e32 v101, 0, v99
	s_mov_b64 s[8:9], 21
	s_movk_i32 s12, 0x98
	s_mov_b64 s[10:11], 0
.LBB20_89:                              ; =>This Inner Loop Header: Depth=1
	s_add_i32 s13, s8, -7
	v_mov_b32_e32 v99, s12
	s_add_i32 s14, s8, -6
	s_set_gpr_idx_on s13, gpr_idx(SRC0)
	v_mov_b32_e32 v110, v23
	s_set_gpr_idx_off
	ds_read2_b64 v[102:105], v99 offset1:1
	s_add_i32 s15, s8, -5
	s_set_gpr_idx_on s14, gpr_idx(SRC0)
	v_mov_b32_e32 v111, v23
	s_set_gpr_idx_off
	s_add_i32 s16, s8, -4
	s_set_gpr_idx_on s15, gpr_idx(SRC0)
	v_mov_b32_e32 v112, v23
	s_set_gpr_idx_off
	s_add_i32 s17, s8, -3
	s_set_gpr_idx_on s16, gpr_idx(SRC0)
	v_mov_b32_e32 v113, v23
	s_set_gpr_idx_off
	s_add_i32 s18, s8, -2
	s_set_gpr_idx_on s17, gpr_idx(SRC0)
	v_mov_b32_e32 v114, v23
	s_set_gpr_idx_off
	ds_read2_b64 v[106:109], v99 offset0:2 offset1:3
	s_add_i32 s19, s8, -1
	s_waitcnt lgkmcnt(1)
	v_fmac_f32_e32 v98, v110, v102
	s_set_gpr_idx_on s18, gpr_idx(SRC0)
	v_mov_b32_e32 v102, v23
	s_set_gpr_idx_off
	v_fmac_f32_e32 v98, v111, v103
	s_set_gpr_idx_on s19, gpr_idx(SRC0)
	v_mov_b32_e32 v103, v23
	s_set_gpr_idx_off
	;; [unrolled: 4-line block ×3, first 2 shown]
	v_fmac_f32_e32 v98, v113, v105
	s_add_u32 s8, s8, 8
	s_waitcnt lgkmcnt(0)
	v_fmac_f32_e32 v98, v114, v106
	v_add_u32_e32 v99, s8, v101
	v_fmac_f32_e32 v98, v102, v107
	s_addc_u32 s9, s9, 0
	s_add_i32 s12, s12, 32
	s_add_i32 s13, s8, -7
	v_cmp_eq_u32_e32 vcc, 21, v99
	v_fmac_f32_e32 v98, v103, v108
	v_mov_b32_e32 v99, s13
	s_or_b64 s[10:11], vcc, s[10:11]
	v_fmac_f32_e32 v98, v104, v109
	s_andn2_b64 exec, exec, s[10:11]
	s_cbranch_execnz .LBB20_89
; %bb.90:
	s_or_b64 exec, exec, s[10:11]
.LBB20_91:
	s_or_b64 exec, exec, s[0:1]
	v_and_b32_e32 v44, 7, v100
	v_cmp_ne_u32_e32 vcc, 0, v44
	s_and_saveexec_b64 s[8:9], vcc
	s_cbranch_execz .LBB20_95
; %bb.92:
	v_mov_b32_e32 v45, 0x60
	v_lshl_add_u32 v45, v99, 2, v45
	v_mov_b32_e32 v46, 0
	s_mov_b64 s[10:11], 0
.LBB20_93:                              ; =>This Inner Loop Header: Depth=1
	v_cmp_eq_u32_e32 vcc, 1, v99
	v_cndmask_b32_e32 v47, v23, v24, vcc
	v_add_u32_e32 v44, -1, v44
	v_cmp_eq_u32_e32 vcc, 2, v99
	v_cndmask_b32_e32 v47, v47, v25, vcc
	v_cmp_eq_u32_e32 vcc, 0, v44
	v_cmp_eq_u32_e64 s[0:1], 3, v99
	v_cndmask_b32_e64 v47, v47, v26, s[0:1]
	s_or_b64 s[10:11], vcc, s[10:11]
	v_cmp_eq_u32_e32 vcc, 4, v99
	v_cndmask_b32_e32 v47, v47, v27, vcc
	v_cmp_eq_u32_e32 vcc, 5, v99
	v_cndmask_b32_e32 v47, v47, v28, vcc
	;; [unrolled: 2-line block ×12, first 2 shown]
	v_cmp_eq_u32_e32 vcc, 16, v99
	ds_read_b32 v48, v45
	v_cndmask_b32_e32 v47, v47, v39, vcc
	v_cmp_eq_u32_e32 vcc, 17, v99
	v_cndmask_b32_e32 v47, v47, v40, vcc
	v_cmp_eq_u32_e32 vcc, 18, v99
	;; [unrolled: 2-line block ×4, first 2 shown]
	v_add_co_u32_e64 v99, s[0:1], 1, v99
	v_cndmask_b32_e32 v47, v47, v43, vcc
	v_add_u32_e32 v45, 4, v45
	v_addc_co_u32_e64 v46, s[0:1], 0, v46, s[0:1]
	s_waitcnt lgkmcnt(0)
	v_fmac_f32_e32 v98, v47, v48
	s_andn2_b64 exec, exec, s[10:11]
	s_cbranch_execnz .LBB20_93
; %bb.94:
	s_or_b64 exec, exec, s[10:11]
.LBB20_95:
	s_or_b64 exec, exec, s[8:9]
.LBB20_96:
	s_or_b64 exec, exec, s[6:7]
	v_mov_b32_e32 v36, 0
	ds_read_b32 v36, v36 offset:52
	s_waitcnt lgkmcnt(0)
	v_mul_f32_e32 v36, v98, v36
.LBB20_97:
	s_or_b64 exec, exec, s[4:5]
	v_cmp_lt_u32_e64 s[0:1], 12, v0
	ds_write_b32 v97, v35
	s_waitcnt lgkmcnt(0)
	; wave barrier
	s_and_saveexec_b64 s[4:5], s[0:1]
	s_cbranch_execz .LBB20_113
; %bb.98:
	s_andn2_b64 vcc, exec, s[46:47]
	s_cbranch_vccnz .LBB20_100
; %bb.99:
	v_cmp_eq_u32_e32 vcc, 1, v0
	v_cndmask_b32_e32 v98, v23, v24, vcc
	v_cmp_eq_u32_e32 vcc, 2, v0
	v_cndmask_b32_e32 v98, v98, v25, vcc
	;; [unrolled: 2-line block ×16, first 2 shown]
	v_cmp_eq_u32_e32 vcc, 17, v0
	ds_read_b32 v99, v97
	v_cndmask_b32_e32 v98, v98, v40, vcc
	v_cmp_eq_u32_e32 vcc, 18, v0
	v_cndmask_b32_e32 v98, v98, v41, vcc
	v_cmp_eq_u32_e32 vcc, 19, v0
	;; [unrolled: 2-line block ×3, first 2 shown]
	v_cndmask_b32_e32 v98, v98, v43, vcc
	s_waitcnt lgkmcnt(0)
	v_mul_f32_e32 v98, v98, v99
	s_cbranch_execz .LBB20_101
	s_branch .LBB20_102
.LBB20_100:
                                        ; implicit-def: $vgpr98
.LBB20_101:
	ds_read_b32 v98, v97
.LBB20_102:
	s_and_saveexec_b64 s[6:7], s[2:3]
	s_cbranch_execz .LBB20_112
; %bb.103:
	v_add_u32_e32 v99, -14, v0
	v_add_u32_e32 v100, -13, v0
	v_cmp_lt_u32_e32 vcc, 6, v99
	v_mov_b32_e32 v99, 13
	s_and_saveexec_b64 s[2:3], vcc
	s_cbranch_execz .LBB20_107
; %bb.104:
	v_and_b32_e32 v99, -8, v100
	v_sub_u32_e32 v101, 0, v99
	s_mov_b64 s[8:9], 20
	s_movk_i32 s12, 0x94
	s_mov_b64 s[10:11], 0
.LBB20_105:                             ; =>This Inner Loop Header: Depth=1
	s_add_i32 s13, s8, -7
	v_mov_b32_e32 v99, s12
	s_add_i32 s14, s8, -6
	s_set_gpr_idx_on s13, gpr_idx(SRC0)
	v_mov_b32_e32 v108, v23
	s_set_gpr_idx_off
	ds_read2_b32 v[102:103], v99 offset1:1
	s_add_i32 s15, s8, -5
	s_set_gpr_idx_on s14, gpr_idx(SRC0)
	v_mov_b32_e32 v109, v23
	s_set_gpr_idx_off
	s_add_i32 s16, s8, -4
	s_set_gpr_idx_on s15, gpr_idx(SRC0)
	v_mov_b32_e32 v110, v23
	s_set_gpr_idx_off
	ds_read2_b32 v[104:105], v99 offset0:2 offset1:3
	s_add_i32 s17, s8, -3
	s_set_gpr_idx_on s16, gpr_idx(SRC0)
	v_mov_b32_e32 v111, v23
	s_set_gpr_idx_off
	s_add_i32 s18, s8, -2
	s_set_gpr_idx_on s17, gpr_idx(SRC0)
	v_mov_b32_e32 v112, v23
	s_set_gpr_idx_off
	ds_read2_b32 v[106:107], v99 offset0:4 offset1:5
	s_add_i32 s19, s8, -1
	s_waitcnt lgkmcnt(2)
	v_fmac_f32_e32 v98, v108, v102
	s_set_gpr_idx_on s18, gpr_idx(SRC0)
	v_mov_b32_e32 v108, v23
	s_set_gpr_idx_off
	v_fmac_f32_e32 v98, v109, v103
	s_set_gpr_idx_on s19, gpr_idx(SRC0)
	v_mov_b32_e32 v109, v23
	s_set_gpr_idx_off
	ds_read2_b32 v[102:103], v99 offset0:6 offset1:7
	s_waitcnt lgkmcnt(2)
	v_fmac_f32_e32 v98, v110, v104
	s_set_gpr_idx_on s8, gpr_idx(SRC0)
	v_mov_b32_e32 v104, v23
	s_set_gpr_idx_off
	v_fmac_f32_e32 v98, v111, v105
	s_add_u32 s8, s8, 8
	s_waitcnt lgkmcnt(1)
	v_fmac_f32_e32 v98, v112, v106
	v_add_u32_e32 v99, s8, v101
	v_fmac_f32_e32 v98, v108, v107
	s_addc_u32 s9, s9, 0
	s_add_i32 s12, s12, 32
	s_add_i32 s13, s8, -7
	v_cmp_eq_u32_e32 vcc, 20, v99
	s_waitcnt lgkmcnt(0)
	v_fmac_f32_e32 v98, v109, v102
	v_mov_b32_e32 v99, s13
	s_or_b64 s[10:11], vcc, s[10:11]
	v_fmac_f32_e32 v98, v104, v103
	s_andn2_b64 exec, exec, s[10:11]
	s_cbranch_execnz .LBB20_105
; %bb.106:
	s_or_b64 exec, exec, s[10:11]
.LBB20_107:
	s_or_b64 exec, exec, s[2:3]
	v_and_b32_e32 v44, 7, v100
	v_cmp_ne_u32_e32 vcc, 0, v44
	s_and_saveexec_b64 s[8:9], vcc
	s_cbranch_execz .LBB20_111
; %bb.108:
	v_mov_b32_e32 v45, 0x60
	v_lshl_add_u32 v45, v99, 2, v45
	v_mov_b32_e32 v46, 0
	s_mov_b64 s[10:11], 0
.LBB20_109:                             ; =>This Inner Loop Header: Depth=1
	v_cmp_eq_u32_e32 vcc, 1, v99
	v_cndmask_b32_e32 v47, v23, v24, vcc
	v_add_u32_e32 v44, -1, v44
	v_cmp_eq_u32_e32 vcc, 2, v99
	v_cndmask_b32_e32 v47, v47, v25, vcc
	v_cmp_eq_u32_e32 vcc, 0, v44
	v_cmp_eq_u32_e64 s[2:3], 3, v99
	v_cndmask_b32_e64 v47, v47, v26, s[2:3]
	s_or_b64 s[10:11], vcc, s[10:11]
	v_cmp_eq_u32_e32 vcc, 4, v99
	v_cndmask_b32_e32 v47, v47, v27, vcc
	v_cmp_eq_u32_e32 vcc, 5, v99
	v_cndmask_b32_e32 v47, v47, v28, vcc
	;; [unrolled: 2-line block ×12, first 2 shown]
	v_cmp_eq_u32_e32 vcc, 16, v99
	ds_read_b32 v48, v45
	v_cndmask_b32_e32 v47, v47, v39, vcc
	v_cmp_eq_u32_e32 vcc, 17, v99
	v_cndmask_b32_e32 v47, v47, v40, vcc
	v_cmp_eq_u32_e32 vcc, 18, v99
	;; [unrolled: 2-line block ×4, first 2 shown]
	v_add_co_u32_e64 v99, s[2:3], 1, v99
	v_cndmask_b32_e32 v47, v47, v43, vcc
	v_add_u32_e32 v45, 4, v45
	v_addc_co_u32_e64 v46, s[2:3], 0, v46, s[2:3]
	s_waitcnt lgkmcnt(0)
	v_fmac_f32_e32 v98, v47, v48
	s_andn2_b64 exec, exec, s[10:11]
	s_cbranch_execnz .LBB20_109
; %bb.110:
	s_or_b64 exec, exec, s[10:11]
.LBB20_111:
	s_or_b64 exec, exec, s[8:9]
.LBB20_112:
	s_or_b64 exec, exec, s[6:7]
	v_mov_b32_e32 v35, 0
	ds_read_b32 v35, v35 offset:48
	s_waitcnt lgkmcnt(0)
	v_mul_f32_e32 v35, v98, v35
.LBB20_113:
	s_or_b64 exec, exec, s[4:5]
	v_cmp_lt_u32_e64 s[2:3], 11, v0
	ds_write_b32 v97, v34
	s_waitcnt lgkmcnt(0)
	; wave barrier
	s_and_saveexec_b64 s[4:5], s[2:3]
	s_cbranch_execz .LBB20_129
; %bb.114:
	s_andn2_b64 vcc, exec, s[46:47]
	s_cbranch_vccnz .LBB20_116
; %bb.115:
	v_cmp_eq_u32_e32 vcc, 1, v0
	v_cndmask_b32_e32 v98, v23, v24, vcc
	v_cmp_eq_u32_e32 vcc, 2, v0
	v_cndmask_b32_e32 v98, v98, v25, vcc
	;; [unrolled: 2-line block ×16, first 2 shown]
	v_cmp_eq_u32_e32 vcc, 17, v0
	ds_read_b32 v99, v97
	v_cndmask_b32_e32 v98, v98, v40, vcc
	v_cmp_eq_u32_e32 vcc, 18, v0
	v_cndmask_b32_e32 v98, v98, v41, vcc
	v_cmp_eq_u32_e32 vcc, 19, v0
	;; [unrolled: 2-line block ×3, first 2 shown]
	v_cndmask_b32_e32 v98, v98, v43, vcc
	s_waitcnt lgkmcnt(0)
	v_mul_f32_e32 v98, v98, v99
	s_cbranch_execz .LBB20_117
	s_branch .LBB20_118
.LBB20_116:
                                        ; implicit-def: $vgpr98
.LBB20_117:
	ds_read_b32 v98, v97
.LBB20_118:
	s_and_saveexec_b64 s[6:7], s[0:1]
	s_cbranch_execz .LBB20_128
; %bb.119:
	v_add_u32_e32 v99, -13, v0
	v_add_u32_e32 v100, -12, v0
	v_cmp_lt_u32_e32 vcc, 6, v99
	v_mov_b32_e32 v99, 12
	s_and_saveexec_b64 s[0:1], vcc
	s_cbranch_execz .LBB20_123
; %bb.120:
	v_and_b32_e32 v99, -8, v100
	v_sub_u32_e32 v101, 0, v99
	s_mov_b64 s[8:9], 19
	s_movk_i32 s12, 0x90
	s_mov_b64 s[10:11], 0
.LBB20_121:                             ; =>This Inner Loop Header: Depth=1
	s_add_i32 s13, s8, -7
	v_mov_b32_e32 v99, s12
	s_add_i32 s14, s8, -6
	s_set_gpr_idx_on s13, gpr_idx(SRC0)
	v_mov_b32_e32 v110, v23
	s_set_gpr_idx_off
	s_add_i32 s15, s8, -5
	ds_read_b128 v[102:105], v99
	ds_read_b128 v[106:109], v99 offset:16
	s_set_gpr_idx_on s14, gpr_idx(SRC0)
	v_mov_b32_e32 v99, v23
	s_set_gpr_idx_off
	s_add_i32 s16, s8, -4
	s_set_gpr_idx_on s15, gpr_idx(SRC0)
	v_mov_b32_e32 v111, v23
	s_set_gpr_idx_off
	s_add_i32 s17, s8, -3
	;; [unrolled: 4-line block ×4, first 2 shown]
	s_waitcnt lgkmcnt(1)
	v_fmac_f32_e32 v98, v110, v102
	s_set_gpr_idx_on s18, gpr_idx(SRC0)
	v_mov_b32_e32 v102, v23
	s_set_gpr_idx_off
	v_fmac_f32_e32 v98, v99, v103
	s_set_gpr_idx_on s19, gpr_idx(SRC0)
	v_mov_b32_e32 v103, v23
	s_set_gpr_idx_off
	;; [unrolled: 4-line block ×3, first 2 shown]
	v_fmac_f32_e32 v98, v112, v105
	s_add_u32 s8, s8, 8
	s_waitcnt lgkmcnt(0)
	v_fmac_f32_e32 v98, v113, v106
	v_add_u32_e32 v99, s8, v101
	v_fmac_f32_e32 v98, v102, v107
	s_addc_u32 s9, s9, 0
	s_add_i32 s12, s12, 32
	s_add_i32 s13, s8, -7
	v_cmp_eq_u32_e32 vcc, 19, v99
	v_fmac_f32_e32 v98, v103, v108
	v_mov_b32_e32 v99, s13
	s_or_b64 s[10:11], vcc, s[10:11]
	v_fmac_f32_e32 v98, v104, v109
	s_andn2_b64 exec, exec, s[10:11]
	s_cbranch_execnz .LBB20_121
; %bb.122:
	s_or_b64 exec, exec, s[10:11]
.LBB20_123:
	s_or_b64 exec, exec, s[0:1]
	v_and_b32_e32 v44, 7, v100
	v_cmp_ne_u32_e32 vcc, 0, v44
	s_and_saveexec_b64 s[8:9], vcc
	s_cbranch_execz .LBB20_127
; %bb.124:
	v_mov_b32_e32 v45, 0x60
	v_lshl_add_u32 v45, v99, 2, v45
	v_mov_b32_e32 v46, 0
	s_mov_b64 s[10:11], 0
.LBB20_125:                             ; =>This Inner Loop Header: Depth=1
	v_cmp_eq_u32_e32 vcc, 1, v99
	v_cndmask_b32_e32 v47, v23, v24, vcc
	v_add_u32_e32 v44, -1, v44
	v_cmp_eq_u32_e32 vcc, 2, v99
	v_cndmask_b32_e32 v47, v47, v25, vcc
	v_cmp_eq_u32_e32 vcc, 0, v44
	v_cmp_eq_u32_e64 s[0:1], 3, v99
	v_cndmask_b32_e64 v47, v47, v26, s[0:1]
	s_or_b64 s[10:11], vcc, s[10:11]
	v_cmp_eq_u32_e32 vcc, 4, v99
	v_cndmask_b32_e32 v47, v47, v27, vcc
	v_cmp_eq_u32_e32 vcc, 5, v99
	v_cndmask_b32_e32 v47, v47, v28, vcc
	;; [unrolled: 2-line block ×12, first 2 shown]
	v_cmp_eq_u32_e32 vcc, 16, v99
	ds_read_b32 v48, v45
	v_cndmask_b32_e32 v47, v47, v39, vcc
	v_cmp_eq_u32_e32 vcc, 17, v99
	v_cndmask_b32_e32 v47, v47, v40, vcc
	v_cmp_eq_u32_e32 vcc, 18, v99
	;; [unrolled: 2-line block ×4, first 2 shown]
	v_add_co_u32_e64 v99, s[0:1], 1, v99
	v_cndmask_b32_e32 v47, v47, v43, vcc
	v_add_u32_e32 v45, 4, v45
	v_addc_co_u32_e64 v46, s[0:1], 0, v46, s[0:1]
	s_waitcnt lgkmcnt(0)
	v_fmac_f32_e32 v98, v47, v48
	s_andn2_b64 exec, exec, s[10:11]
	s_cbranch_execnz .LBB20_125
; %bb.126:
	s_or_b64 exec, exec, s[10:11]
.LBB20_127:
	s_or_b64 exec, exec, s[8:9]
.LBB20_128:
	s_or_b64 exec, exec, s[6:7]
	v_mov_b32_e32 v34, 0
	ds_read_b32 v34, v34 offset:44
	s_waitcnt lgkmcnt(0)
	v_mul_f32_e32 v34, v98, v34
.LBB20_129:
	s_or_b64 exec, exec, s[4:5]
	v_cmp_lt_u32_e64 s[0:1], 10, v0
	ds_write_b32 v97, v33
	s_waitcnt lgkmcnt(0)
	; wave barrier
	s_and_saveexec_b64 s[4:5], s[0:1]
	s_cbranch_execz .LBB20_145
; %bb.130:
	s_andn2_b64 vcc, exec, s[46:47]
	s_cbranch_vccnz .LBB20_132
; %bb.131:
	v_cmp_eq_u32_e32 vcc, 1, v0
	v_cndmask_b32_e32 v98, v23, v24, vcc
	v_cmp_eq_u32_e32 vcc, 2, v0
	v_cndmask_b32_e32 v98, v98, v25, vcc
	;; [unrolled: 2-line block ×16, first 2 shown]
	v_cmp_eq_u32_e32 vcc, 17, v0
	ds_read_b32 v99, v97
	v_cndmask_b32_e32 v98, v98, v40, vcc
	v_cmp_eq_u32_e32 vcc, 18, v0
	v_cndmask_b32_e32 v98, v98, v41, vcc
	v_cmp_eq_u32_e32 vcc, 19, v0
	;; [unrolled: 2-line block ×3, first 2 shown]
	v_cndmask_b32_e32 v98, v98, v43, vcc
	s_waitcnt lgkmcnt(0)
	v_mul_f32_e32 v98, v98, v99
	s_cbranch_execz .LBB20_133
	s_branch .LBB20_134
.LBB20_132:
                                        ; implicit-def: $vgpr98
.LBB20_133:
	ds_read_b32 v98, v97
.LBB20_134:
	s_and_saveexec_b64 s[6:7], s[2:3]
	s_cbranch_execz .LBB20_144
; %bb.135:
	v_add_u32_e32 v99, -12, v0
	v_add_u32_e32 v100, -11, v0
	v_cmp_lt_u32_e32 vcc, 6, v99
	v_mov_b32_e32 v99, 11
	s_and_saveexec_b64 s[2:3], vcc
	s_cbranch_execz .LBB20_139
; %bb.136:
	v_and_b32_e32 v99, -8, v100
	v_sub_u32_e32 v101, 0, v99
	s_mov_b64 s[8:9], 18
	s_movk_i32 s12, 0x8c
	s_mov_b64 s[10:11], 0
.LBB20_137:                             ; =>This Inner Loop Header: Depth=1
	s_add_i32 s13, s8, -7
	v_mov_b32_e32 v99, s12
	s_add_i32 s14, s8, -6
	s_set_gpr_idx_on s13, gpr_idx(SRC0)
	v_mov_b32_e32 v108, v23
	s_set_gpr_idx_off
	ds_read2_b32 v[102:103], v99 offset1:1
	s_add_i32 s15, s8, -5
	s_set_gpr_idx_on s14, gpr_idx(SRC0)
	v_mov_b32_e32 v109, v23
	s_set_gpr_idx_off
	s_add_i32 s16, s8, -4
	s_set_gpr_idx_on s15, gpr_idx(SRC0)
	v_mov_b32_e32 v110, v23
	s_set_gpr_idx_off
	ds_read2_b32 v[104:105], v99 offset0:2 offset1:3
	s_add_i32 s17, s8, -3
	s_set_gpr_idx_on s16, gpr_idx(SRC0)
	v_mov_b32_e32 v111, v23
	s_set_gpr_idx_off
	s_add_i32 s18, s8, -2
	s_set_gpr_idx_on s17, gpr_idx(SRC0)
	v_mov_b32_e32 v112, v23
	s_set_gpr_idx_off
	ds_read2_b32 v[106:107], v99 offset0:4 offset1:5
	s_add_i32 s19, s8, -1
	s_waitcnt lgkmcnt(2)
	v_fmac_f32_e32 v98, v108, v102
	s_set_gpr_idx_on s18, gpr_idx(SRC0)
	v_mov_b32_e32 v108, v23
	s_set_gpr_idx_off
	v_fmac_f32_e32 v98, v109, v103
	s_set_gpr_idx_on s19, gpr_idx(SRC0)
	v_mov_b32_e32 v109, v23
	s_set_gpr_idx_off
	ds_read2_b32 v[102:103], v99 offset0:6 offset1:7
	s_waitcnt lgkmcnt(2)
	v_fmac_f32_e32 v98, v110, v104
	s_set_gpr_idx_on s8, gpr_idx(SRC0)
	v_mov_b32_e32 v104, v23
	s_set_gpr_idx_off
	v_fmac_f32_e32 v98, v111, v105
	s_add_u32 s8, s8, 8
	s_waitcnt lgkmcnt(1)
	v_fmac_f32_e32 v98, v112, v106
	v_add_u32_e32 v99, s8, v101
	v_fmac_f32_e32 v98, v108, v107
	s_addc_u32 s9, s9, 0
	s_add_i32 s12, s12, 32
	s_add_i32 s13, s8, -7
	v_cmp_eq_u32_e32 vcc, 18, v99
	s_waitcnt lgkmcnt(0)
	v_fmac_f32_e32 v98, v109, v102
	v_mov_b32_e32 v99, s13
	s_or_b64 s[10:11], vcc, s[10:11]
	v_fmac_f32_e32 v98, v104, v103
	s_andn2_b64 exec, exec, s[10:11]
	s_cbranch_execnz .LBB20_137
; %bb.138:
	s_or_b64 exec, exec, s[10:11]
.LBB20_139:
	s_or_b64 exec, exec, s[2:3]
	v_and_b32_e32 v44, 7, v100
	v_cmp_ne_u32_e32 vcc, 0, v44
	s_and_saveexec_b64 s[8:9], vcc
	s_cbranch_execz .LBB20_143
; %bb.140:
	v_mov_b32_e32 v45, 0x60
	v_lshl_add_u32 v45, v99, 2, v45
	v_mov_b32_e32 v46, 0
	s_mov_b64 s[10:11], 0
.LBB20_141:                             ; =>This Inner Loop Header: Depth=1
	v_cmp_eq_u32_e32 vcc, 1, v99
	v_cndmask_b32_e32 v47, v23, v24, vcc
	v_add_u32_e32 v44, -1, v44
	v_cmp_eq_u32_e32 vcc, 2, v99
	v_cndmask_b32_e32 v47, v47, v25, vcc
	v_cmp_eq_u32_e32 vcc, 0, v44
	v_cmp_eq_u32_e64 s[2:3], 3, v99
	v_cndmask_b32_e64 v47, v47, v26, s[2:3]
	s_or_b64 s[10:11], vcc, s[10:11]
	v_cmp_eq_u32_e32 vcc, 4, v99
	v_cndmask_b32_e32 v47, v47, v27, vcc
	v_cmp_eq_u32_e32 vcc, 5, v99
	v_cndmask_b32_e32 v47, v47, v28, vcc
	;; [unrolled: 2-line block ×12, first 2 shown]
	v_cmp_eq_u32_e32 vcc, 16, v99
	ds_read_b32 v48, v45
	v_cndmask_b32_e32 v47, v47, v39, vcc
	v_cmp_eq_u32_e32 vcc, 17, v99
	v_cndmask_b32_e32 v47, v47, v40, vcc
	v_cmp_eq_u32_e32 vcc, 18, v99
	;; [unrolled: 2-line block ×4, first 2 shown]
	v_add_co_u32_e64 v99, s[2:3], 1, v99
	v_cndmask_b32_e32 v47, v47, v43, vcc
	v_add_u32_e32 v45, 4, v45
	v_addc_co_u32_e64 v46, s[2:3], 0, v46, s[2:3]
	s_waitcnt lgkmcnt(0)
	v_fmac_f32_e32 v98, v47, v48
	s_andn2_b64 exec, exec, s[10:11]
	s_cbranch_execnz .LBB20_141
; %bb.142:
	s_or_b64 exec, exec, s[10:11]
.LBB20_143:
	s_or_b64 exec, exec, s[8:9]
.LBB20_144:
	s_or_b64 exec, exec, s[6:7]
	v_mov_b32_e32 v33, 0
	ds_read_b32 v33, v33 offset:40
	s_waitcnt lgkmcnt(0)
	v_mul_f32_e32 v33, v98, v33
.LBB20_145:
	s_or_b64 exec, exec, s[4:5]
	v_cmp_lt_u32_e64 s[2:3], 9, v0
	ds_write_b32 v97, v32
	s_waitcnt lgkmcnt(0)
	; wave barrier
	s_and_saveexec_b64 s[4:5], s[2:3]
	s_cbranch_execz .LBB20_161
; %bb.146:
	s_andn2_b64 vcc, exec, s[46:47]
	s_cbranch_vccnz .LBB20_148
; %bb.147:
	v_cmp_eq_u32_e32 vcc, 1, v0
	v_cndmask_b32_e32 v98, v23, v24, vcc
	v_cmp_eq_u32_e32 vcc, 2, v0
	v_cndmask_b32_e32 v98, v98, v25, vcc
	v_cmp_eq_u32_e32 vcc, 3, v0
	v_cndmask_b32_e32 v98, v98, v26, vcc
	v_cmp_eq_u32_e32 vcc, 4, v0
	v_cndmask_b32_e32 v98, v98, v27, vcc
	v_cmp_eq_u32_e32 vcc, 5, v0
	v_cndmask_b32_e32 v98, v98, v28, vcc
	v_cmp_eq_u32_e32 vcc, 6, v0
	v_cndmask_b32_e32 v98, v98, v29, vcc
	v_cmp_eq_u32_e32 vcc, 7, v0
	v_cndmask_b32_e32 v98, v98, v30, vcc
	v_cmp_eq_u32_e32 vcc, 8, v0
	v_cndmask_b32_e32 v98, v98, v31, vcc
	v_cmp_eq_u32_e32 vcc, 9, v0
	v_cndmask_b32_e32 v98, v98, v32, vcc
	v_cmp_eq_u32_e32 vcc, 10, v0
	v_cndmask_b32_e32 v98, v98, v33, vcc
	v_cmp_eq_u32_e32 vcc, 11, v0
	v_cndmask_b32_e32 v98, v98, v34, vcc
	v_cmp_eq_u32_e32 vcc, 12, v0
	v_cndmask_b32_e32 v98, v98, v35, vcc
	v_cmp_eq_u32_e32 vcc, 13, v0
	v_cndmask_b32_e32 v98, v98, v36, vcc
	v_cmp_eq_u32_e32 vcc, 14, v0
	v_cndmask_b32_e32 v98, v98, v37, vcc
	v_cmp_eq_u32_e32 vcc, 15, v0
	v_cndmask_b32_e32 v98, v98, v38, vcc
	v_cmp_eq_u32_e32 vcc, 16, v0
	v_cndmask_b32_e32 v98, v98, v39, vcc
	v_cmp_eq_u32_e32 vcc, 17, v0
	ds_read_b32 v99, v97
	v_cndmask_b32_e32 v98, v98, v40, vcc
	v_cmp_eq_u32_e32 vcc, 18, v0
	v_cndmask_b32_e32 v98, v98, v41, vcc
	v_cmp_eq_u32_e32 vcc, 19, v0
	;; [unrolled: 2-line block ×3, first 2 shown]
	v_cndmask_b32_e32 v98, v98, v43, vcc
	s_waitcnt lgkmcnt(0)
	v_mul_f32_e32 v98, v98, v99
	s_cbranch_execz .LBB20_149
	s_branch .LBB20_150
.LBB20_148:
                                        ; implicit-def: $vgpr98
.LBB20_149:
	ds_read_b32 v98, v97
.LBB20_150:
	s_and_saveexec_b64 s[6:7], s[0:1]
	s_cbranch_execz .LBB20_160
; %bb.151:
	v_add_u32_e32 v99, -11, v0
	v_add_u32_e32 v100, -10, v0
	v_cmp_lt_u32_e32 vcc, 6, v99
	v_mov_b32_e32 v99, 10
	s_and_saveexec_b64 s[0:1], vcc
	s_cbranch_execz .LBB20_155
; %bb.152:
	v_and_b32_e32 v99, -8, v100
	v_sub_u32_e32 v101, 0, v99
	s_mov_b64 s[8:9], 17
	s_movk_i32 s12, 0x88
	s_mov_b64 s[10:11], 0
.LBB20_153:                             ; =>This Inner Loop Header: Depth=1
	s_add_i32 s13, s8, -7
	v_mov_b32_e32 v99, s12
	s_add_i32 s14, s8, -6
	s_set_gpr_idx_on s13, gpr_idx(SRC0)
	v_mov_b32_e32 v110, v23
	s_set_gpr_idx_off
	ds_read2_b64 v[102:105], v99 offset1:1
	s_add_i32 s15, s8, -5
	s_set_gpr_idx_on s14, gpr_idx(SRC0)
	v_mov_b32_e32 v111, v23
	s_set_gpr_idx_off
	s_add_i32 s16, s8, -4
	s_set_gpr_idx_on s15, gpr_idx(SRC0)
	v_mov_b32_e32 v112, v23
	s_set_gpr_idx_off
	;; [unrolled: 4-line block ×4, first 2 shown]
	ds_read2_b64 v[106:109], v99 offset0:2 offset1:3
	s_add_i32 s19, s8, -1
	s_waitcnt lgkmcnt(1)
	v_fmac_f32_e32 v98, v110, v102
	s_set_gpr_idx_on s18, gpr_idx(SRC0)
	v_mov_b32_e32 v102, v23
	s_set_gpr_idx_off
	v_fmac_f32_e32 v98, v111, v103
	s_set_gpr_idx_on s19, gpr_idx(SRC0)
	v_mov_b32_e32 v103, v23
	s_set_gpr_idx_off
	;; [unrolled: 4-line block ×3, first 2 shown]
	v_fmac_f32_e32 v98, v113, v105
	s_add_u32 s8, s8, 8
	s_waitcnt lgkmcnt(0)
	v_fmac_f32_e32 v98, v114, v106
	v_add_u32_e32 v99, s8, v101
	v_fmac_f32_e32 v98, v102, v107
	s_addc_u32 s9, s9, 0
	s_add_i32 s12, s12, 32
	s_add_i32 s13, s8, -7
	v_cmp_eq_u32_e32 vcc, 17, v99
	v_fmac_f32_e32 v98, v103, v108
	v_mov_b32_e32 v99, s13
	s_or_b64 s[10:11], vcc, s[10:11]
	v_fmac_f32_e32 v98, v104, v109
	s_andn2_b64 exec, exec, s[10:11]
	s_cbranch_execnz .LBB20_153
; %bb.154:
	s_or_b64 exec, exec, s[10:11]
.LBB20_155:
	s_or_b64 exec, exec, s[0:1]
	v_and_b32_e32 v44, 7, v100
	v_cmp_ne_u32_e32 vcc, 0, v44
	s_and_saveexec_b64 s[8:9], vcc
	s_cbranch_execz .LBB20_159
; %bb.156:
	v_mov_b32_e32 v45, 0x60
	v_lshl_add_u32 v45, v99, 2, v45
	v_mov_b32_e32 v46, 0
	s_mov_b64 s[10:11], 0
.LBB20_157:                             ; =>This Inner Loop Header: Depth=1
	v_cmp_eq_u32_e32 vcc, 1, v99
	v_cndmask_b32_e32 v47, v23, v24, vcc
	v_add_u32_e32 v44, -1, v44
	v_cmp_eq_u32_e32 vcc, 2, v99
	v_cndmask_b32_e32 v47, v47, v25, vcc
	v_cmp_eq_u32_e32 vcc, 0, v44
	v_cmp_eq_u32_e64 s[0:1], 3, v99
	v_cndmask_b32_e64 v47, v47, v26, s[0:1]
	s_or_b64 s[10:11], vcc, s[10:11]
	v_cmp_eq_u32_e32 vcc, 4, v99
	v_cndmask_b32_e32 v47, v47, v27, vcc
	v_cmp_eq_u32_e32 vcc, 5, v99
	v_cndmask_b32_e32 v47, v47, v28, vcc
	;; [unrolled: 2-line block ×12, first 2 shown]
	v_cmp_eq_u32_e32 vcc, 16, v99
	ds_read_b32 v48, v45
	v_cndmask_b32_e32 v47, v47, v39, vcc
	v_cmp_eq_u32_e32 vcc, 17, v99
	v_cndmask_b32_e32 v47, v47, v40, vcc
	v_cmp_eq_u32_e32 vcc, 18, v99
	;; [unrolled: 2-line block ×4, first 2 shown]
	v_add_co_u32_e64 v99, s[0:1], 1, v99
	v_cndmask_b32_e32 v47, v47, v43, vcc
	v_add_u32_e32 v45, 4, v45
	v_addc_co_u32_e64 v46, s[0:1], 0, v46, s[0:1]
	s_waitcnt lgkmcnt(0)
	v_fmac_f32_e32 v98, v47, v48
	s_andn2_b64 exec, exec, s[10:11]
	s_cbranch_execnz .LBB20_157
; %bb.158:
	s_or_b64 exec, exec, s[10:11]
.LBB20_159:
	s_or_b64 exec, exec, s[8:9]
.LBB20_160:
	s_or_b64 exec, exec, s[6:7]
	v_mov_b32_e32 v32, 0
	ds_read_b32 v32, v32 offset:36
	s_waitcnt lgkmcnt(0)
	v_mul_f32_e32 v32, v98, v32
.LBB20_161:
	s_or_b64 exec, exec, s[4:5]
	v_cmp_lt_u32_e64 s[0:1], 8, v0
	ds_write_b32 v97, v31
	s_waitcnt lgkmcnt(0)
	; wave barrier
	s_and_saveexec_b64 s[4:5], s[0:1]
	s_cbranch_execz .LBB20_177
; %bb.162:
	s_andn2_b64 vcc, exec, s[46:47]
	s_cbranch_vccnz .LBB20_164
; %bb.163:
	v_cmp_eq_u32_e32 vcc, 1, v0
	v_cndmask_b32_e32 v98, v23, v24, vcc
	v_cmp_eq_u32_e32 vcc, 2, v0
	v_cndmask_b32_e32 v98, v98, v25, vcc
	;; [unrolled: 2-line block ×16, first 2 shown]
	v_cmp_eq_u32_e32 vcc, 17, v0
	ds_read_b32 v99, v97
	v_cndmask_b32_e32 v98, v98, v40, vcc
	v_cmp_eq_u32_e32 vcc, 18, v0
	v_cndmask_b32_e32 v98, v98, v41, vcc
	v_cmp_eq_u32_e32 vcc, 19, v0
	;; [unrolled: 2-line block ×3, first 2 shown]
	v_cndmask_b32_e32 v98, v98, v43, vcc
	s_waitcnt lgkmcnt(0)
	v_mul_f32_e32 v98, v98, v99
	s_cbranch_execz .LBB20_165
	s_branch .LBB20_166
.LBB20_164:
                                        ; implicit-def: $vgpr98
.LBB20_165:
	ds_read_b32 v98, v97
.LBB20_166:
	s_and_saveexec_b64 s[6:7], s[2:3]
	s_cbranch_execz .LBB20_176
; %bb.167:
	v_add_u32_e32 v99, -10, v0
	v_add_u32_e32 v100, -9, v0
	v_cmp_lt_u32_e32 vcc, 6, v99
	v_mov_b32_e32 v99, 9
	s_and_saveexec_b64 s[2:3], vcc
	s_cbranch_execz .LBB20_171
; %bb.168:
	v_and_b32_e32 v99, -8, v100
	v_sub_u32_e32 v101, 0, v99
	s_mov_b64 s[8:9], 16
	s_movk_i32 s12, 0x84
	s_mov_b64 s[10:11], 0
.LBB20_169:                             ; =>This Inner Loop Header: Depth=1
	s_add_i32 s13, s8, -7
	v_mov_b32_e32 v99, s12
	s_add_i32 s14, s8, -6
	s_set_gpr_idx_on s13, gpr_idx(SRC0)
	v_mov_b32_e32 v108, v23
	s_set_gpr_idx_off
	ds_read2_b32 v[102:103], v99 offset1:1
	s_add_i32 s15, s8, -5
	s_set_gpr_idx_on s14, gpr_idx(SRC0)
	v_mov_b32_e32 v109, v23
	s_set_gpr_idx_off
	s_add_i32 s16, s8, -4
	s_set_gpr_idx_on s15, gpr_idx(SRC0)
	v_mov_b32_e32 v110, v23
	s_set_gpr_idx_off
	ds_read2_b32 v[104:105], v99 offset0:2 offset1:3
	s_add_i32 s17, s8, -3
	s_set_gpr_idx_on s16, gpr_idx(SRC0)
	v_mov_b32_e32 v111, v23
	s_set_gpr_idx_off
	s_add_i32 s18, s8, -2
	s_set_gpr_idx_on s17, gpr_idx(SRC0)
	v_mov_b32_e32 v112, v23
	s_set_gpr_idx_off
	ds_read2_b32 v[106:107], v99 offset0:4 offset1:5
	s_add_i32 s19, s8, -1
	s_waitcnt lgkmcnt(2)
	v_fmac_f32_e32 v98, v108, v102
	s_set_gpr_idx_on s18, gpr_idx(SRC0)
	v_mov_b32_e32 v108, v23
	s_set_gpr_idx_off
	v_fmac_f32_e32 v98, v109, v103
	s_set_gpr_idx_on s19, gpr_idx(SRC0)
	v_mov_b32_e32 v109, v23
	s_set_gpr_idx_off
	ds_read2_b32 v[102:103], v99 offset0:6 offset1:7
	s_waitcnt lgkmcnt(2)
	v_fmac_f32_e32 v98, v110, v104
	s_set_gpr_idx_on s8, gpr_idx(SRC0)
	v_mov_b32_e32 v104, v23
	s_set_gpr_idx_off
	v_fmac_f32_e32 v98, v111, v105
	s_add_u32 s8, s8, 8
	s_waitcnt lgkmcnt(1)
	v_fmac_f32_e32 v98, v112, v106
	v_add_u32_e32 v99, s8, v101
	v_fmac_f32_e32 v98, v108, v107
	s_addc_u32 s9, s9, 0
	s_add_i32 s12, s12, 32
	s_add_i32 s13, s8, -7
	v_cmp_eq_u32_e32 vcc, 16, v99
	s_waitcnt lgkmcnt(0)
	v_fmac_f32_e32 v98, v109, v102
	v_mov_b32_e32 v99, s13
	s_or_b64 s[10:11], vcc, s[10:11]
	v_fmac_f32_e32 v98, v104, v103
	s_andn2_b64 exec, exec, s[10:11]
	s_cbranch_execnz .LBB20_169
; %bb.170:
	s_or_b64 exec, exec, s[10:11]
.LBB20_171:
	s_or_b64 exec, exec, s[2:3]
	v_and_b32_e32 v44, 7, v100
	v_cmp_ne_u32_e32 vcc, 0, v44
	s_and_saveexec_b64 s[8:9], vcc
	s_cbranch_execz .LBB20_175
; %bb.172:
	v_mov_b32_e32 v45, 0x60
	v_lshl_add_u32 v45, v99, 2, v45
	v_mov_b32_e32 v46, 0
	s_mov_b64 s[10:11], 0
.LBB20_173:                             ; =>This Inner Loop Header: Depth=1
	v_cmp_eq_u32_e32 vcc, 1, v99
	v_cndmask_b32_e32 v47, v23, v24, vcc
	v_add_u32_e32 v44, -1, v44
	v_cmp_eq_u32_e32 vcc, 2, v99
	v_cndmask_b32_e32 v47, v47, v25, vcc
	v_cmp_eq_u32_e32 vcc, 0, v44
	v_cmp_eq_u32_e64 s[2:3], 3, v99
	v_cndmask_b32_e64 v47, v47, v26, s[2:3]
	s_or_b64 s[10:11], vcc, s[10:11]
	v_cmp_eq_u32_e32 vcc, 4, v99
	v_cndmask_b32_e32 v47, v47, v27, vcc
	v_cmp_eq_u32_e32 vcc, 5, v99
	v_cndmask_b32_e32 v47, v47, v28, vcc
	;; [unrolled: 2-line block ×12, first 2 shown]
	v_cmp_eq_u32_e32 vcc, 16, v99
	ds_read_b32 v48, v45
	v_cndmask_b32_e32 v47, v47, v39, vcc
	v_cmp_eq_u32_e32 vcc, 17, v99
	v_cndmask_b32_e32 v47, v47, v40, vcc
	v_cmp_eq_u32_e32 vcc, 18, v99
	;; [unrolled: 2-line block ×4, first 2 shown]
	v_add_co_u32_e64 v99, s[2:3], 1, v99
	v_cndmask_b32_e32 v47, v47, v43, vcc
	v_add_u32_e32 v45, 4, v45
	v_addc_co_u32_e64 v46, s[2:3], 0, v46, s[2:3]
	s_waitcnt lgkmcnt(0)
	v_fmac_f32_e32 v98, v47, v48
	s_andn2_b64 exec, exec, s[10:11]
	s_cbranch_execnz .LBB20_173
; %bb.174:
	s_or_b64 exec, exec, s[10:11]
.LBB20_175:
	s_or_b64 exec, exec, s[8:9]
.LBB20_176:
	s_or_b64 exec, exec, s[6:7]
	v_mov_b32_e32 v31, 0
	ds_read_b32 v31, v31 offset:32
	s_waitcnt lgkmcnt(0)
	v_mul_f32_e32 v31, v98, v31
.LBB20_177:
	s_or_b64 exec, exec, s[4:5]
	v_cmp_lt_u32_e64 s[2:3], 7, v0
	ds_write_b32 v97, v30
	s_waitcnt lgkmcnt(0)
	; wave barrier
	s_and_saveexec_b64 s[4:5], s[2:3]
	s_cbranch_execz .LBB20_193
; %bb.178:
	s_andn2_b64 vcc, exec, s[46:47]
	s_cbranch_vccnz .LBB20_180
; %bb.179:
	v_cmp_eq_u32_e32 vcc, 1, v0
	v_cndmask_b32_e32 v98, v23, v24, vcc
	v_cmp_eq_u32_e32 vcc, 2, v0
	v_cndmask_b32_e32 v98, v98, v25, vcc
	;; [unrolled: 2-line block ×16, first 2 shown]
	v_cmp_eq_u32_e32 vcc, 17, v0
	ds_read_b32 v99, v97
	v_cndmask_b32_e32 v98, v98, v40, vcc
	v_cmp_eq_u32_e32 vcc, 18, v0
	v_cndmask_b32_e32 v98, v98, v41, vcc
	v_cmp_eq_u32_e32 vcc, 19, v0
	;; [unrolled: 2-line block ×3, first 2 shown]
	v_cndmask_b32_e32 v98, v98, v43, vcc
	s_waitcnt lgkmcnt(0)
	v_mul_f32_e32 v98, v98, v99
	s_cbranch_execz .LBB20_181
	s_branch .LBB20_182
.LBB20_180:
                                        ; implicit-def: $vgpr98
.LBB20_181:
	ds_read_b32 v98, v97
.LBB20_182:
	s_and_saveexec_b64 s[6:7], s[0:1]
	s_cbranch_execz .LBB20_192
; %bb.183:
	v_add_u32_e32 v99, -9, v0
	v_cmp_lt_u32_e32 vcc, 6, v99
	v_mov_b32_e32 v99, 8
	s_and_saveexec_b64 s[0:1], vcc
	s_cbranch_execz .LBB20_187
; %bb.184:
	v_and_b32_e32 v99, 24, v0
	v_sub_u32_e32 v100, 0, v99
	s_mov_b64 s[8:9], 15
	s_movk_i32 s12, 0x80
	s_mov_b64 s[10:11], 0
.LBB20_185:                             ; =>This Inner Loop Header: Depth=1
	s_add_i32 s13, s8, -7
	v_mov_b32_e32 v99, s12
	s_add_i32 s14, s8, -6
	s_set_gpr_idx_on s13, gpr_idx(SRC0)
	v_mov_b32_e32 v109, v23
	s_set_gpr_idx_off
	s_add_i32 s15, s8, -5
	ds_read_b128 v[101:104], v99
	ds_read_b128 v[105:108], v99 offset:16
	s_set_gpr_idx_on s14, gpr_idx(SRC0)
	v_mov_b32_e32 v99, v23
	s_set_gpr_idx_off
	s_add_i32 s16, s8, -4
	s_set_gpr_idx_on s15, gpr_idx(SRC0)
	v_mov_b32_e32 v110, v23
	s_set_gpr_idx_off
	s_add_i32 s17, s8, -3
	;; [unrolled: 4-line block ×4, first 2 shown]
	s_waitcnt lgkmcnt(1)
	v_fmac_f32_e32 v98, v109, v101
	s_set_gpr_idx_on s18, gpr_idx(SRC0)
	v_mov_b32_e32 v101, v23
	s_set_gpr_idx_off
	v_fmac_f32_e32 v98, v99, v102
	s_set_gpr_idx_on s19, gpr_idx(SRC0)
	v_mov_b32_e32 v102, v23
	s_set_gpr_idx_off
	;; [unrolled: 4-line block ×3, first 2 shown]
	v_fmac_f32_e32 v98, v111, v104
	s_add_u32 s8, s8, 8
	s_waitcnt lgkmcnt(0)
	v_fmac_f32_e32 v98, v112, v105
	v_add_u32_e32 v99, s8, v100
	v_fmac_f32_e32 v98, v101, v106
	s_addc_u32 s9, s9, 0
	s_add_i32 s12, s12, 32
	s_add_i32 s13, s8, -7
	v_cmp_eq_u32_e32 vcc, 7, v99
	v_fmac_f32_e32 v98, v102, v107
	v_mov_b32_e32 v99, s13
	s_or_b64 s[10:11], vcc, s[10:11]
	v_fmac_f32_e32 v98, v103, v108
	s_andn2_b64 exec, exec, s[10:11]
	s_cbranch_execnz .LBB20_185
; %bb.186:
	s_or_b64 exec, exec, s[10:11]
.LBB20_187:
	s_or_b64 exec, exec, s[0:1]
	v_and_b32_e32 v44, 7, v0
	v_cmp_ne_u32_e32 vcc, 0, v44
	s_and_saveexec_b64 s[8:9], vcc
	s_cbranch_execz .LBB20_191
; %bb.188:
	v_mov_b32_e32 v45, 0x60
	v_lshl_add_u32 v45, v99, 2, v45
	v_mov_b32_e32 v46, 0
	s_mov_b64 s[10:11], 0
.LBB20_189:                             ; =>This Inner Loop Header: Depth=1
	v_cmp_eq_u32_e32 vcc, 1, v99
	v_cndmask_b32_e32 v47, v23, v24, vcc
	v_add_u32_e32 v44, -1, v44
	v_cmp_eq_u32_e32 vcc, 2, v99
	v_cndmask_b32_e32 v47, v47, v25, vcc
	v_cmp_eq_u32_e32 vcc, 0, v44
	v_cmp_eq_u32_e64 s[0:1], 3, v99
	v_cndmask_b32_e64 v47, v47, v26, s[0:1]
	s_or_b64 s[10:11], vcc, s[10:11]
	v_cmp_eq_u32_e32 vcc, 4, v99
	v_cndmask_b32_e32 v47, v47, v27, vcc
	v_cmp_eq_u32_e32 vcc, 5, v99
	v_cndmask_b32_e32 v47, v47, v28, vcc
	;; [unrolled: 2-line block ×12, first 2 shown]
	v_cmp_eq_u32_e32 vcc, 16, v99
	ds_read_b32 v48, v45
	v_cndmask_b32_e32 v47, v47, v39, vcc
	v_cmp_eq_u32_e32 vcc, 17, v99
	v_cndmask_b32_e32 v47, v47, v40, vcc
	v_cmp_eq_u32_e32 vcc, 18, v99
	;; [unrolled: 2-line block ×4, first 2 shown]
	v_add_co_u32_e64 v99, s[0:1], 1, v99
	v_cndmask_b32_e32 v47, v47, v43, vcc
	v_add_u32_e32 v45, 4, v45
	v_addc_co_u32_e64 v46, s[0:1], 0, v46, s[0:1]
	s_waitcnt lgkmcnt(0)
	v_fmac_f32_e32 v98, v47, v48
	s_andn2_b64 exec, exec, s[10:11]
	s_cbranch_execnz .LBB20_189
; %bb.190:
	s_or_b64 exec, exec, s[10:11]
.LBB20_191:
	s_or_b64 exec, exec, s[8:9]
.LBB20_192:
	s_or_b64 exec, exec, s[6:7]
	v_mov_b32_e32 v30, 0
	ds_read_b32 v30, v30 offset:28
	s_waitcnt lgkmcnt(0)
	v_mul_f32_e32 v30, v98, v30
.LBB20_193:
	s_or_b64 exec, exec, s[4:5]
	v_cmp_lt_u32_e64 s[0:1], 6, v0
	ds_write_b32 v97, v29
	s_waitcnt lgkmcnt(0)
	; wave barrier
	s_and_saveexec_b64 s[4:5], s[0:1]
	s_cbranch_execz .LBB20_209
; %bb.194:
	s_andn2_b64 vcc, exec, s[46:47]
	s_cbranch_vccnz .LBB20_196
; %bb.195:
	v_cmp_eq_u32_e32 vcc, 1, v0
	v_cndmask_b32_e32 v98, v23, v24, vcc
	v_cmp_eq_u32_e32 vcc, 2, v0
	v_cndmask_b32_e32 v98, v98, v25, vcc
	;; [unrolled: 2-line block ×16, first 2 shown]
	v_cmp_eq_u32_e32 vcc, 17, v0
	ds_read_b32 v99, v97
	v_cndmask_b32_e32 v98, v98, v40, vcc
	v_cmp_eq_u32_e32 vcc, 18, v0
	v_cndmask_b32_e32 v98, v98, v41, vcc
	v_cmp_eq_u32_e32 vcc, 19, v0
	;; [unrolled: 2-line block ×3, first 2 shown]
	v_cndmask_b32_e32 v98, v98, v43, vcc
	s_waitcnt lgkmcnt(0)
	v_mul_f32_e32 v98, v98, v99
	s_cbranch_execz .LBB20_197
	s_branch .LBB20_198
.LBB20_196:
                                        ; implicit-def: $vgpr98
.LBB20_197:
	ds_read_b32 v98, v97
.LBB20_198:
	s_and_saveexec_b64 s[6:7], s[2:3]
	s_cbranch_execz .LBB20_208
; %bb.199:
	v_add_u32_e32 v99, -8, v0
	v_add_u32_e32 v100, -7, v0
	v_cmp_lt_u32_e32 vcc, 6, v99
	v_mov_b32_e32 v99, 7
	s_and_saveexec_b64 s[2:3], vcc
	s_cbranch_execz .LBB20_203
; %bb.200:
	v_and_b32_e32 v99, -8, v100
	v_sub_u32_e32 v101, 0, v99
	s_mov_b64 s[8:9], 14
	s_movk_i32 s12, 0x7c
	s_mov_b64 s[10:11], 0
.LBB20_201:                             ; =>This Inner Loop Header: Depth=1
	s_add_i32 s13, s8, -7
	v_mov_b32_e32 v99, s12
	s_add_i32 s14, s8, -6
	s_set_gpr_idx_on s13, gpr_idx(SRC0)
	v_mov_b32_e32 v108, v23
	s_set_gpr_idx_off
	ds_read2_b32 v[102:103], v99 offset1:1
	s_add_i32 s15, s8, -5
	s_set_gpr_idx_on s14, gpr_idx(SRC0)
	v_mov_b32_e32 v109, v23
	s_set_gpr_idx_off
	s_add_i32 s16, s8, -4
	s_set_gpr_idx_on s15, gpr_idx(SRC0)
	v_mov_b32_e32 v110, v23
	s_set_gpr_idx_off
	ds_read2_b32 v[104:105], v99 offset0:2 offset1:3
	s_add_i32 s17, s8, -3
	s_set_gpr_idx_on s16, gpr_idx(SRC0)
	v_mov_b32_e32 v111, v23
	s_set_gpr_idx_off
	s_add_i32 s18, s8, -2
	s_set_gpr_idx_on s17, gpr_idx(SRC0)
	v_mov_b32_e32 v112, v23
	s_set_gpr_idx_off
	ds_read2_b32 v[106:107], v99 offset0:4 offset1:5
	s_add_i32 s19, s8, -1
	s_waitcnt lgkmcnt(2)
	v_fmac_f32_e32 v98, v108, v102
	s_set_gpr_idx_on s18, gpr_idx(SRC0)
	v_mov_b32_e32 v108, v23
	s_set_gpr_idx_off
	v_fmac_f32_e32 v98, v109, v103
	s_set_gpr_idx_on s19, gpr_idx(SRC0)
	v_mov_b32_e32 v109, v23
	s_set_gpr_idx_off
	ds_read2_b32 v[102:103], v99 offset0:6 offset1:7
	s_waitcnt lgkmcnt(2)
	v_fmac_f32_e32 v98, v110, v104
	s_set_gpr_idx_on s8, gpr_idx(SRC0)
	v_mov_b32_e32 v104, v23
	s_set_gpr_idx_off
	v_fmac_f32_e32 v98, v111, v105
	s_add_u32 s8, s8, 8
	s_waitcnt lgkmcnt(1)
	v_fmac_f32_e32 v98, v112, v106
	v_add_u32_e32 v99, s8, v101
	v_fmac_f32_e32 v98, v108, v107
	s_addc_u32 s9, s9, 0
	s_add_i32 s12, s12, 32
	s_add_i32 s13, s8, -7
	v_cmp_eq_u32_e32 vcc, 14, v99
	s_waitcnt lgkmcnt(0)
	v_fmac_f32_e32 v98, v109, v102
	v_mov_b32_e32 v99, s13
	s_or_b64 s[10:11], vcc, s[10:11]
	v_fmac_f32_e32 v98, v104, v103
	s_andn2_b64 exec, exec, s[10:11]
	s_cbranch_execnz .LBB20_201
; %bb.202:
	s_or_b64 exec, exec, s[10:11]
.LBB20_203:
	s_or_b64 exec, exec, s[2:3]
	v_and_b32_e32 v44, 7, v100
	v_cmp_ne_u32_e32 vcc, 0, v44
	s_and_saveexec_b64 s[8:9], vcc
	s_cbranch_execz .LBB20_207
; %bb.204:
	v_mov_b32_e32 v45, 0x60
	v_lshl_add_u32 v45, v99, 2, v45
	v_mov_b32_e32 v46, 0
	s_mov_b64 s[10:11], 0
.LBB20_205:                             ; =>This Inner Loop Header: Depth=1
	v_cmp_eq_u32_e32 vcc, 1, v99
	v_cndmask_b32_e32 v47, v23, v24, vcc
	v_add_u32_e32 v44, -1, v44
	v_cmp_eq_u32_e32 vcc, 2, v99
	v_cndmask_b32_e32 v47, v47, v25, vcc
	v_cmp_eq_u32_e32 vcc, 0, v44
	v_cmp_eq_u32_e64 s[2:3], 3, v99
	v_cndmask_b32_e64 v47, v47, v26, s[2:3]
	s_or_b64 s[10:11], vcc, s[10:11]
	v_cmp_eq_u32_e32 vcc, 4, v99
	v_cndmask_b32_e32 v47, v47, v27, vcc
	v_cmp_eq_u32_e32 vcc, 5, v99
	v_cndmask_b32_e32 v47, v47, v28, vcc
	;; [unrolled: 2-line block ×12, first 2 shown]
	v_cmp_eq_u32_e32 vcc, 16, v99
	ds_read_b32 v48, v45
	v_cndmask_b32_e32 v47, v47, v39, vcc
	v_cmp_eq_u32_e32 vcc, 17, v99
	v_cndmask_b32_e32 v47, v47, v40, vcc
	v_cmp_eq_u32_e32 vcc, 18, v99
	;; [unrolled: 2-line block ×4, first 2 shown]
	v_add_co_u32_e64 v99, s[2:3], 1, v99
	v_cndmask_b32_e32 v47, v47, v43, vcc
	v_add_u32_e32 v45, 4, v45
	v_addc_co_u32_e64 v46, s[2:3], 0, v46, s[2:3]
	s_waitcnt lgkmcnt(0)
	v_fmac_f32_e32 v98, v47, v48
	s_andn2_b64 exec, exec, s[10:11]
	s_cbranch_execnz .LBB20_205
; %bb.206:
	s_or_b64 exec, exec, s[10:11]
.LBB20_207:
	s_or_b64 exec, exec, s[8:9]
.LBB20_208:
	s_or_b64 exec, exec, s[6:7]
	v_mov_b32_e32 v29, 0
	ds_read_b32 v29, v29 offset:24
	s_waitcnt lgkmcnt(0)
	v_mul_f32_e32 v29, v98, v29
.LBB20_209:
	s_or_b64 exec, exec, s[4:5]
	v_cmp_lt_u32_e64 s[2:3], 5, v0
	ds_write_b32 v97, v28
	s_waitcnt lgkmcnt(0)
	; wave barrier
	s_and_saveexec_b64 s[4:5], s[2:3]
	s_cbranch_execz .LBB20_225
; %bb.210:
	s_andn2_b64 vcc, exec, s[46:47]
	s_cbranch_vccnz .LBB20_212
; %bb.211:
	v_cmp_eq_u32_e32 vcc, 1, v0
	v_cndmask_b32_e32 v98, v23, v24, vcc
	v_cmp_eq_u32_e32 vcc, 2, v0
	v_cndmask_b32_e32 v98, v98, v25, vcc
	;; [unrolled: 2-line block ×16, first 2 shown]
	v_cmp_eq_u32_e32 vcc, 17, v0
	ds_read_b32 v99, v97
	v_cndmask_b32_e32 v98, v98, v40, vcc
	v_cmp_eq_u32_e32 vcc, 18, v0
	v_cndmask_b32_e32 v98, v98, v41, vcc
	v_cmp_eq_u32_e32 vcc, 19, v0
	;; [unrolled: 2-line block ×3, first 2 shown]
	v_cndmask_b32_e32 v98, v98, v43, vcc
	s_waitcnt lgkmcnt(0)
	v_mul_f32_e32 v98, v98, v99
	s_cbranch_execz .LBB20_213
	s_branch .LBB20_214
.LBB20_212:
                                        ; implicit-def: $vgpr98
.LBB20_213:
	ds_read_b32 v98, v97
.LBB20_214:
	s_and_saveexec_b64 s[6:7], s[0:1]
	s_cbranch_execz .LBB20_224
; %bb.215:
	v_add_u32_e32 v101, -7, v0
	v_add_u32_e32 v100, -6, v0
	v_mov_b32_e32 v99, 6
	v_cmp_lt_u32_e32 vcc, 6, v101
	s_and_saveexec_b64 s[0:1], vcc
	s_cbranch_execz .LBB20_219
; %bb.216:
	v_and_b32_e32 v99, -8, v100
	v_sub_u32_e32 v101, 0, v99
	s_mov_b64 s[8:9], 13
	s_movk_i32 s12, 0x78
	s_mov_b64 s[10:11], 0
.LBB20_217:                             ; =>This Inner Loop Header: Depth=1
	s_add_i32 s13, s8, -7
	v_mov_b32_e32 v99, s12
	s_add_i32 s14, s8, -6
	s_set_gpr_idx_on s13, gpr_idx(SRC0)
	v_mov_b32_e32 v110, v23
	s_set_gpr_idx_off
	ds_read2_b64 v[102:105], v99 offset1:1
	s_add_i32 s15, s8, -5
	s_set_gpr_idx_on s14, gpr_idx(SRC0)
	v_mov_b32_e32 v111, v23
	s_set_gpr_idx_off
	s_add_i32 s16, s8, -4
	s_set_gpr_idx_on s15, gpr_idx(SRC0)
	v_mov_b32_e32 v112, v23
	s_set_gpr_idx_off
	;; [unrolled: 4-line block ×4, first 2 shown]
	ds_read2_b64 v[106:109], v99 offset0:2 offset1:3
	s_add_i32 s19, s8, -1
	s_waitcnt lgkmcnt(1)
	v_fmac_f32_e32 v98, v110, v102
	s_set_gpr_idx_on s18, gpr_idx(SRC0)
	v_mov_b32_e32 v102, v23
	s_set_gpr_idx_off
	v_fmac_f32_e32 v98, v111, v103
	s_set_gpr_idx_on s19, gpr_idx(SRC0)
	v_mov_b32_e32 v103, v23
	s_set_gpr_idx_off
	;; [unrolled: 4-line block ×3, first 2 shown]
	v_fmac_f32_e32 v98, v113, v105
	s_add_u32 s8, s8, 8
	s_waitcnt lgkmcnt(0)
	v_fmac_f32_e32 v98, v114, v106
	v_add_u32_e32 v99, s8, v101
	v_fmac_f32_e32 v98, v102, v107
	s_addc_u32 s9, s9, 0
	s_add_i32 s12, s12, 32
	s_add_i32 s13, s8, -7
	v_cmp_eq_u32_e32 vcc, 13, v99
	v_fmac_f32_e32 v98, v103, v108
	v_mov_b32_e32 v99, s13
	s_or_b64 s[10:11], vcc, s[10:11]
	v_fmac_f32_e32 v98, v104, v109
	s_andn2_b64 exec, exec, s[10:11]
	s_cbranch_execnz .LBB20_217
; %bb.218:
	s_or_b64 exec, exec, s[10:11]
.LBB20_219:
	s_or_b64 exec, exec, s[0:1]
	v_and_b32_e32 v44, 7, v100
	v_cmp_ne_u32_e32 vcc, 0, v44
	s_and_saveexec_b64 s[8:9], vcc
	s_cbranch_execz .LBB20_223
; %bb.220:
	v_mov_b32_e32 v45, 0x60
	v_lshl_add_u32 v45, v99, 2, v45
	v_mov_b32_e32 v46, 0
	s_mov_b64 s[10:11], 0
.LBB20_221:                             ; =>This Inner Loop Header: Depth=1
	v_cmp_eq_u32_e32 vcc, 1, v99
	v_cndmask_b32_e32 v47, v23, v24, vcc
	v_add_u32_e32 v44, -1, v44
	v_cmp_eq_u32_e32 vcc, 2, v99
	v_cndmask_b32_e32 v47, v47, v25, vcc
	v_cmp_eq_u32_e32 vcc, 0, v44
	v_cmp_eq_u32_e64 s[0:1], 3, v99
	v_cndmask_b32_e64 v47, v47, v26, s[0:1]
	s_or_b64 s[10:11], vcc, s[10:11]
	v_cmp_eq_u32_e32 vcc, 4, v99
	v_cndmask_b32_e32 v47, v47, v27, vcc
	v_cmp_eq_u32_e32 vcc, 5, v99
	v_cndmask_b32_e32 v47, v47, v28, vcc
	;; [unrolled: 2-line block ×12, first 2 shown]
	v_cmp_eq_u32_e32 vcc, 16, v99
	ds_read_b32 v48, v45
	v_cndmask_b32_e32 v47, v47, v39, vcc
	v_cmp_eq_u32_e32 vcc, 17, v99
	v_cndmask_b32_e32 v47, v47, v40, vcc
	v_cmp_eq_u32_e32 vcc, 18, v99
	;; [unrolled: 2-line block ×4, first 2 shown]
	v_add_co_u32_e64 v99, s[0:1], 1, v99
	v_cndmask_b32_e32 v47, v47, v43, vcc
	v_add_u32_e32 v45, 4, v45
	v_addc_co_u32_e64 v46, s[0:1], 0, v46, s[0:1]
	s_waitcnt lgkmcnt(0)
	v_fmac_f32_e32 v98, v47, v48
	s_andn2_b64 exec, exec, s[10:11]
	s_cbranch_execnz .LBB20_221
; %bb.222:
	s_or_b64 exec, exec, s[10:11]
.LBB20_223:
	s_or_b64 exec, exec, s[8:9]
.LBB20_224:
	s_or_b64 exec, exec, s[6:7]
	v_mov_b32_e32 v28, 0
	ds_read_b32 v28, v28 offset:20
	s_waitcnt lgkmcnt(0)
	v_mul_f32_e32 v28, v98, v28
.LBB20_225:
	s_or_b64 exec, exec, s[4:5]
	v_cmp_lt_u32_e64 s[0:1], 4, v0
	ds_write_b32 v97, v27
	s_waitcnt lgkmcnt(0)
	; wave barrier
	s_and_saveexec_b64 s[4:5], s[0:1]
	s_cbranch_execz .LBB20_241
; %bb.226:
	s_andn2_b64 vcc, exec, s[46:47]
	s_cbranch_vccnz .LBB20_228
; %bb.227:
	v_cmp_eq_u32_e32 vcc, 1, v0
	v_cndmask_b32_e32 v98, v23, v24, vcc
	v_cmp_eq_u32_e32 vcc, 2, v0
	v_cndmask_b32_e32 v98, v98, v25, vcc
	;; [unrolled: 2-line block ×16, first 2 shown]
	v_cmp_eq_u32_e32 vcc, 17, v0
	ds_read_b32 v99, v97
	v_cndmask_b32_e32 v98, v98, v40, vcc
	v_cmp_eq_u32_e32 vcc, 18, v0
	v_cndmask_b32_e32 v98, v98, v41, vcc
	v_cmp_eq_u32_e32 vcc, 19, v0
	;; [unrolled: 2-line block ×3, first 2 shown]
	v_cndmask_b32_e32 v98, v98, v43, vcc
	s_waitcnt lgkmcnt(0)
	v_mul_f32_e32 v98, v98, v99
	s_cbranch_execz .LBB20_229
	s_branch .LBB20_230
.LBB20_228:
                                        ; implicit-def: $vgpr98
.LBB20_229:
	ds_read_b32 v98, v97
.LBB20_230:
	s_and_saveexec_b64 s[6:7], s[2:3]
	s_cbranch_execz .LBB20_240
; %bb.231:
	v_add_u32_e32 v99, -6, v0
	v_add_u32_e32 v100, -5, v0
	v_cmp_lt_u32_e32 vcc, 6, v99
	v_mov_b32_e32 v99, 5
	s_and_saveexec_b64 s[2:3], vcc
	s_cbranch_execz .LBB20_235
; %bb.232:
	v_and_b32_e32 v99, -8, v100
	v_sub_u32_e32 v101, 0, v99
	s_mov_b64 s[8:9], 12
	s_movk_i32 s12, 0x74
	s_mov_b64 s[10:11], 0
.LBB20_233:                             ; =>This Inner Loop Header: Depth=1
	s_add_i32 s13, s8, -7
	v_mov_b32_e32 v99, s12
	s_add_i32 s14, s8, -6
	s_set_gpr_idx_on s13, gpr_idx(SRC0)
	v_mov_b32_e32 v108, v23
	s_set_gpr_idx_off
	ds_read2_b32 v[102:103], v99 offset1:1
	s_add_i32 s15, s8, -5
	s_set_gpr_idx_on s14, gpr_idx(SRC0)
	v_mov_b32_e32 v109, v23
	s_set_gpr_idx_off
	s_add_i32 s16, s8, -4
	s_set_gpr_idx_on s15, gpr_idx(SRC0)
	v_mov_b32_e32 v110, v23
	s_set_gpr_idx_off
	ds_read2_b32 v[104:105], v99 offset0:2 offset1:3
	s_add_i32 s17, s8, -3
	s_set_gpr_idx_on s16, gpr_idx(SRC0)
	v_mov_b32_e32 v111, v23
	s_set_gpr_idx_off
	s_add_i32 s18, s8, -2
	s_set_gpr_idx_on s17, gpr_idx(SRC0)
	v_mov_b32_e32 v112, v23
	s_set_gpr_idx_off
	ds_read2_b32 v[106:107], v99 offset0:4 offset1:5
	s_add_i32 s19, s8, -1
	s_waitcnt lgkmcnt(2)
	v_fmac_f32_e32 v98, v108, v102
	s_set_gpr_idx_on s18, gpr_idx(SRC0)
	v_mov_b32_e32 v108, v23
	s_set_gpr_idx_off
	v_fmac_f32_e32 v98, v109, v103
	s_set_gpr_idx_on s19, gpr_idx(SRC0)
	v_mov_b32_e32 v109, v23
	s_set_gpr_idx_off
	ds_read2_b32 v[102:103], v99 offset0:6 offset1:7
	s_waitcnt lgkmcnt(2)
	v_fmac_f32_e32 v98, v110, v104
	s_set_gpr_idx_on s8, gpr_idx(SRC0)
	v_mov_b32_e32 v104, v23
	s_set_gpr_idx_off
	v_fmac_f32_e32 v98, v111, v105
	s_add_u32 s8, s8, 8
	s_waitcnt lgkmcnt(1)
	v_fmac_f32_e32 v98, v112, v106
	v_add_u32_e32 v99, s8, v101
	v_fmac_f32_e32 v98, v108, v107
	s_addc_u32 s9, s9, 0
	s_add_i32 s12, s12, 32
	s_add_i32 s13, s8, -7
	v_cmp_eq_u32_e32 vcc, 12, v99
	s_waitcnt lgkmcnt(0)
	v_fmac_f32_e32 v98, v109, v102
	v_mov_b32_e32 v99, s13
	s_or_b64 s[10:11], vcc, s[10:11]
	v_fmac_f32_e32 v98, v104, v103
	s_andn2_b64 exec, exec, s[10:11]
	s_cbranch_execnz .LBB20_233
; %bb.234:
	s_or_b64 exec, exec, s[10:11]
.LBB20_235:
	s_or_b64 exec, exec, s[2:3]
	v_and_b32_e32 v44, 7, v100
	v_cmp_ne_u32_e32 vcc, 0, v44
	s_and_saveexec_b64 s[8:9], vcc
	s_cbranch_execz .LBB20_239
; %bb.236:
	v_mov_b32_e32 v45, 0x60
	v_lshl_add_u32 v45, v99, 2, v45
	v_mov_b32_e32 v46, 0
	s_mov_b64 s[10:11], 0
.LBB20_237:                             ; =>This Inner Loop Header: Depth=1
	v_cmp_eq_u32_e32 vcc, 1, v99
	v_cndmask_b32_e32 v47, v23, v24, vcc
	v_add_u32_e32 v44, -1, v44
	v_cmp_eq_u32_e32 vcc, 2, v99
	v_cndmask_b32_e32 v47, v47, v25, vcc
	v_cmp_eq_u32_e32 vcc, 0, v44
	v_cmp_eq_u32_e64 s[2:3], 3, v99
	v_cndmask_b32_e64 v47, v47, v26, s[2:3]
	s_or_b64 s[10:11], vcc, s[10:11]
	v_cmp_eq_u32_e32 vcc, 4, v99
	v_cndmask_b32_e32 v47, v47, v27, vcc
	v_cmp_eq_u32_e32 vcc, 5, v99
	v_cndmask_b32_e32 v47, v47, v28, vcc
	v_cmp_eq_u32_e32 vcc, 6, v99
	v_cndmask_b32_e32 v47, v47, v29, vcc
	v_cmp_eq_u32_e32 vcc, 7, v99
	v_cndmask_b32_e32 v47, v47, v30, vcc
	v_cmp_eq_u32_e32 vcc, 8, v99
	v_cndmask_b32_e32 v47, v47, v31, vcc
	v_cmp_eq_u32_e32 vcc, 9, v99
	v_cndmask_b32_e32 v47, v47, v32, vcc
	v_cmp_eq_u32_e32 vcc, 10, v99
	v_cndmask_b32_e32 v47, v47, v33, vcc
	v_cmp_eq_u32_e32 vcc, 11, v99
	v_cndmask_b32_e32 v47, v47, v34, vcc
	v_cmp_eq_u32_e32 vcc, 12, v99
	v_cndmask_b32_e32 v47, v47, v35, vcc
	v_cmp_eq_u32_e32 vcc, 13, v99
	v_cndmask_b32_e32 v47, v47, v36, vcc
	v_cmp_eq_u32_e32 vcc, 14, v99
	v_cndmask_b32_e32 v47, v47, v37, vcc
	v_cmp_eq_u32_e32 vcc, 15, v99
	v_cndmask_b32_e32 v47, v47, v38, vcc
	v_cmp_eq_u32_e32 vcc, 16, v99
	ds_read_b32 v48, v45
	v_cndmask_b32_e32 v47, v47, v39, vcc
	v_cmp_eq_u32_e32 vcc, 17, v99
	v_cndmask_b32_e32 v47, v47, v40, vcc
	v_cmp_eq_u32_e32 vcc, 18, v99
	;; [unrolled: 2-line block ×4, first 2 shown]
	v_add_co_u32_e64 v99, s[2:3], 1, v99
	v_cndmask_b32_e32 v47, v47, v43, vcc
	v_add_u32_e32 v45, 4, v45
	v_addc_co_u32_e64 v46, s[2:3], 0, v46, s[2:3]
	s_waitcnt lgkmcnt(0)
	v_fmac_f32_e32 v98, v47, v48
	s_andn2_b64 exec, exec, s[10:11]
	s_cbranch_execnz .LBB20_237
; %bb.238:
	s_or_b64 exec, exec, s[10:11]
.LBB20_239:
	s_or_b64 exec, exec, s[8:9]
.LBB20_240:
	s_or_b64 exec, exec, s[6:7]
	v_mov_b32_e32 v27, 0
	ds_read_b32 v27, v27 offset:16
	s_waitcnt lgkmcnt(0)
	v_mul_f32_e32 v27, v98, v27
.LBB20_241:
	s_or_b64 exec, exec, s[4:5]
	v_cmp_lt_u32_e64 s[2:3], 3, v0
	ds_write_b32 v97, v26
	s_waitcnt lgkmcnt(0)
	; wave barrier
	s_and_saveexec_b64 s[4:5], s[2:3]
	s_cbranch_execz .LBB20_257
; %bb.242:
	s_andn2_b64 vcc, exec, s[46:47]
	s_cbranch_vccnz .LBB20_244
; %bb.243:
	v_cmp_eq_u32_e32 vcc, 1, v0
	v_cndmask_b32_e32 v98, v23, v24, vcc
	v_cmp_eq_u32_e32 vcc, 2, v0
	v_cndmask_b32_e32 v98, v98, v25, vcc
	;; [unrolled: 2-line block ×16, first 2 shown]
	v_cmp_eq_u32_e32 vcc, 17, v0
	ds_read_b32 v99, v97
	v_cndmask_b32_e32 v98, v98, v40, vcc
	v_cmp_eq_u32_e32 vcc, 18, v0
	v_cndmask_b32_e32 v98, v98, v41, vcc
	v_cmp_eq_u32_e32 vcc, 19, v0
	;; [unrolled: 2-line block ×3, first 2 shown]
	v_cndmask_b32_e32 v98, v98, v43, vcc
	s_waitcnt lgkmcnt(0)
	v_mul_f32_e32 v98, v98, v99
	s_cbranch_execz .LBB20_245
	s_branch .LBB20_246
.LBB20_244:
                                        ; implicit-def: $vgpr98
.LBB20_245:
	ds_read_b32 v98, v97
.LBB20_246:
	s_and_saveexec_b64 s[6:7], s[0:1]
	s_cbranch_execz .LBB20_256
; %bb.247:
	v_add_u32_e32 v99, -5, v0
	v_add_u32_e32 v100, -4, v0
	v_cmp_lt_u32_e32 vcc, 6, v99
	v_mov_b32_e32 v99, 4
	s_and_saveexec_b64 s[0:1], vcc
	s_cbranch_execz .LBB20_251
; %bb.248:
	v_and_b32_e32 v99, -8, v100
	v_sub_u32_e32 v101, 0, v99
	s_mov_b64 s[8:9], 5
	s_movk_i32 s12, 0x70
	s_mov_b64 s[10:11], 0
.LBB20_249:                             ; =>This Inner Loop Header: Depth=1
	s_add_i32 s13, s8, -1
	v_mov_b32_e32 v99, s12
	s_set_gpr_idx_on s13, gpr_idx(SRC0)
	v_mov_b32_e32 v110, v23
	s_set_gpr_idx_off
	s_add_i32 s14, s8, 1
	ds_read_b128 v[102:105], v99
	ds_read_b128 v[106:109], v99 offset:16
	s_set_gpr_idx_on s8, gpr_idx(SRC0)
	v_mov_b32_e32 v111, v23
	s_set_gpr_idx_off
	s_add_i32 s15, s8, 2
	s_set_gpr_idx_on s14, gpr_idx(SRC0)
	v_mov_b32_e32 v112, v23
	s_set_gpr_idx_off
	s_add_i32 s16, s8, 3
	;; [unrolled: 4-line block ×4, first 2 shown]
	s_waitcnt lgkmcnt(1)
	v_fmac_f32_e32 v98, v110, v102
	s_set_gpr_idx_on s17, gpr_idx(SRC0)
	v_mov_b32_e32 v102, v23
	s_set_gpr_idx_off
	s_add_i32 s19, s8, 6
	v_fmac_f32_e32 v98, v111, v103
	s_set_gpr_idx_on s18, gpr_idx(SRC0)
	v_mov_b32_e32 v103, v23
	s_set_gpr_idx_off
	v_fmac_f32_e32 v98, v112, v104
	s_set_gpr_idx_on s19, gpr_idx(SRC0)
	v_mov_b32_e32 v104, v23
	s_set_gpr_idx_off
	v_fmac_f32_e32 v98, v113, v105
	s_add_u32 s8, s8, 8
	s_waitcnt lgkmcnt(0)
	v_fmac_f32_e32 v98, v114, v106
	v_add_u32_e32 v99, s8, v101
	v_fmac_f32_e32 v98, v102, v107
	s_addc_u32 s9, s9, 0
	s_add_i32 s12, s12, 32
	s_add_i32 s13, s8, -1
	v_cmp_eq_u32_e32 vcc, 5, v99
	v_fmac_f32_e32 v98, v103, v108
	v_mov_b32_e32 v99, s13
	s_or_b64 s[10:11], vcc, s[10:11]
	v_fmac_f32_e32 v98, v104, v109
	s_andn2_b64 exec, exec, s[10:11]
	s_cbranch_execnz .LBB20_249
; %bb.250:
	s_or_b64 exec, exec, s[10:11]
.LBB20_251:
	s_or_b64 exec, exec, s[0:1]
	v_and_b32_e32 v44, 7, v100
	v_cmp_ne_u32_e32 vcc, 0, v44
	s_and_saveexec_b64 s[8:9], vcc
	s_cbranch_execz .LBB20_255
; %bb.252:
	v_mov_b32_e32 v45, 0x60
	v_lshl_add_u32 v45, v99, 2, v45
	v_mov_b32_e32 v46, 0
	s_mov_b64 s[10:11], 0
.LBB20_253:                             ; =>This Inner Loop Header: Depth=1
	v_cmp_eq_u32_e32 vcc, 1, v99
	v_cndmask_b32_e32 v47, v23, v24, vcc
	v_add_u32_e32 v44, -1, v44
	v_cmp_eq_u32_e32 vcc, 2, v99
	v_cndmask_b32_e32 v47, v47, v25, vcc
	v_cmp_eq_u32_e32 vcc, 0, v44
	v_cmp_eq_u32_e64 s[0:1], 3, v99
	v_cndmask_b32_e64 v47, v47, v26, s[0:1]
	s_or_b64 s[10:11], vcc, s[10:11]
	v_cmp_eq_u32_e32 vcc, 4, v99
	v_cndmask_b32_e32 v47, v47, v27, vcc
	v_cmp_eq_u32_e32 vcc, 5, v99
	v_cndmask_b32_e32 v47, v47, v28, vcc
	;; [unrolled: 2-line block ×12, first 2 shown]
	v_cmp_eq_u32_e32 vcc, 16, v99
	ds_read_b32 v48, v45
	v_cndmask_b32_e32 v47, v47, v39, vcc
	v_cmp_eq_u32_e32 vcc, 17, v99
	v_cndmask_b32_e32 v47, v47, v40, vcc
	v_cmp_eq_u32_e32 vcc, 18, v99
	;; [unrolled: 2-line block ×4, first 2 shown]
	v_add_co_u32_e64 v99, s[0:1], 1, v99
	v_cndmask_b32_e32 v47, v47, v43, vcc
	v_add_u32_e32 v45, 4, v45
	v_addc_co_u32_e64 v46, s[0:1], 0, v46, s[0:1]
	s_waitcnt lgkmcnt(0)
	v_fmac_f32_e32 v98, v47, v48
	s_andn2_b64 exec, exec, s[10:11]
	s_cbranch_execnz .LBB20_253
; %bb.254:
	s_or_b64 exec, exec, s[10:11]
.LBB20_255:
	s_or_b64 exec, exec, s[8:9]
.LBB20_256:
	s_or_b64 exec, exec, s[6:7]
	v_mov_b32_e32 v26, 0
	ds_read_b32 v26, v26 offset:12
	s_waitcnt lgkmcnt(0)
	v_mul_f32_e32 v26, v98, v26
.LBB20_257:
	s_or_b64 exec, exec, s[4:5]
	v_cmp_lt_u32_e64 s[0:1], 2, v0
	ds_write_b32 v97, v25
	s_waitcnt lgkmcnt(0)
	; wave barrier
	s_and_saveexec_b64 s[4:5], s[0:1]
	s_cbranch_execz .LBB20_273
; %bb.258:
	s_andn2_b64 vcc, exec, s[46:47]
	s_cbranch_vccnz .LBB20_260
; %bb.259:
	v_cmp_eq_u32_e32 vcc, 1, v0
	v_cndmask_b32_e32 v98, v23, v24, vcc
	v_cmp_eq_u32_e32 vcc, 2, v0
	v_cndmask_b32_e32 v98, v98, v25, vcc
	v_cmp_eq_u32_e32 vcc, 3, v0
	v_cndmask_b32_e32 v98, v98, v26, vcc
	v_cmp_eq_u32_e32 vcc, 4, v0
	v_cndmask_b32_e32 v98, v98, v27, vcc
	v_cmp_eq_u32_e32 vcc, 5, v0
	v_cndmask_b32_e32 v98, v98, v28, vcc
	v_cmp_eq_u32_e32 vcc, 6, v0
	v_cndmask_b32_e32 v98, v98, v29, vcc
	v_cmp_eq_u32_e32 vcc, 7, v0
	v_cndmask_b32_e32 v98, v98, v30, vcc
	v_cmp_eq_u32_e32 vcc, 8, v0
	v_cndmask_b32_e32 v98, v98, v31, vcc
	v_cmp_eq_u32_e32 vcc, 9, v0
	v_cndmask_b32_e32 v98, v98, v32, vcc
	v_cmp_eq_u32_e32 vcc, 10, v0
	v_cndmask_b32_e32 v98, v98, v33, vcc
	v_cmp_eq_u32_e32 vcc, 11, v0
	v_cndmask_b32_e32 v98, v98, v34, vcc
	v_cmp_eq_u32_e32 vcc, 12, v0
	v_cndmask_b32_e32 v98, v98, v35, vcc
	v_cmp_eq_u32_e32 vcc, 13, v0
	v_cndmask_b32_e32 v98, v98, v36, vcc
	v_cmp_eq_u32_e32 vcc, 14, v0
	v_cndmask_b32_e32 v98, v98, v37, vcc
	v_cmp_eq_u32_e32 vcc, 15, v0
	v_cndmask_b32_e32 v98, v98, v38, vcc
	v_cmp_eq_u32_e32 vcc, 16, v0
	v_cndmask_b32_e32 v98, v98, v39, vcc
	v_cmp_eq_u32_e32 vcc, 17, v0
	ds_read_b32 v99, v97
	v_cndmask_b32_e32 v98, v98, v40, vcc
	v_cmp_eq_u32_e32 vcc, 18, v0
	v_cndmask_b32_e32 v98, v98, v41, vcc
	v_cmp_eq_u32_e32 vcc, 19, v0
	;; [unrolled: 2-line block ×3, first 2 shown]
	v_cndmask_b32_e32 v98, v98, v43, vcc
	s_waitcnt lgkmcnt(0)
	v_mul_f32_e32 v98, v98, v99
	s_cbranch_execz .LBB20_261
	s_branch .LBB20_262
.LBB20_260:
                                        ; implicit-def: $vgpr98
.LBB20_261:
	ds_read_b32 v98, v97
.LBB20_262:
	s_and_saveexec_b64 s[6:7], s[2:3]
	s_cbranch_execz .LBB20_272
; %bb.263:
	v_add_u32_e32 v99, -4, v0
	v_add_u32_e32 v100, -3, v0
	v_cmp_lt_u32_e32 vcc, 6, v99
	v_mov_b32_e32 v99, 3
	s_and_saveexec_b64 s[2:3], vcc
	s_cbranch_execz .LBB20_267
; %bb.264:
	v_and_b32_e32 v99, -8, v100
	v_sub_u32_e32 v101, 0, v99
	s_mov_b64 s[8:9], 10
	s_movk_i32 s12, 0x6c
	s_mov_b64 s[10:11], 0
.LBB20_265:                             ; =>This Inner Loop Header: Depth=1
	s_add_i32 s13, s8, -7
	v_mov_b32_e32 v99, s12
	s_add_i32 s14, s8, -6
	s_set_gpr_idx_on s13, gpr_idx(SRC0)
	v_mov_b32_e32 v108, v23
	s_set_gpr_idx_off
	ds_read2_b32 v[102:103], v99 offset1:1
	s_add_i32 s15, s8, -5
	s_set_gpr_idx_on s14, gpr_idx(SRC0)
	v_mov_b32_e32 v109, v23
	s_set_gpr_idx_off
	s_add_i32 s16, s8, -4
	s_set_gpr_idx_on s15, gpr_idx(SRC0)
	v_mov_b32_e32 v110, v23
	s_set_gpr_idx_off
	ds_read2_b32 v[104:105], v99 offset0:2 offset1:3
	s_add_i32 s17, s8, -3
	s_set_gpr_idx_on s16, gpr_idx(SRC0)
	v_mov_b32_e32 v111, v23
	s_set_gpr_idx_off
	s_add_i32 s18, s8, -2
	s_set_gpr_idx_on s17, gpr_idx(SRC0)
	v_mov_b32_e32 v112, v23
	s_set_gpr_idx_off
	ds_read2_b32 v[106:107], v99 offset0:4 offset1:5
	s_add_i32 s19, s8, -1
	s_waitcnt lgkmcnt(2)
	v_fmac_f32_e32 v98, v108, v102
	s_set_gpr_idx_on s18, gpr_idx(SRC0)
	v_mov_b32_e32 v108, v23
	s_set_gpr_idx_off
	v_fmac_f32_e32 v98, v109, v103
	s_set_gpr_idx_on s19, gpr_idx(SRC0)
	v_mov_b32_e32 v109, v23
	s_set_gpr_idx_off
	ds_read2_b32 v[102:103], v99 offset0:6 offset1:7
	s_waitcnt lgkmcnt(2)
	v_fmac_f32_e32 v98, v110, v104
	s_set_gpr_idx_on s8, gpr_idx(SRC0)
	v_mov_b32_e32 v104, v23
	s_set_gpr_idx_off
	v_fmac_f32_e32 v98, v111, v105
	s_add_u32 s8, s8, 8
	s_waitcnt lgkmcnt(1)
	v_fmac_f32_e32 v98, v112, v106
	v_add_u32_e32 v99, s8, v101
	v_fmac_f32_e32 v98, v108, v107
	s_addc_u32 s9, s9, 0
	s_add_i32 s12, s12, 32
	s_add_i32 s13, s8, -7
	v_cmp_eq_u32_e32 vcc, 10, v99
	s_waitcnt lgkmcnt(0)
	v_fmac_f32_e32 v98, v109, v102
	v_mov_b32_e32 v99, s13
	s_or_b64 s[10:11], vcc, s[10:11]
	v_fmac_f32_e32 v98, v104, v103
	s_andn2_b64 exec, exec, s[10:11]
	s_cbranch_execnz .LBB20_265
; %bb.266:
	s_or_b64 exec, exec, s[10:11]
.LBB20_267:
	s_or_b64 exec, exec, s[2:3]
	v_and_b32_e32 v44, 7, v100
	v_cmp_ne_u32_e32 vcc, 0, v44
	s_and_saveexec_b64 s[8:9], vcc
	s_cbranch_execz .LBB20_271
; %bb.268:
	v_mov_b32_e32 v45, 0x60
	v_lshl_add_u32 v45, v99, 2, v45
	v_mov_b32_e32 v46, 0
	s_mov_b64 s[10:11], 0
.LBB20_269:                             ; =>This Inner Loop Header: Depth=1
	v_cmp_eq_u32_e32 vcc, 1, v99
	v_cndmask_b32_e32 v47, v23, v24, vcc
	v_add_u32_e32 v44, -1, v44
	v_cmp_eq_u32_e32 vcc, 2, v99
	v_cndmask_b32_e32 v47, v47, v25, vcc
	v_cmp_eq_u32_e32 vcc, 0, v44
	v_cmp_eq_u32_e64 s[2:3], 3, v99
	v_cndmask_b32_e64 v47, v47, v26, s[2:3]
	s_or_b64 s[10:11], vcc, s[10:11]
	v_cmp_eq_u32_e32 vcc, 4, v99
	v_cndmask_b32_e32 v47, v47, v27, vcc
	v_cmp_eq_u32_e32 vcc, 5, v99
	v_cndmask_b32_e32 v47, v47, v28, vcc
	;; [unrolled: 2-line block ×12, first 2 shown]
	v_cmp_eq_u32_e32 vcc, 16, v99
	ds_read_b32 v48, v45
	v_cndmask_b32_e32 v47, v47, v39, vcc
	v_cmp_eq_u32_e32 vcc, 17, v99
	v_cndmask_b32_e32 v47, v47, v40, vcc
	v_cmp_eq_u32_e32 vcc, 18, v99
	;; [unrolled: 2-line block ×4, first 2 shown]
	v_add_co_u32_e64 v99, s[2:3], 1, v99
	v_cndmask_b32_e32 v47, v47, v43, vcc
	v_add_u32_e32 v45, 4, v45
	v_addc_co_u32_e64 v46, s[2:3], 0, v46, s[2:3]
	s_waitcnt lgkmcnt(0)
	v_fmac_f32_e32 v98, v47, v48
	s_andn2_b64 exec, exec, s[10:11]
	s_cbranch_execnz .LBB20_269
; %bb.270:
	s_or_b64 exec, exec, s[10:11]
.LBB20_271:
	s_or_b64 exec, exec, s[8:9]
.LBB20_272:
	s_or_b64 exec, exec, s[6:7]
	v_mov_b32_e32 v25, 0
	ds_read_b32 v25, v25 offset:8
	s_waitcnt lgkmcnt(0)
	v_mul_f32_e32 v25, v98, v25
.LBB20_273:
	s_or_b64 exec, exec, s[4:5]
	v_cmp_lt_u32_e64 s[2:3], 1, v0
	ds_write_b32 v97, v24
	s_waitcnt lgkmcnt(0)
	; wave barrier
	s_and_saveexec_b64 s[4:5], s[2:3]
	s_cbranch_execz .LBB20_289
; %bb.274:
	s_andn2_b64 vcc, exec, s[46:47]
	s_cbranch_vccnz .LBB20_276
; %bb.275:
	v_cmp_eq_u32_e32 vcc, 1, v0
	v_cndmask_b32_e32 v98, v23, v24, vcc
	v_cmp_eq_u32_e32 vcc, 2, v0
	v_cndmask_b32_e32 v98, v98, v25, vcc
	;; [unrolled: 2-line block ×16, first 2 shown]
	v_cmp_eq_u32_e32 vcc, 17, v0
	ds_read_b32 v99, v97
	v_cndmask_b32_e32 v98, v98, v40, vcc
	v_cmp_eq_u32_e32 vcc, 18, v0
	v_cndmask_b32_e32 v98, v98, v41, vcc
	v_cmp_eq_u32_e32 vcc, 19, v0
	;; [unrolled: 2-line block ×3, first 2 shown]
	v_cndmask_b32_e32 v98, v98, v43, vcc
	s_waitcnt lgkmcnt(0)
	v_mul_f32_e32 v98, v98, v99
	s_cbranch_execz .LBB20_277
	s_branch .LBB20_278
.LBB20_276:
                                        ; implicit-def: $vgpr98
.LBB20_277:
	ds_read_b32 v98, v97
.LBB20_278:
	s_and_saveexec_b64 s[6:7], s[0:1]
	s_cbranch_execz .LBB20_288
; %bb.279:
	v_add_u32_e32 v99, -3, v0
	v_add_u32_e32 v100, -2, v0
	v_cmp_lt_u32_e32 vcc, 6, v99
	v_mov_b32_e32 v99, 2
	s_and_saveexec_b64 s[0:1], vcc
	s_cbranch_execz .LBB20_283
; %bb.280:
	v_and_b32_e32 v99, -8, v100
	v_sub_u32_e32 v101, 0, v99
	s_mov_b64 s[8:9], 9
	s_movk_i32 s12, 0x68
	s_mov_b64 s[10:11], 0
.LBB20_281:                             ; =>This Inner Loop Header: Depth=1
	s_add_i32 s13, s8, -7
	v_mov_b32_e32 v99, s12
	s_add_i32 s14, s8, -6
	s_set_gpr_idx_on s13, gpr_idx(SRC0)
	v_mov_b32_e32 v110, v23
	s_set_gpr_idx_off
	ds_read2_b64 v[102:105], v99 offset1:1
	s_add_i32 s15, s8, -5
	s_set_gpr_idx_on s14, gpr_idx(SRC0)
	v_mov_b32_e32 v111, v23
	s_set_gpr_idx_off
	s_add_i32 s16, s8, -4
	s_set_gpr_idx_on s15, gpr_idx(SRC0)
	v_mov_b32_e32 v112, v23
	s_set_gpr_idx_off
	;; [unrolled: 4-line block ×4, first 2 shown]
	ds_read2_b64 v[106:109], v99 offset0:2 offset1:3
	s_add_i32 s19, s8, -1
	s_waitcnt lgkmcnt(1)
	v_fmac_f32_e32 v98, v110, v102
	s_set_gpr_idx_on s18, gpr_idx(SRC0)
	v_mov_b32_e32 v102, v23
	s_set_gpr_idx_off
	v_fmac_f32_e32 v98, v111, v103
	s_set_gpr_idx_on s19, gpr_idx(SRC0)
	v_mov_b32_e32 v103, v23
	s_set_gpr_idx_off
	;; [unrolled: 4-line block ×3, first 2 shown]
	v_fmac_f32_e32 v98, v113, v105
	s_add_u32 s8, s8, 8
	s_waitcnt lgkmcnt(0)
	v_fmac_f32_e32 v98, v114, v106
	v_add_u32_e32 v99, s8, v101
	v_fmac_f32_e32 v98, v102, v107
	s_addc_u32 s9, s9, 0
	s_add_i32 s12, s12, 32
	s_add_i32 s13, s8, -7
	v_cmp_eq_u32_e32 vcc, 9, v99
	v_fmac_f32_e32 v98, v103, v108
	v_mov_b32_e32 v99, s13
	s_or_b64 s[10:11], vcc, s[10:11]
	v_fmac_f32_e32 v98, v104, v109
	s_andn2_b64 exec, exec, s[10:11]
	s_cbranch_execnz .LBB20_281
; %bb.282:
	s_or_b64 exec, exec, s[10:11]
.LBB20_283:
	s_or_b64 exec, exec, s[0:1]
	v_and_b32_e32 v44, 7, v100
	v_cmp_ne_u32_e32 vcc, 0, v44
	s_and_saveexec_b64 s[8:9], vcc
	s_cbranch_execz .LBB20_287
; %bb.284:
	v_mov_b32_e32 v45, 0x60
	v_lshl_add_u32 v45, v99, 2, v45
	v_mov_b32_e32 v46, 0
	s_mov_b64 s[10:11], 0
.LBB20_285:                             ; =>This Inner Loop Header: Depth=1
	v_cmp_eq_u32_e32 vcc, 1, v99
	v_cndmask_b32_e32 v47, v23, v24, vcc
	v_add_u32_e32 v44, -1, v44
	v_cmp_eq_u32_e32 vcc, 2, v99
	v_cndmask_b32_e32 v47, v47, v25, vcc
	v_cmp_eq_u32_e32 vcc, 0, v44
	v_cmp_eq_u32_e64 s[0:1], 3, v99
	v_cndmask_b32_e64 v47, v47, v26, s[0:1]
	s_or_b64 s[10:11], vcc, s[10:11]
	v_cmp_eq_u32_e32 vcc, 4, v99
	v_cndmask_b32_e32 v47, v47, v27, vcc
	v_cmp_eq_u32_e32 vcc, 5, v99
	v_cndmask_b32_e32 v47, v47, v28, vcc
	;; [unrolled: 2-line block ×12, first 2 shown]
	v_cmp_eq_u32_e32 vcc, 16, v99
	ds_read_b32 v48, v45
	v_cndmask_b32_e32 v47, v47, v39, vcc
	v_cmp_eq_u32_e32 vcc, 17, v99
	v_cndmask_b32_e32 v47, v47, v40, vcc
	v_cmp_eq_u32_e32 vcc, 18, v99
	;; [unrolled: 2-line block ×4, first 2 shown]
	v_add_co_u32_e64 v99, s[0:1], 1, v99
	v_cndmask_b32_e32 v47, v47, v43, vcc
	v_add_u32_e32 v45, 4, v45
	v_addc_co_u32_e64 v46, s[0:1], 0, v46, s[0:1]
	s_waitcnt lgkmcnt(0)
	v_fmac_f32_e32 v98, v47, v48
	s_andn2_b64 exec, exec, s[10:11]
	s_cbranch_execnz .LBB20_285
; %bb.286:
	s_or_b64 exec, exec, s[10:11]
.LBB20_287:
	s_or_b64 exec, exec, s[8:9]
.LBB20_288:
	s_or_b64 exec, exec, s[6:7]
	v_mov_b32_e32 v24, 0
	ds_read_b32 v24, v24 offset:4
	s_waitcnt lgkmcnt(0)
	v_mul_f32_e32 v24, v98, v24
.LBB20_289:
	s_or_b64 exec, exec, s[4:5]
	v_cmp_ne_u32_e32 vcc, 0, v0
	ds_write_b32 v97, v23
	s_waitcnt lgkmcnt(0)
	; wave barrier
	s_and_saveexec_b64 s[4:5], vcc
	s_cbranch_execz .LBB20_305
; %bb.290:
	s_andn2_b64 vcc, exec, s[46:47]
	s_cbranch_vccnz .LBB20_292
; %bb.291:
	v_cmp_eq_u32_e32 vcc, 1, v0
	v_cndmask_b32_e32 v98, v23, v24, vcc
	v_cmp_eq_u32_e32 vcc, 2, v0
	v_cndmask_b32_e32 v98, v98, v25, vcc
	;; [unrolled: 2-line block ×16, first 2 shown]
	v_cmp_eq_u32_e32 vcc, 17, v0
	ds_read_b32 v99, v97
	v_cndmask_b32_e32 v98, v98, v40, vcc
	v_cmp_eq_u32_e32 vcc, 18, v0
	v_cndmask_b32_e32 v98, v98, v41, vcc
	v_cmp_eq_u32_e32 vcc, 19, v0
	;; [unrolled: 2-line block ×3, first 2 shown]
	v_cndmask_b32_e32 v98, v98, v43, vcc
	s_waitcnt lgkmcnt(0)
	v_mul_f32_e32 v98, v98, v99
	s_cbranch_execz .LBB20_293
	s_branch .LBB20_294
.LBB20_292:
                                        ; implicit-def: $vgpr98
.LBB20_293:
	ds_read_b32 v98, v97
.LBB20_294:
	s_and_saveexec_b64 s[6:7], s[2:3]
	s_cbranch_execz .LBB20_304
; %bb.295:
	v_add_u32_e32 v99, -2, v0
	v_add_u32_e32 v100, -1, v0
	v_cmp_lt_u32_e32 vcc, 6, v99
	v_mov_b32_e32 v99, 1
	s_and_saveexec_b64 s[0:1], vcc
	s_cbranch_execz .LBB20_299
; %bb.296:
	v_and_b32_e32 v99, -8, v100
	v_sub_u32_e32 v101, 0, v99
	s_mov_b64 s[2:3], 8
	s_movk_i32 s10, 0x64
	s_mov_b64 s[8:9], 0
.LBB20_297:                             ; =>This Inner Loop Header: Depth=1
	s_add_i32 s11, s2, -7
	v_mov_b32_e32 v99, s10
	s_add_i32 s12, s2, -6
	s_set_gpr_idx_on s11, gpr_idx(SRC0)
	v_mov_b32_e32 v108, v23
	s_set_gpr_idx_off
	ds_read2_b32 v[102:103], v99 offset1:1
	s_add_i32 s13, s2, -5
	s_set_gpr_idx_on s12, gpr_idx(SRC0)
	v_mov_b32_e32 v109, v23
	s_set_gpr_idx_off
	s_add_i32 s14, s2, -4
	s_set_gpr_idx_on s13, gpr_idx(SRC0)
	v_mov_b32_e32 v110, v23
	s_set_gpr_idx_off
	ds_read2_b32 v[104:105], v99 offset0:2 offset1:3
	s_add_i32 s15, s2, -3
	s_set_gpr_idx_on s14, gpr_idx(SRC0)
	v_mov_b32_e32 v111, v23
	s_set_gpr_idx_off
	s_add_i32 s16, s2, -2
	s_set_gpr_idx_on s15, gpr_idx(SRC0)
	v_mov_b32_e32 v112, v23
	s_set_gpr_idx_off
	ds_read2_b32 v[106:107], v99 offset0:4 offset1:5
	s_add_i32 s17, s2, -1
	s_waitcnt lgkmcnt(2)
	v_fmac_f32_e32 v98, v108, v102
	s_set_gpr_idx_on s16, gpr_idx(SRC0)
	v_mov_b32_e32 v108, v23
	s_set_gpr_idx_off
	v_fmac_f32_e32 v98, v109, v103
	s_set_gpr_idx_on s17, gpr_idx(SRC0)
	v_mov_b32_e32 v109, v23
	s_set_gpr_idx_off
	ds_read2_b32 v[102:103], v99 offset0:6 offset1:7
	s_waitcnt lgkmcnt(2)
	v_fmac_f32_e32 v98, v110, v104
	s_set_gpr_idx_on s2, gpr_idx(SRC0)
	v_mov_b32_e32 v104, v23
	s_set_gpr_idx_off
	v_fmac_f32_e32 v98, v111, v105
	s_add_u32 s2, s2, 8
	s_waitcnt lgkmcnt(1)
	v_fmac_f32_e32 v98, v112, v106
	v_add_u32_e32 v99, s2, v101
	v_fmac_f32_e32 v98, v108, v107
	s_addc_u32 s3, s3, 0
	s_add_i32 s10, s10, 32
	s_add_i32 s11, s2, -7
	v_cmp_eq_u32_e32 vcc, 8, v99
	s_waitcnt lgkmcnt(0)
	v_fmac_f32_e32 v98, v109, v102
	v_mov_b32_e32 v99, s11
	s_or_b64 s[8:9], vcc, s[8:9]
	v_fmac_f32_e32 v98, v104, v103
	s_andn2_b64 exec, exec, s[8:9]
	s_cbranch_execnz .LBB20_297
; %bb.298:
	s_or_b64 exec, exec, s[8:9]
.LBB20_299:
	s_or_b64 exec, exec, s[0:1]
	v_and_b32_e32 v44, 7, v100
	v_cmp_ne_u32_e32 vcc, 0, v44
	s_and_saveexec_b64 s[2:3], vcc
	s_cbranch_execz .LBB20_303
; %bb.300:
	v_mov_b32_e32 v45, 0x60
	v_lshl_add_u32 v45, v99, 2, v45
	v_mov_b32_e32 v46, 0
	s_mov_b64 s[8:9], 0
.LBB20_301:                             ; =>This Inner Loop Header: Depth=1
	v_cmp_eq_u32_e32 vcc, 1, v99
	v_cndmask_b32_e32 v47, v23, v24, vcc
	v_add_u32_e32 v44, -1, v44
	v_cmp_eq_u32_e32 vcc, 2, v99
	v_cndmask_b32_e32 v47, v47, v25, vcc
	v_cmp_eq_u32_e32 vcc, 0, v44
	v_cmp_eq_u32_e64 s[0:1], 3, v99
	v_cndmask_b32_e64 v47, v47, v26, s[0:1]
	s_or_b64 s[8:9], vcc, s[8:9]
	v_cmp_eq_u32_e32 vcc, 4, v99
	v_cndmask_b32_e32 v47, v47, v27, vcc
	v_cmp_eq_u32_e32 vcc, 5, v99
	v_cndmask_b32_e32 v47, v47, v28, vcc
	;; [unrolled: 2-line block ×12, first 2 shown]
	v_cmp_eq_u32_e32 vcc, 16, v99
	ds_read_b32 v48, v45
	v_cndmask_b32_e32 v47, v47, v39, vcc
	v_cmp_eq_u32_e32 vcc, 17, v99
	v_cndmask_b32_e32 v47, v47, v40, vcc
	v_cmp_eq_u32_e32 vcc, 18, v99
	;; [unrolled: 2-line block ×4, first 2 shown]
	v_add_co_u32_e64 v99, s[0:1], 1, v99
	v_cndmask_b32_e32 v47, v47, v43, vcc
	v_add_u32_e32 v45, 4, v45
	v_addc_co_u32_e64 v46, s[0:1], 0, v46, s[0:1]
	s_waitcnt lgkmcnt(0)
	v_fmac_f32_e32 v98, v47, v48
	s_andn2_b64 exec, exec, s[8:9]
	s_cbranch_execnz .LBB20_301
; %bb.302:
	s_or_b64 exec, exec, s[8:9]
.LBB20_303:
	s_or_b64 exec, exec, s[2:3]
.LBB20_304:
	s_or_b64 exec, exec, s[6:7]
	v_mov_b32_e32 v23, 0
	ds_read_b32 v23, v23
	s_waitcnt lgkmcnt(0)
	v_mul_f32_e32 v23, v98, v23
.LBB20_305:
	s_or_b64 exec, exec, s[4:5]
	s_branch .LBB20_509
.LBB20_306:
	v_cmp_eq_u32_e64 s[2:3], 0, v0
	s_waitcnt vmcnt(20)
	ds_write_b32 v97, v3
	s_waitcnt lgkmcnt(0)
	; wave barrier
	s_and_saveexec_b64 s[0:1], s[2:3]
	s_cbranch_execz .LBB20_312
; %bb.307:
	s_and_b64 vcc, exec, s[46:47]
	s_cbranch_vccz .LBB20_309
; %bb.308:
	v_cmp_eq_u32_e32 vcc, 1, v0
	s_waitcnt vmcnt(4)
	v_cndmask_b32_e32 v3, v2, v3, vcc
	v_cmp_eq_u32_e32 vcc, 2, v0
	v_cndmask_b32_e32 v3, v3, v4, vcc
	v_cmp_eq_u32_e32 vcc, 3, v0
	;; [unrolled: 2-line block ×16, first 2 shown]
	ds_read_b32 v23, v97
	s_waitcnt vmcnt(3)
	v_cndmask_b32_e32 v3, v3, v19, vcc
	v_cmp_eq_u32_e32 vcc, 18, v0
	s_waitcnt vmcnt(2)
	v_cndmask_b32_e32 v3, v3, v20, vcc
	v_cmp_eq_u32_e32 vcc, 19, v0
	;; [unrolled: 3-line block ×3, first 2 shown]
	s_waitcnt vmcnt(0)
	v_cndmask_b32_e32 v3, v3, v22, vcc
	s_waitcnt lgkmcnt(0)
	v_mul_f32_e32 v3, v3, v23
	s_cbranch_execz .LBB20_310
	s_branch .LBB20_311
.LBB20_309:
                                        ; implicit-def: $vgpr3
.LBB20_310:
	ds_read_b32 v3, v97
.LBB20_311:
	v_mov_b32_e32 v23, 0
	ds_read_b32 v23, v23 offset:4
	s_waitcnt lgkmcnt(0)
	v_mul_f32_e32 v3, v3, v23
.LBB20_312:
	s_or_b64 exec, exec, s[0:1]
	v_cndmask_b32_e64 v23, 0, 1, s[46:47]
	v_cmp_gt_u32_e32 vcc, 2, v0
	v_cmp_ne_u32_e64 s[0:1], 1, v23
	s_waitcnt vmcnt(19)
	ds_write_b32 v97, v4
	s_waitcnt lgkmcnt(0)
	; wave barrier
	s_and_saveexec_b64 s[4:5], vcc
	s_cbranch_execz .LBB20_318
; %bb.313:
	s_and_b64 vcc, exec, s[0:1]
	s_cbranch_vccnz .LBB20_315
; %bb.314:
	v_cmp_eq_u32_e32 vcc, 1, v0
	s_waitcnt vmcnt(4)
	v_cndmask_b32_e32 v23, v2, v3, vcc
	v_cmp_eq_u32_e32 vcc, 2, v0
	v_cndmask_b32_e32 v4, v23, v4, vcc
	v_cmp_eq_u32_e32 vcc, 3, v0
	;; [unrolled: 2-line block ×16, first 2 shown]
	ds_read_b32 v23, v97
	s_waitcnt vmcnt(3)
	v_cndmask_b32_e32 v4, v4, v19, vcc
	v_cmp_eq_u32_e32 vcc, 18, v0
	s_waitcnt vmcnt(2)
	v_cndmask_b32_e32 v4, v4, v20, vcc
	v_cmp_eq_u32_e32 vcc, 19, v0
	;; [unrolled: 3-line block ×3, first 2 shown]
	s_waitcnt vmcnt(0)
	v_cndmask_b32_e32 v4, v4, v22, vcc
	s_waitcnt lgkmcnt(0)
	v_mul_f32_e32 v4, v4, v23
	s_cbranch_execz .LBB20_316
	s_branch .LBB20_317
.LBB20_315:
                                        ; implicit-def: $vgpr4
.LBB20_316:
	ds_read_b32 v4, v97
.LBB20_317:
	v_mov_b32_e32 v23, 0
	ds_read2_b32 v[23:24], v23 offset0:2 offset1:25
	s_waitcnt lgkmcnt(0)
	v_fma_f32 v24, v3, v24, v4
	v_cndmask_b32_e64 v4, v4, v24, s[2:3]
	v_mul_f32_e32 v4, v4, v23
.LBB20_318:
	s_or_b64 exec, exec, s[4:5]
	v_add_u32_e32 v25, 1, v0
	v_cmp_gt_u32_e64 s[4:5], 3, v0
	s_waitcnt vmcnt(18)
	ds_write_b32 v97, v5
	s_waitcnt lgkmcnt(0)
	; wave barrier
	s_and_saveexec_b64 s[6:7], s[4:5]
	s_cbranch_execz .LBB20_326
; %bb.319:
	s_and_b64 vcc, exec, s[0:1]
	s_cbranch_vccnz .LBB20_321
; %bb.320:
	v_cmp_eq_u32_e32 vcc, 1, v0
	s_waitcnt vmcnt(4)
	v_cndmask_b32_e32 v23, v2, v3, vcc
	v_cmp_eq_u32_e32 vcc, 2, v0
	v_cndmask_b32_e32 v23, v23, v4, vcc
	v_cmp_eq_u32_e32 vcc, 3, v0
	;; [unrolled: 2-line block ×16, first 2 shown]
	ds_read_b32 v24, v97
	s_waitcnt vmcnt(3)
	v_cndmask_b32_e32 v23, v23, v19, vcc
	v_cmp_eq_u32_e32 vcc, 18, v0
	s_waitcnt vmcnt(2)
	v_cndmask_b32_e32 v23, v23, v20, vcc
	v_cmp_eq_u32_e32 vcc, 19, v0
	;; [unrolled: 3-line block ×3, first 2 shown]
	s_waitcnt vmcnt(0)
	v_cndmask_b32_e32 v23, v23, v22, vcc
	s_waitcnt lgkmcnt(0)
	v_mul_f32_e32 v23, v23, v24
	s_cbranch_execz .LBB20_322
	s_branch .LBB20_323
.LBB20_321:
                                        ; implicit-def: $vgpr23
.LBB20_322:
	ds_read_b32 v23, v97
.LBB20_323:
	v_cmp_ne_u32_e32 vcc, 2, v0
	s_and_saveexec_b64 s[8:9], vcc
	s_cbranch_execz .LBB20_325
; %bb.324:
	v_cmp_eq_u32_e32 vcc, 1, v25
	s_waitcnt vmcnt(4)
	v_cndmask_b32_e32 v24, v2, v3, vcc
	v_cmp_eq_u32_e32 vcc, 2, v25
	v_cndmask_b32_e32 v24, v24, v4, vcc
	v_cmp_eq_u32_e32 vcc, 3, v25
	;; [unrolled: 2-line block ×16, first 2 shown]
	v_mov_b32_e32 v24, 0
	s_waitcnt vmcnt(3)
	v_cndmask_b32_e32 v5, v5, v19, vcc
	v_cmp_eq_u32_e32 vcc, 18, v25
	ds_read_b32 v26, v97 offset:4
	ds_read_b32 v24, v24 offset:104
	s_waitcnt vmcnt(2)
	v_cndmask_b32_e32 v5, v5, v20, vcc
	v_cmp_eq_u32_e32 vcc, 19, v25
	s_waitcnt vmcnt(1)
	v_cndmask_b32_e32 v5, v5, v21, vcc
	v_cmp_eq_u32_e32 vcc, 20, v25
	s_waitcnt vmcnt(0)
	v_cndmask_b32_e32 v5, v5, v22, vcc
	s_waitcnt lgkmcnt(1)
	v_fmac_f32_e32 v23, v5, v26
	s_waitcnt lgkmcnt(0)
	v_fma_f32 v5, v4, v24, v23
	v_cndmask_b32_e64 v23, v23, v5, s[2:3]
.LBB20_325:
	s_or_b64 exec, exec, s[8:9]
	v_mov_b32_e32 v5, 0
	ds_read_b32 v5, v5 offset:12
	s_waitcnt lgkmcnt(0)
	v_mul_f32_e32 v5, v23, v5
.LBB20_326:
	s_or_b64 exec, exec, s[6:7]
	v_cmp_gt_u32_e32 vcc, 4, v0
	s_waitcnt vmcnt(17)
	ds_write_b32 v97, v6
	s_waitcnt lgkmcnt(0)
	; wave barrier
	s_and_saveexec_b64 s[8:9], vcc
	s_cbranch_execz .LBB20_336
; %bb.327:
	s_and_b64 vcc, exec, s[0:1]
	s_cbranch_vccnz .LBB20_329
; %bb.328:
	v_cmp_eq_u32_e32 vcc, 1, v0
	s_waitcnt vmcnt(4)
	v_cndmask_b32_e32 v23, v2, v3, vcc
	v_cmp_eq_u32_e32 vcc, 2, v0
	v_cndmask_b32_e32 v23, v23, v4, vcc
	v_cmp_eq_u32_e32 vcc, 3, v0
	;; [unrolled: 2-line block ×16, first 2 shown]
	ds_read_b32 v24, v97
	s_waitcnt vmcnt(3)
	v_cndmask_b32_e32 v23, v23, v19, vcc
	v_cmp_eq_u32_e32 vcc, 18, v0
	s_waitcnt vmcnt(2)
	v_cndmask_b32_e32 v23, v23, v20, vcc
	v_cmp_eq_u32_e32 vcc, 19, v0
	s_waitcnt vmcnt(1)
	v_cndmask_b32_e32 v23, v23, v21, vcc
	v_cmp_eq_u32_e32 vcc, 20, v0
	s_waitcnt vmcnt(0)
	v_cndmask_b32_e32 v23, v23, v22, vcc
	s_waitcnt lgkmcnt(0)
	v_mul_f32_e32 v26, v23, v24
	s_cbranch_execz .LBB20_330
	s_branch .LBB20_331
.LBB20_329:
                                        ; implicit-def: $vgpr26
.LBB20_330:
	ds_read_b32 v26, v97
.LBB20_331:
	v_cmp_ne_u32_e32 vcc, 3, v0
	s_and_saveexec_b64 s[10:11], vcc
	s_cbranch_execz .LBB20_335
; %bb.332:
	v_mov_b32_e32 v23, 0x64
	v_lshl_add_u32 v27, v0, 2, v23
	v_mov_b32_e32 v24, v1
	s_mov_b64 s[12:13], 0
	v_mov_b32_e32 v23, v0
.LBB20_333:                             ; =>This Inner Loop Header: Depth=1
	v_add_co_u32_e32 v23, vcc, 1, v23
	v_addc_co_u32_e32 v24, vcc, 0, v24, vcc
	v_cmp_eq_u32_e32 vcc, 1, v23
	s_waitcnt vmcnt(4)
	v_cndmask_b32_e32 v29, v2, v3, vcc
	v_cmp_lt_u32_e32 vcc, 2, v23
	v_cmp_eq_u32_e64 s[6:7], 2, v23
	v_cndmask_b32_e64 v29, v29, v4, s[6:7]
	s_or_b64 s[12:13], vcc, s[12:13]
	v_cmp_eq_u32_e32 vcc, 3, v23
	v_cndmask_b32_e32 v29, v29, v5, vcc
	v_cmp_eq_u32_e32 vcc, 4, v23
	v_cndmask_b32_e32 v29, v29, v6, vcc
	;; [unrolled: 2-line block ×13, first 2 shown]
	v_cmp_eq_u32_e32 vcc, 16, v23
	ds_read_b32 v28, v27
	v_cndmask_b32_e32 v29, v29, v18, vcc
	v_cmp_eq_u32_e32 vcc, 17, v23
	s_waitcnt vmcnt(3)
	v_cndmask_b32_e32 v29, v29, v19, vcc
	v_cmp_eq_u32_e32 vcc, 18, v23
	s_waitcnt vmcnt(2)
	v_cndmask_b32_e32 v29, v29, v20, vcc
	v_cmp_eq_u32_e32 vcc, 19, v23
	s_waitcnt vmcnt(1)
	v_cndmask_b32_e32 v29, v29, v21, vcc
	v_cmp_eq_u32_e32 vcc, 20, v23
	s_waitcnt vmcnt(0)
	v_cndmask_b32_e32 v29, v29, v22, vcc
	v_add_u32_e32 v27, 4, v27
	s_waitcnt lgkmcnt(0)
	v_fmac_f32_e32 v26, v29, v28
	s_andn2_b64 exec, exec, s[12:13]
	s_cbranch_execnz .LBB20_333
; %bb.334:
	s_or_b64 exec, exec, s[12:13]
.LBB20_335:
	s_or_b64 exec, exec, s[10:11]
	v_mov_b32_e32 v6, 0
	ds_read_b32 v6, v6 offset:16
	s_waitcnt lgkmcnt(0)
	v_mul_f32_e32 v6, v26, v6
.LBB20_336:
	s_or_b64 exec, exec, s[8:9]
	v_cmp_gt_u32_e64 s[6:7], 5, v0
	s_waitcnt vmcnt(16)
	ds_write_b32 v97, v7
	s_waitcnt lgkmcnt(0)
	; wave barrier
	s_and_saveexec_b64 s[10:11], s[6:7]
	s_cbranch_execz .LBB20_346
; %bb.337:
	s_and_b64 vcc, exec, s[0:1]
	s_cbranch_vccnz .LBB20_339
; %bb.338:
	v_cmp_eq_u32_e32 vcc, 1, v0
	s_waitcnt vmcnt(4)
	v_cndmask_b32_e32 v23, v2, v3, vcc
	v_cmp_eq_u32_e32 vcc, 2, v0
	v_cndmask_b32_e32 v23, v23, v4, vcc
	v_cmp_eq_u32_e32 vcc, 3, v0
	;; [unrolled: 2-line block ×16, first 2 shown]
	ds_read_b32 v24, v97
	s_waitcnt vmcnt(3)
	v_cndmask_b32_e32 v23, v23, v19, vcc
	v_cmp_eq_u32_e32 vcc, 18, v0
	s_waitcnt vmcnt(2)
	v_cndmask_b32_e32 v23, v23, v20, vcc
	v_cmp_eq_u32_e32 vcc, 19, v0
	;; [unrolled: 3-line block ×3, first 2 shown]
	s_waitcnt vmcnt(0)
	v_cndmask_b32_e32 v23, v23, v22, vcc
	s_waitcnt lgkmcnt(0)
	v_mul_f32_e32 v26, v23, v24
	s_cbranch_execz .LBB20_340
	s_branch .LBB20_341
.LBB20_339:
                                        ; implicit-def: $vgpr26
.LBB20_340:
	ds_read_b32 v26, v97
.LBB20_341:
	v_cmp_ne_u32_e32 vcc, 4, v0
	s_and_saveexec_b64 s[12:13], vcc
	s_cbranch_execz .LBB20_345
; %bb.342:
	v_mov_b32_e32 v23, 0x64
	v_lshl_add_u32 v27, v0, 2, v23
	v_mov_b32_e32 v24, v1
	s_mov_b64 s[14:15], 0
	v_mov_b32_e32 v23, v0
.LBB20_343:                             ; =>This Inner Loop Header: Depth=1
	v_add_co_u32_e32 v23, vcc, 1, v23
	v_addc_co_u32_e32 v24, vcc, 0, v24, vcc
	v_cmp_eq_u32_e32 vcc, 1, v23
	s_waitcnt vmcnt(4)
	v_cndmask_b32_e32 v29, v2, v3, vcc
	v_cmp_lt_u32_e32 vcc, 3, v23
	v_cmp_eq_u32_e64 s[8:9], 2, v23
	v_cndmask_b32_e64 v29, v29, v4, s[8:9]
	s_or_b64 s[14:15], vcc, s[14:15]
	v_cmp_eq_u32_e32 vcc, 3, v23
	v_cndmask_b32_e32 v29, v29, v5, vcc
	v_cmp_eq_u32_e32 vcc, 4, v23
	v_cndmask_b32_e32 v29, v29, v6, vcc
	;; [unrolled: 2-line block ×13, first 2 shown]
	v_cmp_eq_u32_e32 vcc, 16, v23
	ds_read_b32 v28, v27
	v_cndmask_b32_e32 v29, v29, v18, vcc
	v_cmp_eq_u32_e32 vcc, 17, v23
	s_waitcnt vmcnt(3)
	v_cndmask_b32_e32 v29, v29, v19, vcc
	v_cmp_eq_u32_e32 vcc, 18, v23
	s_waitcnt vmcnt(2)
	;; [unrolled: 3-line block ×4, first 2 shown]
	v_cndmask_b32_e32 v29, v29, v22, vcc
	v_add_u32_e32 v27, 4, v27
	s_waitcnt lgkmcnt(0)
	v_fmac_f32_e32 v26, v29, v28
	s_andn2_b64 exec, exec, s[14:15]
	s_cbranch_execnz .LBB20_343
; %bb.344:
	s_or_b64 exec, exec, s[14:15]
.LBB20_345:
	s_or_b64 exec, exec, s[12:13]
	v_mov_b32_e32 v7, 0
	ds_read_b32 v7, v7 offset:20
	s_waitcnt lgkmcnt(0)
	v_mul_f32_e32 v7, v26, v7
.LBB20_346:
	s_or_b64 exec, exec, s[10:11]
	v_cmp_gt_u32_e32 vcc, 6, v0
	s_waitcnt vmcnt(15)
	ds_write_b32 v97, v8
	s_waitcnt lgkmcnt(0)
	; wave barrier
	s_and_saveexec_b64 s[10:11], vcc
	s_cbranch_execz .LBB20_356
; %bb.347:
	s_and_b64 vcc, exec, s[0:1]
	s_cbranch_vccnz .LBB20_349
; %bb.348:
	v_cmp_eq_u32_e32 vcc, 1, v0
	s_waitcnt vmcnt(4)
	v_cndmask_b32_e32 v23, v2, v3, vcc
	v_cmp_eq_u32_e32 vcc, 2, v0
	v_cndmask_b32_e32 v23, v23, v4, vcc
	v_cmp_eq_u32_e32 vcc, 3, v0
	;; [unrolled: 2-line block ×16, first 2 shown]
	ds_read_b32 v24, v97
	s_waitcnt vmcnt(3)
	v_cndmask_b32_e32 v23, v23, v19, vcc
	v_cmp_eq_u32_e32 vcc, 18, v0
	s_waitcnt vmcnt(2)
	v_cndmask_b32_e32 v23, v23, v20, vcc
	v_cmp_eq_u32_e32 vcc, 19, v0
	;; [unrolled: 3-line block ×3, first 2 shown]
	s_waitcnt vmcnt(0)
	v_cndmask_b32_e32 v23, v23, v22, vcc
	s_waitcnt lgkmcnt(0)
	v_mul_f32_e32 v26, v23, v24
	s_cbranch_execz .LBB20_350
	s_branch .LBB20_351
.LBB20_349:
                                        ; implicit-def: $vgpr26
.LBB20_350:
	ds_read_b32 v26, v97
.LBB20_351:
	v_cmp_ne_u32_e32 vcc, 5, v0
	s_and_saveexec_b64 s[12:13], vcc
	s_cbranch_execz .LBB20_355
; %bb.352:
	v_mov_b32_e32 v23, 0x64
	v_lshl_add_u32 v27, v0, 2, v23
	v_mov_b32_e32 v24, v1
	s_mov_b64 s[14:15], 0
	v_mov_b32_e32 v23, v0
.LBB20_353:                             ; =>This Inner Loop Header: Depth=1
	v_add_co_u32_e32 v23, vcc, 1, v23
	v_addc_co_u32_e32 v24, vcc, 0, v24, vcc
	v_cmp_eq_u32_e32 vcc, 1, v23
	s_waitcnt vmcnt(4)
	v_cndmask_b32_e32 v29, v2, v3, vcc
	v_cmp_lt_u32_e32 vcc, 4, v23
	v_cmp_eq_u32_e64 s[8:9], 2, v23
	v_cndmask_b32_e64 v29, v29, v4, s[8:9]
	s_or_b64 s[14:15], vcc, s[14:15]
	v_cmp_eq_u32_e32 vcc, 3, v23
	v_cndmask_b32_e32 v29, v29, v5, vcc
	v_cmp_eq_u32_e32 vcc, 4, v23
	v_cndmask_b32_e32 v29, v29, v6, vcc
	;; [unrolled: 2-line block ×13, first 2 shown]
	v_cmp_eq_u32_e32 vcc, 16, v23
	ds_read_b32 v28, v27
	v_cndmask_b32_e32 v29, v29, v18, vcc
	v_cmp_eq_u32_e32 vcc, 17, v23
	s_waitcnt vmcnt(3)
	v_cndmask_b32_e32 v29, v29, v19, vcc
	v_cmp_eq_u32_e32 vcc, 18, v23
	s_waitcnt vmcnt(2)
	;; [unrolled: 3-line block ×4, first 2 shown]
	v_cndmask_b32_e32 v29, v29, v22, vcc
	v_add_u32_e32 v27, 4, v27
	s_waitcnt lgkmcnt(0)
	v_fmac_f32_e32 v26, v29, v28
	s_andn2_b64 exec, exec, s[14:15]
	s_cbranch_execnz .LBB20_353
; %bb.354:
	s_or_b64 exec, exec, s[14:15]
.LBB20_355:
	s_or_b64 exec, exec, s[12:13]
	v_mov_b32_e32 v8, 0
	ds_read_b32 v8, v8 offset:24
	s_waitcnt lgkmcnt(0)
	v_mul_f32_e32 v8, v26, v8
.LBB20_356:
	s_or_b64 exec, exec, s[10:11]
	v_cmp_gt_u32_e64 s[8:9], 7, v0
	s_waitcnt vmcnt(14)
	ds_write_b32 v97, v9
	s_waitcnt lgkmcnt(0)
	; wave barrier
	s_and_saveexec_b64 s[12:13], s[8:9]
	s_cbranch_execz .LBB20_366
; %bb.357:
	s_and_b64 vcc, exec, s[0:1]
	s_cbranch_vccnz .LBB20_359
; %bb.358:
	v_cmp_eq_u32_e32 vcc, 1, v0
	s_waitcnt vmcnt(4)
	v_cndmask_b32_e32 v23, v2, v3, vcc
	v_cmp_eq_u32_e32 vcc, 2, v0
	v_cndmask_b32_e32 v23, v23, v4, vcc
	v_cmp_eq_u32_e32 vcc, 3, v0
	;; [unrolled: 2-line block ×16, first 2 shown]
	ds_read_b32 v24, v97
	s_waitcnt vmcnt(3)
	v_cndmask_b32_e32 v23, v23, v19, vcc
	v_cmp_eq_u32_e32 vcc, 18, v0
	s_waitcnt vmcnt(2)
	v_cndmask_b32_e32 v23, v23, v20, vcc
	v_cmp_eq_u32_e32 vcc, 19, v0
	;; [unrolled: 3-line block ×3, first 2 shown]
	s_waitcnt vmcnt(0)
	v_cndmask_b32_e32 v23, v23, v22, vcc
	s_waitcnt lgkmcnt(0)
	v_mul_f32_e32 v26, v23, v24
	s_cbranch_execz .LBB20_360
	s_branch .LBB20_361
.LBB20_359:
                                        ; implicit-def: $vgpr26
.LBB20_360:
	ds_read_b32 v26, v97
.LBB20_361:
	v_cmp_ne_u32_e32 vcc, 6, v0
	s_and_saveexec_b64 s[14:15], vcc
	s_cbranch_execz .LBB20_365
; %bb.362:
	v_mov_b32_e32 v23, 0x64
	v_lshl_add_u32 v27, v0, 2, v23
	v_mov_b32_e32 v24, v1
	s_mov_b64 s[16:17], 0
	v_mov_b32_e32 v23, v0
.LBB20_363:                             ; =>This Inner Loop Header: Depth=1
	v_add_co_u32_e32 v23, vcc, 1, v23
	v_addc_co_u32_e32 v24, vcc, 0, v24, vcc
	v_cmp_eq_u32_e32 vcc, 1, v23
	s_waitcnt vmcnt(4)
	v_cndmask_b32_e32 v29, v2, v3, vcc
	v_cmp_lt_u32_e32 vcc, 5, v23
	v_cmp_eq_u32_e64 s[10:11], 2, v23
	v_cndmask_b32_e64 v29, v29, v4, s[10:11]
	s_or_b64 s[16:17], vcc, s[16:17]
	v_cmp_eq_u32_e32 vcc, 3, v23
	v_cndmask_b32_e32 v29, v29, v5, vcc
	v_cmp_eq_u32_e32 vcc, 4, v23
	v_cndmask_b32_e32 v29, v29, v6, vcc
	v_cmp_eq_u32_e32 vcc, 5, v23
	v_cndmask_b32_e32 v29, v29, v7, vcc
	v_cmp_eq_u32_e32 vcc, 6, v23
	v_cndmask_b32_e32 v29, v29, v8, vcc
	v_cmp_eq_u32_e32 vcc, 7, v23
	v_cndmask_b32_e32 v29, v29, v9, vcc
	v_cmp_eq_u32_e32 vcc, 8, v23
	v_cndmask_b32_e32 v29, v29, v10, vcc
	v_cmp_eq_u32_e32 vcc, 9, v23
	v_cndmask_b32_e32 v29, v29, v11, vcc
	v_cmp_eq_u32_e32 vcc, 10, v23
	v_cndmask_b32_e32 v29, v29, v12, vcc
	v_cmp_eq_u32_e32 vcc, 11, v23
	v_cndmask_b32_e32 v29, v29, v13, vcc
	v_cmp_eq_u32_e32 vcc, 12, v23
	v_cndmask_b32_e32 v29, v29, v14, vcc
	v_cmp_eq_u32_e32 vcc, 13, v23
	v_cndmask_b32_e32 v29, v29, v15, vcc
	v_cmp_eq_u32_e32 vcc, 14, v23
	v_cndmask_b32_e32 v29, v29, v16, vcc
	v_cmp_eq_u32_e32 vcc, 15, v23
	v_cndmask_b32_e32 v29, v29, v17, vcc
	v_cmp_eq_u32_e32 vcc, 16, v23
	ds_read_b32 v28, v27
	v_cndmask_b32_e32 v29, v29, v18, vcc
	v_cmp_eq_u32_e32 vcc, 17, v23
	s_waitcnt vmcnt(3)
	v_cndmask_b32_e32 v29, v29, v19, vcc
	v_cmp_eq_u32_e32 vcc, 18, v23
	s_waitcnt vmcnt(2)
	;; [unrolled: 3-line block ×4, first 2 shown]
	v_cndmask_b32_e32 v29, v29, v22, vcc
	v_add_u32_e32 v27, 4, v27
	s_waitcnt lgkmcnt(0)
	v_fmac_f32_e32 v26, v29, v28
	s_andn2_b64 exec, exec, s[16:17]
	s_cbranch_execnz .LBB20_363
; %bb.364:
	s_or_b64 exec, exec, s[16:17]
.LBB20_365:
	s_or_b64 exec, exec, s[14:15]
	v_mov_b32_e32 v9, 0
	ds_read_b32 v9, v9 offset:28
	s_waitcnt lgkmcnt(0)
	v_mul_f32_e32 v9, v26, v9
.LBB20_366:
	s_or_b64 exec, exec, s[12:13]
	v_cmp_gt_u32_e32 vcc, 8, v0
	s_waitcnt vmcnt(13)
	ds_write_b32 v97, v10
	s_waitcnt lgkmcnt(0)
	; wave barrier
	s_and_saveexec_b64 s[12:13], vcc
	s_cbranch_execz .LBB20_376
; %bb.367:
	s_and_b64 vcc, exec, s[0:1]
	s_cbranch_vccnz .LBB20_369
; %bb.368:
	v_cmp_eq_u32_e32 vcc, 1, v0
	s_waitcnt vmcnt(4)
	v_cndmask_b32_e32 v23, v2, v3, vcc
	v_cmp_eq_u32_e32 vcc, 2, v0
	v_cndmask_b32_e32 v23, v23, v4, vcc
	v_cmp_eq_u32_e32 vcc, 3, v0
	v_cndmask_b32_e32 v23, v23, v5, vcc
	v_cmp_eq_u32_e32 vcc, 4, v0
	v_cndmask_b32_e32 v23, v23, v6, vcc
	v_cmp_eq_u32_e32 vcc, 5, v0
	v_cndmask_b32_e32 v23, v23, v7, vcc
	v_cmp_eq_u32_e32 vcc, 6, v0
	v_cndmask_b32_e32 v23, v23, v8, vcc
	v_cmp_eq_u32_e32 vcc, 7, v0
	v_cndmask_b32_e32 v23, v23, v9, vcc
	v_cmp_eq_u32_e32 vcc, 8, v0
	v_cndmask_b32_e32 v23, v23, v10, vcc
	v_cmp_eq_u32_e32 vcc, 9, v0
	v_cndmask_b32_e32 v23, v23, v11, vcc
	v_cmp_eq_u32_e32 vcc, 10, v0
	v_cndmask_b32_e32 v23, v23, v12, vcc
	v_cmp_eq_u32_e32 vcc, 11, v0
	v_cndmask_b32_e32 v23, v23, v13, vcc
	v_cmp_eq_u32_e32 vcc, 12, v0
	v_cndmask_b32_e32 v23, v23, v14, vcc
	v_cmp_eq_u32_e32 vcc, 13, v0
	v_cndmask_b32_e32 v23, v23, v15, vcc
	v_cmp_eq_u32_e32 vcc, 14, v0
	v_cndmask_b32_e32 v23, v23, v16, vcc
	v_cmp_eq_u32_e32 vcc, 15, v0
	v_cndmask_b32_e32 v23, v23, v17, vcc
	v_cmp_eq_u32_e32 vcc, 16, v0
	v_cndmask_b32_e32 v23, v23, v18, vcc
	v_cmp_eq_u32_e32 vcc, 17, v0
	ds_read_b32 v24, v97
	s_waitcnt vmcnt(3)
	v_cndmask_b32_e32 v23, v23, v19, vcc
	v_cmp_eq_u32_e32 vcc, 18, v0
	s_waitcnt vmcnt(2)
	v_cndmask_b32_e32 v23, v23, v20, vcc
	v_cmp_eq_u32_e32 vcc, 19, v0
	s_waitcnt vmcnt(1)
	v_cndmask_b32_e32 v23, v23, v21, vcc
	v_cmp_eq_u32_e32 vcc, 20, v0
	s_waitcnt vmcnt(0)
	v_cndmask_b32_e32 v23, v23, v22, vcc
	s_waitcnt lgkmcnt(0)
	v_mul_f32_e32 v26, v23, v24
	s_cbranch_execz .LBB20_370
	s_branch .LBB20_371
.LBB20_369:
                                        ; implicit-def: $vgpr26
.LBB20_370:
	ds_read_b32 v26, v97
.LBB20_371:
	v_cmp_ne_u32_e32 vcc, 7, v0
	s_and_saveexec_b64 s[14:15], vcc
	s_cbranch_execz .LBB20_375
; %bb.372:
	v_mov_b32_e32 v23, 0x64
	v_lshl_add_u32 v27, v0, 2, v23
	v_mov_b32_e32 v24, v1
	s_mov_b64 s[16:17], 0
	v_mov_b32_e32 v23, v0
.LBB20_373:                             ; =>This Inner Loop Header: Depth=1
	v_add_co_u32_e32 v23, vcc, 1, v23
	v_addc_co_u32_e32 v24, vcc, 0, v24, vcc
	v_cmp_eq_u32_e32 vcc, 1, v23
	s_waitcnt vmcnt(4)
	v_cndmask_b32_e32 v29, v2, v3, vcc
	v_cmp_lt_u32_e32 vcc, 6, v23
	v_cmp_eq_u32_e64 s[10:11], 2, v23
	v_cndmask_b32_e64 v29, v29, v4, s[10:11]
	s_or_b64 s[16:17], vcc, s[16:17]
	v_cmp_eq_u32_e32 vcc, 3, v23
	v_cndmask_b32_e32 v29, v29, v5, vcc
	v_cmp_eq_u32_e32 vcc, 4, v23
	v_cndmask_b32_e32 v29, v29, v6, vcc
	;; [unrolled: 2-line block ×13, first 2 shown]
	v_cmp_eq_u32_e32 vcc, 16, v23
	ds_read_b32 v28, v27
	v_cndmask_b32_e32 v29, v29, v18, vcc
	v_cmp_eq_u32_e32 vcc, 17, v23
	s_waitcnt vmcnt(3)
	v_cndmask_b32_e32 v29, v29, v19, vcc
	v_cmp_eq_u32_e32 vcc, 18, v23
	s_waitcnt vmcnt(2)
	;; [unrolled: 3-line block ×4, first 2 shown]
	v_cndmask_b32_e32 v29, v29, v22, vcc
	v_add_u32_e32 v27, 4, v27
	s_waitcnt lgkmcnt(0)
	v_fmac_f32_e32 v26, v29, v28
	s_andn2_b64 exec, exec, s[16:17]
	s_cbranch_execnz .LBB20_373
; %bb.374:
	s_or_b64 exec, exec, s[16:17]
.LBB20_375:
	s_or_b64 exec, exec, s[14:15]
	v_mov_b32_e32 v10, 0
	ds_read_b32 v10, v10 offset:32
	s_waitcnt lgkmcnt(0)
	v_mul_f32_e32 v10, v26, v10
.LBB20_376:
	s_or_b64 exec, exec, s[12:13]
	v_cmp_gt_u32_e32 vcc, 9, v0
	s_waitcnt vmcnt(12)
	ds_write_b32 v97, v11
	s_waitcnt lgkmcnt(0)
	; wave barrier
	s_and_saveexec_b64 s[10:11], vcc
	s_cbranch_execz .LBB20_398
; %bb.377:
	s_and_b64 vcc, exec, s[0:1]
	s_cbranch_vccnz .LBB20_379
; %bb.378:
	v_cmp_eq_u32_e32 vcc, 1, v0
	s_waitcnt vmcnt(4)
	v_cndmask_b32_e32 v23, v2, v3, vcc
	v_cmp_eq_u32_e32 vcc, 2, v0
	v_cndmask_b32_e32 v23, v23, v4, vcc
	v_cmp_eq_u32_e32 vcc, 3, v0
	;; [unrolled: 2-line block ×16, first 2 shown]
	ds_read_b32 v24, v97
	s_waitcnt vmcnt(3)
	v_cndmask_b32_e32 v23, v23, v19, vcc
	v_cmp_eq_u32_e32 vcc, 18, v0
	s_waitcnt vmcnt(2)
	v_cndmask_b32_e32 v23, v23, v20, vcc
	v_cmp_eq_u32_e32 vcc, 19, v0
	;; [unrolled: 3-line block ×3, first 2 shown]
	s_waitcnt vmcnt(0)
	v_cndmask_b32_e32 v23, v23, v22, vcc
	s_waitcnt lgkmcnt(0)
	v_mul_f32_e32 v23, v23, v24
	s_cbranch_execz .LBB20_380
	s_branch .LBB20_381
.LBB20_379:
                                        ; implicit-def: $vgpr23
.LBB20_380:
	ds_read_b32 v23, v97
.LBB20_381:
	v_cmp_ne_u32_e32 vcc, 8, v0
	s_and_saveexec_b64 s[12:13], vcc
	s_cbranch_execz .LBB20_397
; %bb.382:
	v_cmp_eq_u32_e32 vcc, 1, v25
	s_waitcnt vmcnt(4)
	v_cndmask_b32_e32 v24, v2, v3, vcc
	v_cmp_eq_u32_e32 vcc, 2, v25
	v_cndmask_b32_e32 v24, v24, v4, vcc
	v_cmp_eq_u32_e32 vcc, 3, v25
	;; [unrolled: 2-line block ×16, first 2 shown]
	ds_read_b32 v26, v97 offset:4
	s_waitcnt vmcnt(3)
	v_cndmask_b32_e32 v24, v24, v19, vcc
	v_cmp_eq_u32_e32 vcc, 18, v25
	s_waitcnt vmcnt(2)
	v_cndmask_b32_e32 v24, v24, v20, vcc
	v_cmp_eq_u32_e32 vcc, 19, v25
	;; [unrolled: 3-line block ×3, first 2 shown]
	s_waitcnt vmcnt(0)
	v_cndmask_b32_e32 v24, v24, v22, vcc
	s_waitcnt lgkmcnt(0)
	v_fmac_f32_e32 v23, v24, v26
	s_and_saveexec_b64 s[14:15], s[8:9]
	s_cbranch_execz .LBB20_396
; %bb.383:
	v_add_u32_e32 v24, 2, v0
	v_cmp_eq_u32_e32 vcc, 1, v24
	v_cndmask_b32_e32 v25, v2, v3, vcc
	v_cmp_eq_u32_e32 vcc, 2, v24
	v_cndmask_b32_e32 v25, v25, v4, vcc
	;; [unrolled: 2-line block ×16, first 2 shown]
	v_cmp_eq_u32_e32 vcc, 17, v24
	ds_read_b32 v26, v97 offset:8
	v_cndmask_b32_e32 v25, v25, v19, vcc
	v_cmp_eq_u32_e32 vcc, 18, v24
	v_cndmask_b32_e32 v25, v25, v20, vcc
	v_cmp_eq_u32_e32 vcc, 19, v24
	;; [unrolled: 2-line block ×3, first 2 shown]
	v_cndmask_b32_e32 v24, v25, v22, vcc
	s_waitcnt lgkmcnt(0)
	v_fmac_f32_e32 v23, v24, v26
	v_cmp_ne_u32_e32 vcc, 6, v0
	s_and_saveexec_b64 s[8:9], vcc
	s_cbranch_execz .LBB20_395
; %bb.384:
	v_add_u32_e32 v24, 3, v0
	v_cmp_eq_u32_e32 vcc, 1, v24
	v_cndmask_b32_e32 v25, v2, v3, vcc
	v_cmp_eq_u32_e32 vcc, 2, v24
	v_cndmask_b32_e32 v25, v25, v4, vcc
	;; [unrolled: 2-line block ×16, first 2 shown]
	v_cmp_eq_u32_e32 vcc, 17, v24
	ds_read_b32 v26, v97 offset:12
	v_cndmask_b32_e32 v25, v25, v19, vcc
	v_cmp_eq_u32_e32 vcc, 18, v24
	v_cndmask_b32_e32 v25, v25, v20, vcc
	v_cmp_eq_u32_e32 vcc, 19, v24
	;; [unrolled: 2-line block ×3, first 2 shown]
	v_cndmask_b32_e32 v24, v25, v22, vcc
	s_waitcnt lgkmcnt(0)
	v_fmac_f32_e32 v23, v24, v26
	s_and_saveexec_b64 s[16:17], s[6:7]
	s_cbranch_execz .LBB20_394
; %bb.385:
	v_add_u32_e32 v24, 4, v0
	v_cmp_eq_u32_e32 vcc, 1, v24
	v_cndmask_b32_e32 v25, v2, v3, vcc
	v_cmp_eq_u32_e32 vcc, 2, v24
	v_cndmask_b32_e32 v25, v25, v4, vcc
	v_cmp_eq_u32_e32 vcc, 3, v24
	v_cndmask_b32_e32 v25, v25, v5, vcc
	v_cmp_eq_u32_e32 vcc, 4, v24
	v_cndmask_b32_e32 v25, v25, v6, vcc
	v_cmp_eq_u32_e32 vcc, 5, v24
	v_cndmask_b32_e32 v25, v25, v7, vcc
	v_cmp_eq_u32_e32 vcc, 6, v24
	v_cndmask_b32_e32 v25, v25, v8, vcc
	v_cmp_eq_u32_e32 vcc, 7, v24
	v_cndmask_b32_e32 v25, v25, v9, vcc
	v_cmp_eq_u32_e32 vcc, 8, v24
	v_cndmask_b32_e32 v25, v25, v10, vcc
	v_cmp_eq_u32_e32 vcc, 9, v24
	v_cndmask_b32_e32 v25, v25, v11, vcc
	v_cmp_eq_u32_e32 vcc, 10, v24
	v_cndmask_b32_e32 v25, v25, v12, vcc
	v_cmp_eq_u32_e32 vcc, 11, v24
	v_cndmask_b32_e32 v25, v25, v13, vcc
	v_cmp_eq_u32_e32 vcc, 12, v24
	v_cndmask_b32_e32 v25, v25, v14, vcc
	v_cmp_eq_u32_e32 vcc, 13, v24
	v_cndmask_b32_e32 v25, v25, v15, vcc
	v_cmp_eq_u32_e32 vcc, 14, v24
	v_cndmask_b32_e32 v25, v25, v16, vcc
	v_cmp_eq_u32_e32 vcc, 15, v24
	v_cndmask_b32_e32 v25, v25, v17, vcc
	v_cmp_eq_u32_e32 vcc, 16, v24
	v_cndmask_b32_e32 v25, v25, v18, vcc
	v_cmp_eq_u32_e32 vcc, 17, v24
	ds_read_b32 v26, v97 offset:16
	v_cndmask_b32_e32 v25, v25, v19, vcc
	v_cmp_eq_u32_e32 vcc, 18, v24
	v_cndmask_b32_e32 v25, v25, v20, vcc
	v_cmp_eq_u32_e32 vcc, 19, v24
	;; [unrolled: 2-line block ×3, first 2 shown]
	v_cndmask_b32_e32 v24, v25, v22, vcc
	s_waitcnt lgkmcnt(0)
	v_fmac_f32_e32 v23, v24, v26
	v_cmp_ne_u32_e32 vcc, 4, v0
	s_and_saveexec_b64 s[6:7], vcc
	s_cbranch_execz .LBB20_393
; %bb.386:
	v_add_u32_e32 v24, 5, v0
	v_cmp_eq_u32_e32 vcc, 1, v24
	v_cndmask_b32_e32 v25, v2, v3, vcc
	v_cmp_eq_u32_e32 vcc, 2, v24
	v_cndmask_b32_e32 v25, v25, v4, vcc
	;; [unrolled: 2-line block ×16, first 2 shown]
	v_cmp_eq_u32_e32 vcc, 17, v24
	ds_read_b32 v26, v97 offset:20
	v_cndmask_b32_e32 v25, v25, v19, vcc
	v_cmp_eq_u32_e32 vcc, 18, v24
	v_cndmask_b32_e32 v25, v25, v20, vcc
	v_cmp_eq_u32_e32 vcc, 19, v24
	;; [unrolled: 2-line block ×3, first 2 shown]
	v_cndmask_b32_e32 v24, v25, v22, vcc
	s_waitcnt lgkmcnt(0)
	v_fmac_f32_e32 v23, v24, v26
	s_and_saveexec_b64 s[18:19], s[4:5]
	s_cbranch_execz .LBB20_392
; %bb.387:
	v_add_u32_e32 v24, 6, v0
	v_cmp_eq_u32_e32 vcc, 1, v24
	v_cndmask_b32_e32 v25, v2, v3, vcc
	v_cmp_eq_u32_e32 vcc, 2, v24
	v_cndmask_b32_e32 v25, v25, v4, vcc
	;; [unrolled: 2-line block ×16, first 2 shown]
	v_cmp_eq_u32_e32 vcc, 17, v24
	ds_read_b32 v26, v97 offset:24
	v_cndmask_b32_e32 v25, v25, v19, vcc
	v_cmp_eq_u32_e32 vcc, 18, v24
	v_cndmask_b32_e32 v25, v25, v20, vcc
	v_cmp_eq_u32_e32 vcc, 19, v24
	v_cndmask_b32_e32 v25, v25, v21, vcc
	v_cmp_eq_u32_e32 vcc, 20, v24
	v_cndmask_b32_e32 v24, v25, v22, vcc
	s_waitcnt lgkmcnt(0)
	v_fmac_f32_e32 v23, v24, v26
	v_cmp_ne_u32_e32 vcc, 2, v0
	s_and_saveexec_b64 s[4:5], vcc
	s_cbranch_execz .LBB20_391
; %bb.388:
	v_add_u32_e32 v24, 7, v0
	v_cmp_eq_u32_e32 vcc, 1, v24
	v_cndmask_b32_e32 v25, v2, v3, vcc
	v_cmp_eq_u32_e32 vcc, 2, v24
	v_cndmask_b32_e32 v25, v25, v4, vcc
	;; [unrolled: 2-line block ×16, first 2 shown]
	v_cmp_eq_u32_e32 vcc, 17, v24
	ds_read_b32 v25, v97 offset:28
	v_cndmask_b32_e32 v11, v11, v19, vcc
	v_cmp_eq_u32_e32 vcc, 18, v24
	v_cndmask_b32_e32 v11, v11, v20, vcc
	v_cmp_eq_u32_e32 vcc, 19, v24
	v_cndmask_b32_e32 v11, v11, v21, vcc
	v_cmp_eq_u32_e32 vcc, 20, v24
	v_cndmask_b32_e32 v11, v11, v22, vcc
	s_waitcnt lgkmcnt(0)
	v_fmac_f32_e32 v23, v11, v25
	s_and_saveexec_b64 s[20:21], s[2:3]
	s_cbranch_execz .LBB20_390
; %bb.389:
	ds_read_b32 v11, v97 offset:32
	s_waitcnt lgkmcnt(0)
	v_fmac_f32_e32 v23, v10, v11
.LBB20_390:
	s_or_b64 exec, exec, s[20:21]
.LBB20_391:
	s_or_b64 exec, exec, s[4:5]
.LBB20_392:
	s_or_b64 exec, exec, s[18:19]
.LBB20_393:
	s_or_b64 exec, exec, s[6:7]
.LBB20_394:
	s_or_b64 exec, exec, s[16:17]
.LBB20_395:
	s_or_b64 exec, exec, s[8:9]
.LBB20_396:
	s_or_b64 exec, exec, s[14:15]
.LBB20_397:
	s_or_b64 exec, exec, s[12:13]
	v_mov_b32_e32 v11, 0
	ds_read_b32 v11, v11 offset:36
	s_waitcnt lgkmcnt(0)
	v_mul_f32_e32 v11, v23, v11
.LBB20_398:
	s_or_b64 exec, exec, s[10:11]
	v_cmp_gt_u32_e32 vcc, 10, v0
	s_waitcnt vmcnt(11)
	ds_write_b32 v97, v12
	s_waitcnt lgkmcnt(0)
	; wave barrier
	s_and_saveexec_b64 s[4:5], vcc
	s_cbranch_execz .LBB20_408
; %bb.399:
	s_and_b64 vcc, exec, s[0:1]
	s_cbranch_vccnz .LBB20_401
; %bb.400:
	v_cmp_eq_u32_e32 vcc, 1, v0
	s_waitcnt vmcnt(4)
	v_cndmask_b32_e32 v23, v2, v3, vcc
	v_cmp_eq_u32_e32 vcc, 2, v0
	v_cndmask_b32_e32 v23, v23, v4, vcc
	v_cmp_eq_u32_e32 vcc, 3, v0
	;; [unrolled: 2-line block ×16, first 2 shown]
	ds_read_b32 v24, v97
	s_waitcnt vmcnt(3)
	v_cndmask_b32_e32 v23, v23, v19, vcc
	v_cmp_eq_u32_e32 vcc, 18, v0
	s_waitcnt vmcnt(2)
	v_cndmask_b32_e32 v23, v23, v20, vcc
	v_cmp_eq_u32_e32 vcc, 19, v0
	;; [unrolled: 3-line block ×3, first 2 shown]
	s_waitcnt vmcnt(0)
	v_cndmask_b32_e32 v23, v23, v22, vcc
	s_waitcnt lgkmcnt(0)
	v_mul_f32_e32 v25, v23, v24
	s_cbranch_execz .LBB20_402
	s_branch .LBB20_403
.LBB20_401:
                                        ; implicit-def: $vgpr25
.LBB20_402:
	ds_read_b32 v25, v97
.LBB20_403:
	v_cmp_ne_u32_e32 vcc, 9, v0
	s_and_saveexec_b64 s[6:7], vcc
	s_cbranch_execz .LBB20_407
; %bb.404:
	v_mov_b32_e32 v23, 0x64
	v_lshl_add_u32 v26, v0, 2, v23
	v_mov_b32_e32 v24, v1
	s_mov_b64 s[8:9], 0
	v_mov_b32_e32 v23, v0
.LBB20_405:                             ; =>This Inner Loop Header: Depth=1
	v_add_co_u32_e32 v23, vcc, 1, v23
	v_addc_co_u32_e32 v24, vcc, 0, v24, vcc
	v_cmp_eq_u32_e32 vcc, 1, v23
	s_waitcnt vmcnt(4)
	v_cndmask_b32_e32 v28, v2, v3, vcc
	v_cmp_lt_u32_e32 vcc, 8, v23
	v_cmp_eq_u32_e64 s[2:3], 2, v23
	v_cndmask_b32_e64 v28, v28, v4, s[2:3]
	s_or_b64 s[8:9], vcc, s[8:9]
	v_cmp_eq_u32_e32 vcc, 3, v23
	v_cndmask_b32_e32 v28, v28, v5, vcc
	v_cmp_eq_u32_e32 vcc, 4, v23
	v_cndmask_b32_e32 v28, v28, v6, vcc
	;; [unrolled: 2-line block ×13, first 2 shown]
	v_cmp_eq_u32_e32 vcc, 16, v23
	ds_read_b32 v27, v26
	v_cndmask_b32_e32 v28, v28, v18, vcc
	v_cmp_eq_u32_e32 vcc, 17, v23
	s_waitcnt vmcnt(3)
	v_cndmask_b32_e32 v28, v28, v19, vcc
	v_cmp_eq_u32_e32 vcc, 18, v23
	s_waitcnt vmcnt(2)
	;; [unrolled: 3-line block ×4, first 2 shown]
	v_cndmask_b32_e32 v28, v28, v22, vcc
	v_add_u32_e32 v26, 4, v26
	s_waitcnt lgkmcnt(0)
	v_fmac_f32_e32 v25, v28, v27
	s_andn2_b64 exec, exec, s[8:9]
	s_cbranch_execnz .LBB20_405
; %bb.406:
	s_or_b64 exec, exec, s[8:9]
.LBB20_407:
	s_or_b64 exec, exec, s[6:7]
	v_mov_b32_e32 v12, 0
	ds_read_b32 v12, v12 offset:40
	s_waitcnt lgkmcnt(0)
	v_mul_f32_e32 v12, v25, v12
.LBB20_408:
	s_or_b64 exec, exec, s[4:5]
	v_cmp_gt_u32_e32 vcc, 11, v0
	s_waitcnt vmcnt(10)
	ds_write_b32 v97, v13
	s_waitcnt lgkmcnt(0)
	; wave barrier
	s_and_saveexec_b64 s[4:5], vcc
	s_cbranch_execz .LBB20_418
; %bb.409:
	s_and_b64 vcc, exec, s[0:1]
	s_cbranch_vccnz .LBB20_411
; %bb.410:
	v_cmp_eq_u32_e32 vcc, 1, v0
	s_waitcnt vmcnt(4)
	v_cndmask_b32_e32 v23, v2, v3, vcc
	v_cmp_eq_u32_e32 vcc, 2, v0
	v_cndmask_b32_e32 v23, v23, v4, vcc
	v_cmp_eq_u32_e32 vcc, 3, v0
	;; [unrolled: 2-line block ×16, first 2 shown]
	ds_read_b32 v24, v97
	s_waitcnt vmcnt(3)
	v_cndmask_b32_e32 v23, v23, v19, vcc
	v_cmp_eq_u32_e32 vcc, 18, v0
	s_waitcnt vmcnt(2)
	v_cndmask_b32_e32 v23, v23, v20, vcc
	v_cmp_eq_u32_e32 vcc, 19, v0
	;; [unrolled: 3-line block ×3, first 2 shown]
	s_waitcnt vmcnt(0)
	v_cndmask_b32_e32 v23, v23, v22, vcc
	s_waitcnt lgkmcnt(0)
	v_mul_f32_e32 v25, v23, v24
	s_cbranch_execz .LBB20_412
	s_branch .LBB20_413
.LBB20_411:
                                        ; implicit-def: $vgpr25
.LBB20_412:
	ds_read_b32 v25, v97
.LBB20_413:
	v_cmp_ne_u32_e32 vcc, 10, v0
	s_and_saveexec_b64 s[6:7], vcc
	s_cbranch_execz .LBB20_417
; %bb.414:
	v_mov_b32_e32 v23, 0x64
	v_lshl_add_u32 v26, v0, 2, v23
	v_mov_b32_e32 v24, v1
	s_mov_b64 s[8:9], 0
	v_mov_b32_e32 v23, v0
.LBB20_415:                             ; =>This Inner Loop Header: Depth=1
	v_add_co_u32_e32 v23, vcc, 1, v23
	v_addc_co_u32_e32 v24, vcc, 0, v24, vcc
	v_cmp_eq_u32_e32 vcc, 1, v23
	s_waitcnt vmcnt(4)
	v_cndmask_b32_e32 v28, v2, v3, vcc
	v_cmp_lt_u32_e32 vcc, 9, v23
	v_cmp_eq_u32_e64 s[2:3], 2, v23
	v_cndmask_b32_e64 v28, v28, v4, s[2:3]
	s_or_b64 s[8:9], vcc, s[8:9]
	v_cmp_eq_u32_e32 vcc, 3, v23
	v_cndmask_b32_e32 v28, v28, v5, vcc
	v_cmp_eq_u32_e32 vcc, 4, v23
	v_cndmask_b32_e32 v28, v28, v6, vcc
	;; [unrolled: 2-line block ×13, first 2 shown]
	v_cmp_eq_u32_e32 vcc, 16, v23
	ds_read_b32 v27, v26
	v_cndmask_b32_e32 v28, v28, v18, vcc
	v_cmp_eq_u32_e32 vcc, 17, v23
	s_waitcnt vmcnt(3)
	v_cndmask_b32_e32 v28, v28, v19, vcc
	v_cmp_eq_u32_e32 vcc, 18, v23
	s_waitcnt vmcnt(2)
	;; [unrolled: 3-line block ×4, first 2 shown]
	v_cndmask_b32_e32 v28, v28, v22, vcc
	v_add_u32_e32 v26, 4, v26
	s_waitcnt lgkmcnt(0)
	v_fmac_f32_e32 v25, v28, v27
	s_andn2_b64 exec, exec, s[8:9]
	s_cbranch_execnz .LBB20_415
; %bb.416:
	s_or_b64 exec, exec, s[8:9]
.LBB20_417:
	s_or_b64 exec, exec, s[6:7]
	v_mov_b32_e32 v13, 0
	ds_read_b32 v13, v13 offset:44
	s_waitcnt lgkmcnt(0)
	v_mul_f32_e32 v13, v25, v13
.LBB20_418:
	s_or_b64 exec, exec, s[4:5]
	v_cmp_gt_u32_e32 vcc, 12, v0
	s_waitcnt vmcnt(9)
	ds_write_b32 v97, v14
	s_waitcnt lgkmcnt(0)
	; wave barrier
	s_and_saveexec_b64 s[4:5], vcc
	s_cbranch_execz .LBB20_428
; %bb.419:
	s_and_b64 vcc, exec, s[0:1]
	s_cbranch_vccnz .LBB20_421
; %bb.420:
	v_cmp_eq_u32_e32 vcc, 1, v0
	s_waitcnt vmcnt(4)
	v_cndmask_b32_e32 v23, v2, v3, vcc
	v_cmp_eq_u32_e32 vcc, 2, v0
	v_cndmask_b32_e32 v23, v23, v4, vcc
	v_cmp_eq_u32_e32 vcc, 3, v0
	;; [unrolled: 2-line block ×16, first 2 shown]
	ds_read_b32 v24, v97
	s_waitcnt vmcnt(3)
	v_cndmask_b32_e32 v23, v23, v19, vcc
	v_cmp_eq_u32_e32 vcc, 18, v0
	s_waitcnt vmcnt(2)
	v_cndmask_b32_e32 v23, v23, v20, vcc
	v_cmp_eq_u32_e32 vcc, 19, v0
	;; [unrolled: 3-line block ×3, first 2 shown]
	s_waitcnt vmcnt(0)
	v_cndmask_b32_e32 v23, v23, v22, vcc
	s_waitcnt lgkmcnt(0)
	v_mul_f32_e32 v25, v23, v24
	s_cbranch_execz .LBB20_422
	s_branch .LBB20_423
.LBB20_421:
                                        ; implicit-def: $vgpr25
.LBB20_422:
	ds_read_b32 v25, v97
.LBB20_423:
	v_cmp_ne_u32_e32 vcc, 11, v0
	s_and_saveexec_b64 s[6:7], vcc
	s_cbranch_execz .LBB20_427
; %bb.424:
	v_mov_b32_e32 v23, 0x64
	v_lshl_add_u32 v26, v0, 2, v23
	v_mov_b32_e32 v24, v1
	s_mov_b64 s[8:9], 0
	v_mov_b32_e32 v23, v0
.LBB20_425:                             ; =>This Inner Loop Header: Depth=1
	v_add_co_u32_e32 v23, vcc, 1, v23
	v_addc_co_u32_e32 v24, vcc, 0, v24, vcc
	v_cmp_eq_u32_e32 vcc, 1, v23
	s_waitcnt vmcnt(4)
	v_cndmask_b32_e32 v28, v2, v3, vcc
	v_cmp_lt_u32_e32 vcc, 10, v23
	v_cmp_eq_u32_e64 s[2:3], 2, v23
	v_cndmask_b32_e64 v28, v28, v4, s[2:3]
	s_or_b64 s[8:9], vcc, s[8:9]
	v_cmp_eq_u32_e32 vcc, 3, v23
	v_cndmask_b32_e32 v28, v28, v5, vcc
	v_cmp_eq_u32_e32 vcc, 4, v23
	v_cndmask_b32_e32 v28, v28, v6, vcc
	;; [unrolled: 2-line block ×13, first 2 shown]
	v_cmp_eq_u32_e32 vcc, 16, v23
	ds_read_b32 v27, v26
	v_cndmask_b32_e32 v28, v28, v18, vcc
	v_cmp_eq_u32_e32 vcc, 17, v23
	s_waitcnt vmcnt(3)
	v_cndmask_b32_e32 v28, v28, v19, vcc
	v_cmp_eq_u32_e32 vcc, 18, v23
	s_waitcnt vmcnt(2)
	;; [unrolled: 3-line block ×4, first 2 shown]
	v_cndmask_b32_e32 v28, v28, v22, vcc
	v_add_u32_e32 v26, 4, v26
	s_waitcnt lgkmcnt(0)
	v_fmac_f32_e32 v25, v28, v27
	s_andn2_b64 exec, exec, s[8:9]
	s_cbranch_execnz .LBB20_425
; %bb.426:
	s_or_b64 exec, exec, s[8:9]
.LBB20_427:
	s_or_b64 exec, exec, s[6:7]
	v_mov_b32_e32 v14, 0
	ds_read_b32 v14, v14 offset:48
	s_waitcnt lgkmcnt(0)
	v_mul_f32_e32 v14, v25, v14
.LBB20_428:
	s_or_b64 exec, exec, s[4:5]
	v_cmp_gt_u32_e32 vcc, 13, v0
	s_waitcnt vmcnt(8)
	ds_write_b32 v97, v15
	s_waitcnt lgkmcnt(0)
	; wave barrier
	s_and_saveexec_b64 s[4:5], vcc
	s_cbranch_execz .LBB20_438
; %bb.429:
	s_and_b64 vcc, exec, s[0:1]
	s_cbranch_vccnz .LBB20_431
; %bb.430:
	v_cmp_eq_u32_e32 vcc, 1, v0
	s_waitcnt vmcnt(4)
	v_cndmask_b32_e32 v23, v2, v3, vcc
	v_cmp_eq_u32_e32 vcc, 2, v0
	v_cndmask_b32_e32 v23, v23, v4, vcc
	v_cmp_eq_u32_e32 vcc, 3, v0
	;; [unrolled: 2-line block ×16, first 2 shown]
	ds_read_b32 v24, v97
	s_waitcnt vmcnt(3)
	v_cndmask_b32_e32 v23, v23, v19, vcc
	v_cmp_eq_u32_e32 vcc, 18, v0
	s_waitcnt vmcnt(2)
	v_cndmask_b32_e32 v23, v23, v20, vcc
	v_cmp_eq_u32_e32 vcc, 19, v0
	;; [unrolled: 3-line block ×3, first 2 shown]
	s_waitcnt vmcnt(0)
	v_cndmask_b32_e32 v23, v23, v22, vcc
	s_waitcnt lgkmcnt(0)
	v_mul_f32_e32 v25, v23, v24
	s_cbranch_execz .LBB20_432
	s_branch .LBB20_433
.LBB20_431:
                                        ; implicit-def: $vgpr25
.LBB20_432:
	ds_read_b32 v25, v97
.LBB20_433:
	v_cmp_ne_u32_e32 vcc, 12, v0
	s_and_saveexec_b64 s[6:7], vcc
	s_cbranch_execz .LBB20_437
; %bb.434:
	v_mov_b32_e32 v23, 0x64
	v_lshl_add_u32 v26, v0, 2, v23
	v_mov_b32_e32 v24, v1
	s_mov_b64 s[8:9], 0
	v_mov_b32_e32 v23, v0
.LBB20_435:                             ; =>This Inner Loop Header: Depth=1
	v_add_co_u32_e32 v23, vcc, 1, v23
	v_addc_co_u32_e32 v24, vcc, 0, v24, vcc
	v_cmp_eq_u32_e32 vcc, 1, v23
	s_waitcnt vmcnt(4)
	v_cndmask_b32_e32 v28, v2, v3, vcc
	v_cmp_lt_u32_e32 vcc, 11, v23
	v_cmp_eq_u32_e64 s[2:3], 2, v23
	v_cndmask_b32_e64 v28, v28, v4, s[2:3]
	s_or_b64 s[8:9], vcc, s[8:9]
	v_cmp_eq_u32_e32 vcc, 3, v23
	v_cndmask_b32_e32 v28, v28, v5, vcc
	v_cmp_eq_u32_e32 vcc, 4, v23
	v_cndmask_b32_e32 v28, v28, v6, vcc
	;; [unrolled: 2-line block ×13, first 2 shown]
	v_cmp_eq_u32_e32 vcc, 16, v23
	ds_read_b32 v27, v26
	v_cndmask_b32_e32 v28, v28, v18, vcc
	v_cmp_eq_u32_e32 vcc, 17, v23
	s_waitcnt vmcnt(3)
	v_cndmask_b32_e32 v28, v28, v19, vcc
	v_cmp_eq_u32_e32 vcc, 18, v23
	s_waitcnt vmcnt(2)
	;; [unrolled: 3-line block ×4, first 2 shown]
	v_cndmask_b32_e32 v28, v28, v22, vcc
	v_add_u32_e32 v26, 4, v26
	s_waitcnt lgkmcnt(0)
	v_fmac_f32_e32 v25, v28, v27
	s_andn2_b64 exec, exec, s[8:9]
	s_cbranch_execnz .LBB20_435
; %bb.436:
	s_or_b64 exec, exec, s[8:9]
.LBB20_437:
	s_or_b64 exec, exec, s[6:7]
	v_mov_b32_e32 v15, 0
	ds_read_b32 v15, v15 offset:52
	s_waitcnt lgkmcnt(0)
	v_mul_f32_e32 v15, v25, v15
.LBB20_438:
	s_or_b64 exec, exec, s[4:5]
	v_cmp_gt_u32_e32 vcc, 14, v0
	s_waitcnt vmcnt(7)
	ds_write_b32 v97, v16
	s_waitcnt lgkmcnt(0)
	; wave barrier
	s_and_saveexec_b64 s[4:5], vcc
	s_cbranch_execz .LBB20_448
; %bb.439:
	s_and_b64 vcc, exec, s[0:1]
	s_cbranch_vccnz .LBB20_441
; %bb.440:
	v_cmp_eq_u32_e32 vcc, 1, v0
	s_waitcnt vmcnt(4)
	v_cndmask_b32_e32 v23, v2, v3, vcc
	v_cmp_eq_u32_e32 vcc, 2, v0
	v_cndmask_b32_e32 v23, v23, v4, vcc
	v_cmp_eq_u32_e32 vcc, 3, v0
	;; [unrolled: 2-line block ×16, first 2 shown]
	ds_read_b32 v24, v97
	s_waitcnt vmcnt(3)
	v_cndmask_b32_e32 v23, v23, v19, vcc
	v_cmp_eq_u32_e32 vcc, 18, v0
	s_waitcnt vmcnt(2)
	v_cndmask_b32_e32 v23, v23, v20, vcc
	v_cmp_eq_u32_e32 vcc, 19, v0
	;; [unrolled: 3-line block ×3, first 2 shown]
	s_waitcnt vmcnt(0)
	v_cndmask_b32_e32 v23, v23, v22, vcc
	s_waitcnt lgkmcnt(0)
	v_mul_f32_e32 v25, v23, v24
	s_cbranch_execz .LBB20_442
	s_branch .LBB20_443
.LBB20_441:
                                        ; implicit-def: $vgpr25
.LBB20_442:
	ds_read_b32 v25, v97
.LBB20_443:
	v_cmp_ne_u32_e32 vcc, 13, v0
	s_and_saveexec_b64 s[6:7], vcc
	s_cbranch_execz .LBB20_447
; %bb.444:
	v_mov_b32_e32 v23, 0x64
	v_lshl_add_u32 v26, v0, 2, v23
	v_mov_b32_e32 v24, v1
	s_mov_b64 s[8:9], 0
	v_mov_b32_e32 v23, v0
.LBB20_445:                             ; =>This Inner Loop Header: Depth=1
	v_add_co_u32_e32 v23, vcc, 1, v23
	v_addc_co_u32_e32 v24, vcc, 0, v24, vcc
	v_cmp_eq_u32_e32 vcc, 1, v23
	s_waitcnt vmcnt(4)
	v_cndmask_b32_e32 v28, v2, v3, vcc
	v_cmp_lt_u32_e32 vcc, 12, v23
	v_cmp_eq_u32_e64 s[2:3], 2, v23
	v_cndmask_b32_e64 v28, v28, v4, s[2:3]
	s_or_b64 s[8:9], vcc, s[8:9]
	v_cmp_eq_u32_e32 vcc, 3, v23
	v_cndmask_b32_e32 v28, v28, v5, vcc
	v_cmp_eq_u32_e32 vcc, 4, v23
	v_cndmask_b32_e32 v28, v28, v6, vcc
	;; [unrolled: 2-line block ×13, first 2 shown]
	v_cmp_eq_u32_e32 vcc, 16, v23
	ds_read_b32 v27, v26
	v_cndmask_b32_e32 v28, v28, v18, vcc
	v_cmp_eq_u32_e32 vcc, 17, v23
	s_waitcnt vmcnt(3)
	v_cndmask_b32_e32 v28, v28, v19, vcc
	v_cmp_eq_u32_e32 vcc, 18, v23
	s_waitcnt vmcnt(2)
	;; [unrolled: 3-line block ×4, first 2 shown]
	v_cndmask_b32_e32 v28, v28, v22, vcc
	v_add_u32_e32 v26, 4, v26
	s_waitcnt lgkmcnt(0)
	v_fmac_f32_e32 v25, v28, v27
	s_andn2_b64 exec, exec, s[8:9]
	s_cbranch_execnz .LBB20_445
; %bb.446:
	s_or_b64 exec, exec, s[8:9]
.LBB20_447:
	s_or_b64 exec, exec, s[6:7]
	v_mov_b32_e32 v16, 0
	ds_read_b32 v16, v16 offset:56
	s_waitcnt lgkmcnt(0)
	v_mul_f32_e32 v16, v25, v16
.LBB20_448:
	s_or_b64 exec, exec, s[4:5]
	v_cmp_gt_u32_e32 vcc, 15, v0
	s_waitcnt vmcnt(6)
	ds_write_b32 v97, v17
	s_waitcnt lgkmcnt(0)
	; wave barrier
	s_and_saveexec_b64 s[4:5], vcc
	s_cbranch_execz .LBB20_458
; %bb.449:
	s_and_b64 vcc, exec, s[0:1]
	s_cbranch_vccnz .LBB20_451
; %bb.450:
	v_cmp_eq_u32_e32 vcc, 1, v0
	s_waitcnt vmcnt(4)
	v_cndmask_b32_e32 v23, v2, v3, vcc
	v_cmp_eq_u32_e32 vcc, 2, v0
	v_cndmask_b32_e32 v23, v23, v4, vcc
	v_cmp_eq_u32_e32 vcc, 3, v0
	;; [unrolled: 2-line block ×16, first 2 shown]
	ds_read_b32 v24, v97
	s_waitcnt vmcnt(3)
	v_cndmask_b32_e32 v23, v23, v19, vcc
	v_cmp_eq_u32_e32 vcc, 18, v0
	s_waitcnt vmcnt(2)
	v_cndmask_b32_e32 v23, v23, v20, vcc
	v_cmp_eq_u32_e32 vcc, 19, v0
	;; [unrolled: 3-line block ×3, first 2 shown]
	s_waitcnt vmcnt(0)
	v_cndmask_b32_e32 v23, v23, v22, vcc
	s_waitcnt lgkmcnt(0)
	v_mul_f32_e32 v25, v23, v24
	s_cbranch_execz .LBB20_452
	s_branch .LBB20_453
.LBB20_451:
                                        ; implicit-def: $vgpr25
.LBB20_452:
	ds_read_b32 v25, v97
.LBB20_453:
	v_cmp_ne_u32_e32 vcc, 14, v0
	s_and_saveexec_b64 s[6:7], vcc
	s_cbranch_execz .LBB20_457
; %bb.454:
	v_mov_b32_e32 v23, 0x64
	v_lshl_add_u32 v26, v0, 2, v23
	v_mov_b32_e32 v24, v1
	s_mov_b64 s[8:9], 0
	v_mov_b32_e32 v23, v0
.LBB20_455:                             ; =>This Inner Loop Header: Depth=1
	v_add_co_u32_e32 v23, vcc, 1, v23
	v_addc_co_u32_e32 v24, vcc, 0, v24, vcc
	v_cmp_eq_u32_e32 vcc, 1, v23
	s_waitcnt vmcnt(4)
	v_cndmask_b32_e32 v28, v2, v3, vcc
	v_cmp_lt_u32_e32 vcc, 13, v23
	v_cmp_eq_u32_e64 s[2:3], 2, v23
	v_cndmask_b32_e64 v28, v28, v4, s[2:3]
	s_or_b64 s[8:9], vcc, s[8:9]
	v_cmp_eq_u32_e32 vcc, 3, v23
	v_cndmask_b32_e32 v28, v28, v5, vcc
	v_cmp_eq_u32_e32 vcc, 4, v23
	v_cndmask_b32_e32 v28, v28, v6, vcc
	;; [unrolled: 2-line block ×13, first 2 shown]
	v_cmp_eq_u32_e32 vcc, 16, v23
	ds_read_b32 v27, v26
	v_cndmask_b32_e32 v28, v28, v18, vcc
	v_cmp_eq_u32_e32 vcc, 17, v23
	s_waitcnt vmcnt(3)
	v_cndmask_b32_e32 v28, v28, v19, vcc
	v_cmp_eq_u32_e32 vcc, 18, v23
	s_waitcnt vmcnt(2)
	;; [unrolled: 3-line block ×4, first 2 shown]
	v_cndmask_b32_e32 v28, v28, v22, vcc
	v_add_u32_e32 v26, 4, v26
	s_waitcnt lgkmcnt(0)
	v_fmac_f32_e32 v25, v28, v27
	s_andn2_b64 exec, exec, s[8:9]
	s_cbranch_execnz .LBB20_455
; %bb.456:
	s_or_b64 exec, exec, s[8:9]
.LBB20_457:
	s_or_b64 exec, exec, s[6:7]
	v_mov_b32_e32 v17, 0
	ds_read_b32 v17, v17 offset:60
	s_waitcnt lgkmcnt(0)
	v_mul_f32_e32 v17, v25, v17
.LBB20_458:
	s_or_b64 exec, exec, s[4:5]
	v_cmp_gt_u32_e32 vcc, 16, v0
	s_waitcnt vmcnt(5)
	ds_write_b32 v97, v18
	s_waitcnt lgkmcnt(0)
	; wave barrier
	s_and_saveexec_b64 s[4:5], vcc
	s_cbranch_execz .LBB20_468
; %bb.459:
	s_and_b64 vcc, exec, s[0:1]
	s_cbranch_vccnz .LBB20_461
; %bb.460:
	v_cmp_eq_u32_e32 vcc, 1, v0
	s_waitcnt vmcnt(4)
	v_cndmask_b32_e32 v23, v2, v3, vcc
	v_cmp_eq_u32_e32 vcc, 2, v0
	v_cndmask_b32_e32 v23, v23, v4, vcc
	v_cmp_eq_u32_e32 vcc, 3, v0
	;; [unrolled: 2-line block ×16, first 2 shown]
	ds_read_b32 v24, v97
	s_waitcnt vmcnt(3)
	v_cndmask_b32_e32 v23, v23, v19, vcc
	v_cmp_eq_u32_e32 vcc, 18, v0
	s_waitcnt vmcnt(2)
	v_cndmask_b32_e32 v23, v23, v20, vcc
	v_cmp_eq_u32_e32 vcc, 19, v0
	;; [unrolled: 3-line block ×3, first 2 shown]
	s_waitcnt vmcnt(0)
	v_cndmask_b32_e32 v23, v23, v22, vcc
	s_waitcnt lgkmcnt(0)
	v_mul_f32_e32 v25, v23, v24
	s_cbranch_execz .LBB20_462
	s_branch .LBB20_463
.LBB20_461:
                                        ; implicit-def: $vgpr25
.LBB20_462:
	ds_read_b32 v25, v97
.LBB20_463:
	v_cmp_ne_u32_e32 vcc, 15, v0
	s_and_saveexec_b64 s[6:7], vcc
	s_cbranch_execz .LBB20_467
; %bb.464:
	v_mov_b32_e32 v23, 0x64
	v_lshl_add_u32 v26, v0, 2, v23
	v_mov_b32_e32 v24, v1
	s_mov_b64 s[8:9], 0
	v_mov_b32_e32 v23, v0
.LBB20_465:                             ; =>This Inner Loop Header: Depth=1
	v_add_co_u32_e32 v23, vcc, 1, v23
	v_addc_co_u32_e32 v24, vcc, 0, v24, vcc
	v_cmp_eq_u32_e32 vcc, 1, v23
	s_waitcnt vmcnt(4)
	v_cndmask_b32_e32 v28, v2, v3, vcc
	v_cmp_lt_u32_e32 vcc, 14, v23
	v_cmp_eq_u32_e64 s[2:3], 2, v23
	v_cndmask_b32_e64 v28, v28, v4, s[2:3]
	s_or_b64 s[8:9], vcc, s[8:9]
	v_cmp_eq_u32_e32 vcc, 3, v23
	v_cndmask_b32_e32 v28, v28, v5, vcc
	v_cmp_eq_u32_e32 vcc, 4, v23
	v_cndmask_b32_e32 v28, v28, v6, vcc
	v_cmp_eq_u32_e32 vcc, 5, v23
	v_cndmask_b32_e32 v28, v28, v7, vcc
	v_cmp_eq_u32_e32 vcc, 6, v23
	v_cndmask_b32_e32 v28, v28, v8, vcc
	v_cmp_eq_u32_e32 vcc, 7, v23
	v_cndmask_b32_e32 v28, v28, v9, vcc
	v_cmp_eq_u32_e32 vcc, 8, v23
	v_cndmask_b32_e32 v28, v28, v10, vcc
	v_cmp_eq_u32_e32 vcc, 9, v23
	v_cndmask_b32_e32 v28, v28, v11, vcc
	v_cmp_eq_u32_e32 vcc, 10, v23
	v_cndmask_b32_e32 v28, v28, v12, vcc
	v_cmp_eq_u32_e32 vcc, 11, v23
	v_cndmask_b32_e32 v28, v28, v13, vcc
	v_cmp_eq_u32_e32 vcc, 12, v23
	v_cndmask_b32_e32 v28, v28, v14, vcc
	v_cmp_eq_u32_e32 vcc, 13, v23
	v_cndmask_b32_e32 v28, v28, v15, vcc
	v_cmp_eq_u32_e32 vcc, 14, v23
	v_cndmask_b32_e32 v28, v28, v16, vcc
	v_cmp_eq_u32_e32 vcc, 15, v23
	v_cndmask_b32_e32 v28, v28, v17, vcc
	v_cmp_eq_u32_e32 vcc, 16, v23
	ds_read_b32 v27, v26
	v_cndmask_b32_e32 v28, v28, v18, vcc
	v_cmp_eq_u32_e32 vcc, 17, v23
	s_waitcnt vmcnt(3)
	v_cndmask_b32_e32 v28, v28, v19, vcc
	v_cmp_eq_u32_e32 vcc, 18, v23
	s_waitcnt vmcnt(2)
	;; [unrolled: 3-line block ×4, first 2 shown]
	v_cndmask_b32_e32 v28, v28, v22, vcc
	v_add_u32_e32 v26, 4, v26
	s_waitcnt lgkmcnt(0)
	v_fmac_f32_e32 v25, v28, v27
	s_andn2_b64 exec, exec, s[8:9]
	s_cbranch_execnz .LBB20_465
; %bb.466:
	s_or_b64 exec, exec, s[8:9]
.LBB20_467:
	s_or_b64 exec, exec, s[6:7]
	v_mov_b32_e32 v18, 0
	ds_read_b32 v18, v18 offset:64
	s_waitcnt lgkmcnt(0)
	v_mul_f32_e32 v18, v25, v18
.LBB20_468:
	s_or_b64 exec, exec, s[4:5]
	v_cmp_gt_u32_e32 vcc, 17, v0
	s_waitcnt vmcnt(3)
	ds_write_b32 v97, v19
	s_waitcnt lgkmcnt(0)
	; wave barrier
	s_and_saveexec_b64 s[4:5], vcc
	s_cbranch_execz .LBB20_478
; %bb.469:
	s_and_b64 vcc, exec, s[0:1]
	s_cbranch_vccnz .LBB20_471
; %bb.470:
	v_cmp_eq_u32_e32 vcc, 1, v0
	v_cndmask_b32_e32 v23, v2, v3, vcc
	v_cmp_eq_u32_e32 vcc, 2, v0
	v_cndmask_b32_e32 v23, v23, v4, vcc
	;; [unrolled: 2-line block ×16, first 2 shown]
	v_cmp_eq_u32_e32 vcc, 17, v0
	ds_read_b32 v24, v97
	v_cndmask_b32_e32 v23, v23, v19, vcc
	v_cmp_eq_u32_e32 vcc, 18, v0
	s_waitcnt vmcnt(2)
	v_cndmask_b32_e32 v23, v23, v20, vcc
	v_cmp_eq_u32_e32 vcc, 19, v0
	s_waitcnt vmcnt(1)
	;; [unrolled: 3-line block ×3, first 2 shown]
	v_cndmask_b32_e32 v23, v23, v22, vcc
	s_waitcnt lgkmcnt(0)
	v_mul_f32_e32 v25, v23, v24
	s_cbranch_execz .LBB20_472
	s_branch .LBB20_473
.LBB20_471:
                                        ; implicit-def: $vgpr25
.LBB20_472:
	ds_read_b32 v25, v97
.LBB20_473:
	v_cmp_ne_u32_e32 vcc, 16, v0
	s_and_saveexec_b64 s[6:7], vcc
	s_cbranch_execz .LBB20_477
; %bb.474:
	v_mov_b32_e32 v23, 0x64
	v_lshl_add_u32 v26, v0, 2, v23
	v_mov_b32_e32 v24, v1
	s_mov_b64 s[8:9], 0
	v_mov_b32_e32 v23, v0
.LBB20_475:                             ; =>This Inner Loop Header: Depth=1
	v_add_co_u32_e32 v23, vcc, 1, v23
	v_addc_co_u32_e32 v24, vcc, 0, v24, vcc
	v_cmp_eq_u32_e32 vcc, 1, v23
	v_cndmask_b32_e32 v28, v2, v3, vcc
	v_cmp_lt_u32_e32 vcc, 15, v23
	v_cmp_eq_u32_e64 s[2:3], 2, v23
	v_cndmask_b32_e64 v28, v28, v4, s[2:3]
	s_or_b64 s[8:9], vcc, s[8:9]
	v_cmp_eq_u32_e32 vcc, 3, v23
	v_cndmask_b32_e32 v28, v28, v5, vcc
	v_cmp_eq_u32_e32 vcc, 4, v23
	v_cndmask_b32_e32 v28, v28, v6, vcc
	v_cmp_eq_u32_e32 vcc, 5, v23
	v_cndmask_b32_e32 v28, v28, v7, vcc
	v_cmp_eq_u32_e32 vcc, 6, v23
	v_cndmask_b32_e32 v28, v28, v8, vcc
	v_cmp_eq_u32_e32 vcc, 7, v23
	v_cndmask_b32_e32 v28, v28, v9, vcc
	v_cmp_eq_u32_e32 vcc, 8, v23
	v_cndmask_b32_e32 v28, v28, v10, vcc
	v_cmp_eq_u32_e32 vcc, 9, v23
	v_cndmask_b32_e32 v28, v28, v11, vcc
	v_cmp_eq_u32_e32 vcc, 10, v23
	v_cndmask_b32_e32 v28, v28, v12, vcc
	v_cmp_eq_u32_e32 vcc, 11, v23
	v_cndmask_b32_e32 v28, v28, v13, vcc
	v_cmp_eq_u32_e32 vcc, 12, v23
	v_cndmask_b32_e32 v28, v28, v14, vcc
	v_cmp_eq_u32_e32 vcc, 13, v23
	v_cndmask_b32_e32 v28, v28, v15, vcc
	v_cmp_eq_u32_e32 vcc, 14, v23
	v_cndmask_b32_e32 v28, v28, v16, vcc
	v_cmp_eq_u32_e32 vcc, 15, v23
	v_cndmask_b32_e32 v28, v28, v17, vcc
	v_cmp_eq_u32_e32 vcc, 16, v23
	ds_read_b32 v27, v26
	v_cndmask_b32_e32 v28, v28, v18, vcc
	v_cmp_eq_u32_e32 vcc, 17, v23
	v_cndmask_b32_e32 v28, v28, v19, vcc
	v_cmp_eq_u32_e32 vcc, 18, v23
	s_waitcnt vmcnt(2)
	v_cndmask_b32_e32 v28, v28, v20, vcc
	v_cmp_eq_u32_e32 vcc, 19, v23
	s_waitcnt vmcnt(1)
	;; [unrolled: 3-line block ×3, first 2 shown]
	v_cndmask_b32_e32 v28, v28, v22, vcc
	v_add_u32_e32 v26, 4, v26
	s_waitcnt lgkmcnt(0)
	v_fmac_f32_e32 v25, v28, v27
	s_andn2_b64 exec, exec, s[8:9]
	s_cbranch_execnz .LBB20_475
; %bb.476:
	s_or_b64 exec, exec, s[8:9]
.LBB20_477:
	s_or_b64 exec, exec, s[6:7]
	v_mov_b32_e32 v19, 0
	ds_read_b32 v19, v19 offset:68
	s_waitcnt lgkmcnt(0)
	v_mul_f32_e32 v19, v25, v19
.LBB20_478:
	s_or_b64 exec, exec, s[4:5]
	v_cmp_gt_u32_e32 vcc, 18, v0
	s_waitcnt vmcnt(2)
	ds_write_b32 v97, v20
	s_waitcnt lgkmcnt(0)
	; wave barrier
	s_and_saveexec_b64 s[4:5], vcc
	s_cbranch_execz .LBB20_488
; %bb.479:
	s_and_b64 vcc, exec, s[0:1]
	s_cbranch_vccnz .LBB20_481
; %bb.480:
	v_cmp_eq_u32_e32 vcc, 1, v0
	v_cndmask_b32_e32 v23, v2, v3, vcc
	v_cmp_eq_u32_e32 vcc, 2, v0
	v_cndmask_b32_e32 v23, v23, v4, vcc
	;; [unrolled: 2-line block ×16, first 2 shown]
	v_cmp_eq_u32_e32 vcc, 17, v0
	ds_read_b32 v24, v97
	v_cndmask_b32_e32 v23, v23, v19, vcc
	v_cmp_eq_u32_e32 vcc, 18, v0
	v_cndmask_b32_e32 v23, v23, v20, vcc
	v_cmp_eq_u32_e32 vcc, 19, v0
	s_waitcnt vmcnt(1)
	v_cndmask_b32_e32 v23, v23, v21, vcc
	v_cmp_eq_u32_e32 vcc, 20, v0
	s_waitcnt vmcnt(0)
	v_cndmask_b32_e32 v23, v23, v22, vcc
	s_waitcnt lgkmcnt(0)
	v_mul_f32_e32 v25, v23, v24
	s_cbranch_execz .LBB20_482
	s_branch .LBB20_483
.LBB20_481:
                                        ; implicit-def: $vgpr25
.LBB20_482:
	ds_read_b32 v25, v97
.LBB20_483:
	v_cmp_ne_u32_e32 vcc, 17, v0
	s_and_saveexec_b64 s[6:7], vcc
	s_cbranch_execz .LBB20_487
; %bb.484:
	v_mov_b32_e32 v23, 0x64
	v_lshl_add_u32 v26, v0, 2, v23
	v_mov_b32_e32 v24, v1
	s_mov_b64 s[8:9], 0
	v_mov_b32_e32 v23, v0
.LBB20_485:                             ; =>This Inner Loop Header: Depth=1
	v_add_co_u32_e32 v23, vcc, 1, v23
	v_addc_co_u32_e32 v24, vcc, 0, v24, vcc
	v_cmp_eq_u32_e32 vcc, 1, v23
	v_cndmask_b32_e32 v28, v2, v3, vcc
	v_cmp_lt_u32_e32 vcc, 16, v23
	v_cmp_eq_u32_e64 s[2:3], 2, v23
	v_cndmask_b32_e64 v28, v28, v4, s[2:3]
	s_or_b64 s[8:9], vcc, s[8:9]
	v_cmp_eq_u32_e32 vcc, 3, v23
	v_cndmask_b32_e32 v28, v28, v5, vcc
	v_cmp_eq_u32_e32 vcc, 4, v23
	v_cndmask_b32_e32 v28, v28, v6, vcc
	;; [unrolled: 2-line block ×13, first 2 shown]
	v_cmp_eq_u32_e32 vcc, 16, v23
	ds_read_b32 v27, v26
	v_cndmask_b32_e32 v28, v28, v18, vcc
	v_cmp_eq_u32_e32 vcc, 17, v23
	v_cndmask_b32_e32 v28, v28, v19, vcc
	v_cmp_eq_u32_e32 vcc, 18, v23
	;; [unrolled: 2-line block ×3, first 2 shown]
	s_waitcnt vmcnt(1)
	v_cndmask_b32_e32 v28, v28, v21, vcc
	v_cmp_eq_u32_e32 vcc, 20, v23
	s_waitcnt vmcnt(0)
	v_cndmask_b32_e32 v28, v28, v22, vcc
	v_add_u32_e32 v26, 4, v26
	s_waitcnt lgkmcnt(0)
	v_fmac_f32_e32 v25, v28, v27
	s_andn2_b64 exec, exec, s[8:9]
	s_cbranch_execnz .LBB20_485
; %bb.486:
	s_or_b64 exec, exec, s[8:9]
.LBB20_487:
	s_or_b64 exec, exec, s[6:7]
	v_mov_b32_e32 v20, 0
	ds_read_b32 v20, v20 offset:72
	s_waitcnt lgkmcnt(0)
	v_mul_f32_e32 v20, v25, v20
.LBB20_488:
	s_or_b64 exec, exec, s[4:5]
	v_cmp_gt_u32_e64 s[2:3], 19, v0
	s_waitcnt vmcnt(1)
	ds_write_b32 v97, v21
	s_waitcnt lgkmcnt(0)
	; wave barrier
	s_and_saveexec_b64 s[6:7], s[2:3]
	s_cbranch_execz .LBB20_498
; %bb.489:
	s_and_b64 vcc, exec, s[0:1]
	s_cbranch_vccnz .LBB20_491
; %bb.490:
	v_cmp_eq_u32_e32 vcc, 1, v0
	v_cndmask_b32_e32 v23, v2, v3, vcc
	v_cmp_eq_u32_e32 vcc, 2, v0
	v_cndmask_b32_e32 v23, v23, v4, vcc
	;; [unrolled: 2-line block ×16, first 2 shown]
	v_cmp_eq_u32_e32 vcc, 17, v0
	ds_read_b32 v24, v97
	v_cndmask_b32_e32 v23, v23, v19, vcc
	v_cmp_eq_u32_e32 vcc, 18, v0
	v_cndmask_b32_e32 v23, v23, v20, vcc
	v_cmp_eq_u32_e32 vcc, 19, v0
	;; [unrolled: 2-line block ×3, first 2 shown]
	s_waitcnt vmcnt(0)
	v_cndmask_b32_e32 v23, v23, v22, vcc
	s_waitcnt lgkmcnt(0)
	v_mul_f32_e32 v25, v23, v24
	s_cbranch_execz .LBB20_492
	s_branch .LBB20_493
.LBB20_491:
                                        ; implicit-def: $vgpr25
.LBB20_492:
	ds_read_b32 v25, v97
.LBB20_493:
	v_cmp_ne_u32_e32 vcc, 18, v0
	s_and_saveexec_b64 s[8:9], vcc
	s_cbranch_execz .LBB20_497
; %bb.494:
	v_mov_b32_e32 v23, 0x64
	v_lshl_add_u32 v26, v0, 2, v23
	v_mov_b32_e32 v24, v1
	s_mov_b64 s[10:11], 0
	v_mov_b32_e32 v23, v0
.LBB20_495:                             ; =>This Inner Loop Header: Depth=1
	v_add_co_u32_e32 v23, vcc, 1, v23
	v_addc_co_u32_e32 v24, vcc, 0, v24, vcc
	v_cmp_eq_u32_e32 vcc, 1, v23
	v_cndmask_b32_e32 v28, v2, v3, vcc
	v_cmp_lt_u32_e32 vcc, 17, v23
	v_cmp_eq_u32_e64 s[4:5], 2, v23
	v_cndmask_b32_e64 v28, v28, v4, s[4:5]
	s_or_b64 s[10:11], vcc, s[10:11]
	v_cmp_eq_u32_e32 vcc, 3, v23
	v_cndmask_b32_e32 v28, v28, v5, vcc
	v_cmp_eq_u32_e32 vcc, 4, v23
	v_cndmask_b32_e32 v28, v28, v6, vcc
	;; [unrolled: 2-line block ×13, first 2 shown]
	v_cmp_eq_u32_e32 vcc, 16, v23
	ds_read_b32 v27, v26
	v_cndmask_b32_e32 v28, v28, v18, vcc
	v_cmp_eq_u32_e32 vcc, 17, v23
	v_cndmask_b32_e32 v28, v28, v19, vcc
	v_cmp_eq_u32_e32 vcc, 18, v23
	;; [unrolled: 2-line block ×4, first 2 shown]
	s_waitcnt vmcnt(0)
	v_cndmask_b32_e32 v28, v28, v22, vcc
	v_add_u32_e32 v26, 4, v26
	s_waitcnt lgkmcnt(0)
	v_fmac_f32_e32 v25, v28, v27
	s_andn2_b64 exec, exec, s[10:11]
	s_cbranch_execnz .LBB20_495
; %bb.496:
	s_or_b64 exec, exec, s[10:11]
.LBB20_497:
	s_or_b64 exec, exec, s[8:9]
	v_mov_b32_e32 v21, 0
	ds_read_b32 v21, v21 offset:76
	s_waitcnt lgkmcnt(0)
	v_mul_f32_e32 v21, v25, v21
.LBB20_498:
	s_or_b64 exec, exec, s[6:7]
	v_cmp_ne_u32_e32 vcc, 20, v0
	s_waitcnt vmcnt(0)
	ds_write_b32 v97, v22
	s_waitcnt lgkmcnt(0)
	; wave barrier
	s_and_saveexec_b64 s[4:5], vcc
	s_cbranch_execz .LBB20_508
; %bb.499:
	s_and_b64 vcc, exec, s[0:1]
	s_cbranch_vccnz .LBB20_501
; %bb.500:
	v_cmp_eq_u32_e32 vcc, 1, v0
	v_cndmask_b32_e32 v23, v2, v3, vcc
	v_cmp_eq_u32_e32 vcc, 2, v0
	v_cndmask_b32_e32 v23, v23, v4, vcc
	;; [unrolled: 2-line block ×16, first 2 shown]
	v_cmp_eq_u32_e32 vcc, 17, v0
	ds_read_b32 v24, v97
	v_cndmask_b32_e32 v23, v23, v19, vcc
	v_cmp_eq_u32_e32 vcc, 18, v0
	v_cndmask_b32_e32 v23, v23, v20, vcc
	v_cmp_eq_u32_e32 vcc, 19, v0
	;; [unrolled: 2-line block ×3, first 2 shown]
	v_cndmask_b32_e32 v23, v23, v22, vcc
	s_waitcnt lgkmcnt(0)
	v_mul_f32_e32 v23, v23, v24
	s_cbranch_execz .LBB20_502
	s_branch .LBB20_503
.LBB20_501:
                                        ; implicit-def: $vgpr23
.LBB20_502:
	ds_read_b32 v23, v97
.LBB20_503:
	s_and_saveexec_b64 s[6:7], s[2:3]
	s_cbranch_execz .LBB20_507
; %bb.504:
	v_mov_b32_e32 v24, 0x64
	v_lshl_add_u32 v24, v0, 2, v24
	s_mov_b64 s[2:3], 0
.LBB20_505:                             ; =>This Inner Loop Header: Depth=1
	v_add_co_u32_e32 v0, vcc, 1, v0
	v_addc_co_u32_e32 v1, vcc, 0, v1, vcc
	v_cmp_eq_u32_e32 vcc, 1, v0
	v_cndmask_b32_e32 v26, v2, v3, vcc
	v_cmp_lt_u32_e32 vcc, 18, v0
	v_cmp_eq_u32_e64 s[0:1], 2, v0
	v_cndmask_b32_e64 v26, v26, v4, s[0:1]
	s_or_b64 s[2:3], vcc, s[2:3]
	v_cmp_eq_u32_e32 vcc, 3, v0
	v_cndmask_b32_e32 v26, v26, v5, vcc
	v_cmp_eq_u32_e32 vcc, 4, v0
	v_cndmask_b32_e32 v26, v26, v6, vcc
	;; [unrolled: 2-line block ×13, first 2 shown]
	v_cmp_eq_u32_e32 vcc, 16, v0
	ds_read_b32 v25, v24
	v_cndmask_b32_e32 v26, v26, v18, vcc
	v_cmp_eq_u32_e32 vcc, 17, v0
	v_cndmask_b32_e32 v26, v26, v19, vcc
	v_cmp_eq_u32_e32 vcc, 18, v0
	;; [unrolled: 2-line block ×4, first 2 shown]
	v_cndmask_b32_e32 v26, v26, v22, vcc
	v_add_u32_e32 v24, 4, v24
	s_waitcnt lgkmcnt(0)
	v_fmac_f32_e32 v23, v26, v25
	s_andn2_b64 exec, exec, s[2:3]
	s_cbranch_execnz .LBB20_505
; %bb.506:
	s_or_b64 exec, exec, s[2:3]
.LBB20_507:
	s_or_b64 exec, exec, s[6:7]
	v_mov_b32_e32 v0, 0
	ds_read_b32 v0, v0 offset:80
	s_waitcnt lgkmcnt(0)
	v_mul_f32_e32 v22, v23, v0
.LBB20_508:
	s_or_b64 exec, exec, s[4:5]
	v_mov_b32_e32 v54, v33
	v_mov_b32_e32 v53, v32
	;; [unrolled: 1-line block ×32, first 2 shown]
.LBB20_509:
	global_store_dword v[93:94], v23, off
	global_store_dword v[95:96], v24, off
	;; [unrolled: 1-line block ×21, first 2 shown]
.LBB20_510:
	s_endpgm
	.section	.rodata,"a",@progbits
	.p2align	6, 0x0
	.amdhsa_kernel _ZN9rocsolver6v33100L18trti2_kernel_smallILi21EfPfEEv13rocblas_fill_17rocblas_diagonal_T1_iil
		.amdhsa_group_segment_fixed_size 180
		.amdhsa_private_segment_fixed_size 0
		.amdhsa_kernarg_size 32
		.amdhsa_user_sgpr_count 6
		.amdhsa_user_sgpr_private_segment_buffer 1
		.amdhsa_user_sgpr_dispatch_ptr 0
		.amdhsa_user_sgpr_queue_ptr 0
		.amdhsa_user_sgpr_kernarg_segment_ptr 1
		.amdhsa_user_sgpr_dispatch_id 0
		.amdhsa_user_sgpr_flat_scratch_init 0
		.amdhsa_user_sgpr_private_segment_size 0
		.amdhsa_uses_dynamic_stack 0
		.amdhsa_system_sgpr_private_segment_wavefront_offset 0
		.amdhsa_system_sgpr_workgroup_id_x 1
		.amdhsa_system_sgpr_workgroup_id_y 0
		.amdhsa_system_sgpr_workgroup_id_z 0
		.amdhsa_system_sgpr_workgroup_info 0
		.amdhsa_system_vgpr_workitem_id 0
		.amdhsa_next_free_vgpr 115
		.amdhsa_next_free_sgpr 52
		.amdhsa_reserve_vcc 1
		.amdhsa_reserve_flat_scratch 0
		.amdhsa_float_round_mode_32 0
		.amdhsa_float_round_mode_16_64 0
		.amdhsa_float_denorm_mode_32 3
		.amdhsa_float_denorm_mode_16_64 3
		.amdhsa_dx10_clamp 1
		.amdhsa_ieee_mode 1
		.amdhsa_fp16_overflow 0
		.amdhsa_exception_fp_ieee_invalid_op 0
		.amdhsa_exception_fp_denorm_src 0
		.amdhsa_exception_fp_ieee_div_zero 0
		.amdhsa_exception_fp_ieee_overflow 0
		.amdhsa_exception_fp_ieee_underflow 0
		.amdhsa_exception_fp_ieee_inexact 0
		.amdhsa_exception_int_div_zero 0
	.end_amdhsa_kernel
	.section	.text._ZN9rocsolver6v33100L18trti2_kernel_smallILi21EfPfEEv13rocblas_fill_17rocblas_diagonal_T1_iil,"axG",@progbits,_ZN9rocsolver6v33100L18trti2_kernel_smallILi21EfPfEEv13rocblas_fill_17rocblas_diagonal_T1_iil,comdat
.Lfunc_end20:
	.size	_ZN9rocsolver6v33100L18trti2_kernel_smallILi21EfPfEEv13rocblas_fill_17rocblas_diagonal_T1_iil, .Lfunc_end20-_ZN9rocsolver6v33100L18trti2_kernel_smallILi21EfPfEEv13rocblas_fill_17rocblas_diagonal_T1_iil
                                        ; -- End function
	.set _ZN9rocsolver6v33100L18trti2_kernel_smallILi21EfPfEEv13rocblas_fill_17rocblas_diagonal_T1_iil.num_vgpr, 115
	.set _ZN9rocsolver6v33100L18trti2_kernel_smallILi21EfPfEEv13rocblas_fill_17rocblas_diagonal_T1_iil.num_agpr, 0
	.set _ZN9rocsolver6v33100L18trti2_kernel_smallILi21EfPfEEv13rocblas_fill_17rocblas_diagonal_T1_iil.numbered_sgpr, 52
	.set _ZN9rocsolver6v33100L18trti2_kernel_smallILi21EfPfEEv13rocblas_fill_17rocblas_diagonal_T1_iil.num_named_barrier, 0
	.set _ZN9rocsolver6v33100L18trti2_kernel_smallILi21EfPfEEv13rocblas_fill_17rocblas_diagonal_T1_iil.private_seg_size, 0
	.set _ZN9rocsolver6v33100L18trti2_kernel_smallILi21EfPfEEv13rocblas_fill_17rocblas_diagonal_T1_iil.uses_vcc, 1
	.set _ZN9rocsolver6v33100L18trti2_kernel_smallILi21EfPfEEv13rocblas_fill_17rocblas_diagonal_T1_iil.uses_flat_scratch, 0
	.set _ZN9rocsolver6v33100L18trti2_kernel_smallILi21EfPfEEv13rocblas_fill_17rocblas_diagonal_T1_iil.has_dyn_sized_stack, 0
	.set _ZN9rocsolver6v33100L18trti2_kernel_smallILi21EfPfEEv13rocblas_fill_17rocblas_diagonal_T1_iil.has_recursion, 0
	.set _ZN9rocsolver6v33100L18trti2_kernel_smallILi21EfPfEEv13rocblas_fill_17rocblas_diagonal_T1_iil.has_indirect_call, 0
	.section	.AMDGPU.csdata,"",@progbits
; Kernel info:
; codeLenInByte = 28768
; TotalNumSgprs: 56
; NumVgprs: 115
; ScratchSize: 0
; MemoryBound: 0
; FloatMode: 240
; IeeeMode: 1
; LDSByteSize: 180 bytes/workgroup (compile time only)
; SGPRBlocks: 6
; VGPRBlocks: 28
; NumSGPRsForWavesPerEU: 56
; NumVGPRsForWavesPerEU: 115
; Occupancy: 2
; WaveLimiterHint : 0
; COMPUTE_PGM_RSRC2:SCRATCH_EN: 0
; COMPUTE_PGM_RSRC2:USER_SGPR: 6
; COMPUTE_PGM_RSRC2:TRAP_HANDLER: 0
; COMPUTE_PGM_RSRC2:TGID_X_EN: 1
; COMPUTE_PGM_RSRC2:TGID_Y_EN: 0
; COMPUTE_PGM_RSRC2:TGID_Z_EN: 0
; COMPUTE_PGM_RSRC2:TIDIG_COMP_CNT: 0
	.section	.text._ZN9rocsolver6v33100L18trti2_kernel_smallILi22EfPfEEv13rocblas_fill_17rocblas_diagonal_T1_iil,"axG",@progbits,_ZN9rocsolver6v33100L18trti2_kernel_smallILi22EfPfEEv13rocblas_fill_17rocblas_diagonal_T1_iil,comdat
	.globl	_ZN9rocsolver6v33100L18trti2_kernel_smallILi22EfPfEEv13rocblas_fill_17rocblas_diagonal_T1_iil ; -- Begin function _ZN9rocsolver6v33100L18trti2_kernel_smallILi22EfPfEEv13rocblas_fill_17rocblas_diagonal_T1_iil
	.p2align	8
	.type	_ZN9rocsolver6v33100L18trti2_kernel_smallILi22EfPfEEv13rocblas_fill_17rocblas_diagonal_T1_iil,@function
_ZN9rocsolver6v33100L18trti2_kernel_smallILi22EfPfEEv13rocblas_fill_17rocblas_diagonal_T1_iil: ; @_ZN9rocsolver6v33100L18trti2_kernel_smallILi22EfPfEEv13rocblas_fill_17rocblas_diagonal_T1_iil
; %bb.0:
	v_cmp_gt_u32_e32 vcc, 22, v0
	s_and_saveexec_b64 s[0:1], vcc
	s_cbranch_execz .LBB21_536
; %bb.1:
	s_load_dwordx8 s[48:55], s[4:5], 0x0
	s_ashr_i32 s2, s6, 31
	v_lshlrev_b32_e32 v24, 2, v0
	v_mov_b32_e32 v25, -1.0
	s_waitcnt lgkmcnt(0)
	s_mul_hi_u32 s3, s54, s6
	s_mul_i32 s2, s54, s2
	s_add_i32 s2, s3, s2
	s_mul_i32 s3, s55, s6
	s_add_i32 s3, s2, s3
	s_mul_i32 s2, s54, s6
	s_ashr_i32 s1, s52, 31
	s_lshl_b64 s[2:3], s[2:3], 2
	s_mov_b32 s0, s52
	s_add_u32 s2, s50, s2
	s_addc_u32 s3, s51, s3
	s_lshl_b64 s[0:1], s[0:1], 2
	s_add_u32 s0, s2, s0
	s_addc_u32 s1, s3, s1
	s_add_i32 s2, s53, s53
	v_add_u32_e32 v1, s2, v0
	v_ashrrev_i32_e32 v2, 31, v1
	v_lshlrev_b64 v[2:3], 2, v[1:2]
	v_add_u32_e32 v1, s53, v1
	v_mov_b32_e32 v4, s1
	v_add_co_u32_e32 v56, vcc, s0, v2
	v_ashrrev_i32_e32 v2, 31, v1
	v_addc_co_u32_e32 v57, vcc, v4, v3, vcc
	v_lshlrev_b64 v[2:3], 2, v[1:2]
	v_add_u32_e32 v1, s53, v1
	v_add_co_u32_e32 v58, vcc, s0, v2
	v_ashrrev_i32_e32 v2, 31, v1
	v_addc_co_u32_e32 v59, vcc, v4, v3, vcc
	v_lshlrev_b64 v[2:3], 2, v[1:2]
	v_add_u32_e32 v1, s53, v1
	;; [unrolled: 5-line block ×18, first 2 shown]
	v_add_co_u32_e32 v92, vcc, s0, v2
	v_ashrrev_i32_e32 v2, 31, v1
	v_lshlrev_b64 v[1:2], 2, v[1:2]
	v_addc_co_u32_e32 v93, vcc, v4, v3, vcc
	v_mov_b32_e32 v3, s1
	v_add_co_u32_e32 v94, vcc, s0, v1
	v_addc_co_u32_e32 v95, vcc, v3, v2, vcc
	v_mov_b32_e32 v1, s1
	v_add_co_u32_e32 v96, vcc, s0, v24
	s_ashr_i32 s3, s53, 31
	s_mov_b32 s2, s53
	v_addc_co_u32_e32 v97, vcc, 0, v1, vcc
	s_lshl_b64 s[2:3], s[2:3], 2
	v_mov_b32_e32 v1, s3
	v_add_co_u32_e32 v98, vcc, s2, v96
	v_addc_co_u32_e32 v99, vcc, v97, v1, vcc
	global_load_dword v3, v[98:99], off
	global_load_dword v4, v[56:57], off
	global_load_dword v5, v[58:59], off
	global_load_dword v6, v[60:61], off
	global_load_dword v7, v[62:63], off
	global_load_dword v8, v[64:65], off
	global_load_dword v9, v[66:67], off
	global_load_dword v10, v[68:69], off
	global_load_dword v11, v[70:71], off
	global_load_dword v12, v[72:73], off
	global_load_dword v13, v[74:75], off
	global_load_dword v14, v[76:77], off
	global_load_dword v15, v[78:79], off
	global_load_dword v16, v[80:81], off
	global_load_dword v17, v[82:83], off
	global_load_dword v18, v[84:85], off
	global_load_dword v2, v24, s[0:1]
	global_load_dword v19, v[86:87], off
	global_load_dword v20, v[88:89], off
	;; [unrolled: 1-line block ×5, first 2 shown]
	s_cmpk_lg_i32 s49, 0x84
	v_mov_b32_e32 v1, 0
	s_cselect_b64 s[46:47], -1, 0
	s_cmpk_eq_i32 s49, 0x84
	v_cmp_eq_u32_e64 s[0:1], 0, v0
	s_cbranch_scc1 .LBB21_3
; %bb.2:
	v_cmp_eq_u32_e64 s[2:3], 1, v0
	s_waitcnt vmcnt(5)
	v_cndmask_b32_e64 v25, v2, v3, s[2:3]
	v_cmp_eq_u32_e64 s[4:5], 2, v0
	v_cndmask_b32_e64 v25, v25, v4, s[4:5]
	v_cmp_eq_u32_e64 s[6:7], 3, v0
	;; [unrolled: 2-line block ×16, first 2 shown]
	s_waitcnt vmcnt(4)
	v_cndmask_b32_e64 v25, v25, v19, s[36:37]
	v_cmp_eq_u32_e64 s[38:39], 18, v0
	s_waitcnt vmcnt(3)
	v_cndmask_b32_e64 v25, v25, v20, s[38:39]
	v_cmp_eq_u32_e64 s[40:41], 19, v0
	;; [unrolled: 3-line block ×4, first 2 shown]
	s_waitcnt vmcnt(0)
	v_cndmask_b32_e64 v25, v25, v23, s[44:45]
	v_div_scale_f32 v26, s[50:51], v25, v25, 1.0
	v_div_scale_f32 v27, vcc, 1.0, v25, 1.0
	v_rcp_f32_e32 v28, v26
	v_fma_f32 v29, -v26, v28, 1.0
	v_fmac_f32_e32 v28, v29, v28
	v_mul_f32_e32 v29, v27, v28
	v_fma_f32 v30, -v26, v29, v27
	v_fmac_f32_e32 v29, v30, v28
	v_fma_f32 v26, -v26, v29, v27
	v_div_fmas_f32 v26, v26, v28, v29
	v_div_fixup_f32 v25, v26, v25, 1.0
	v_cndmask_b32_e64 v23, v23, v25, s[44:45]
	v_cndmask_b32_e64 v22, v22, v25, s[42:43]
	;; [unrolled: 1-line block ×22, first 2 shown]
	v_xor_b32_e32 v25, 0x80000000, v25
.LBB21_3:
	s_cmpk_eq_i32 s48, 0x79
	v_add_u32_e32 v100, 0x60, v24
	ds_write_b32 v24, v25
	s_cbranch_scc1 .LBB21_7
; %bb.4:
	s_waitcnt vmcnt(0)
	v_mov_b32_e32 v55, v33
	v_mov_b32_e32 v54, v32
	;; [unrolled: 1-line block ×32, first 2 shown]
	v_cmp_eq_u32_e64 s[0:1], 21, v0
	ds_write_b32 v100, v22
	s_waitcnt lgkmcnt(0)
	; wave barrier
	s_and_saveexec_b64 s[2:3], s[0:1]
	s_cbranch_execz .LBB21_11
; %bb.5:
	s_and_b64 vcc, exec, s[46:47]
	s_cbranch_vccz .LBB21_8
; %bb.6:
	v_cmp_eq_u32_e32 vcc, 1, v0
	v_cndmask_b32_e32 v24, v2, v3, vcc
	v_cmp_eq_u32_e32 vcc, 2, v0
	v_cndmask_b32_e32 v24, v24, v4, vcc
	;; [unrolled: 2-line block ×17, first 2 shown]
	v_cmp_eq_u32_e32 vcc, 18, v0
	ds_read_b32 v25, v100
	v_cndmask_b32_e32 v24, v24, v20, vcc
	v_cmp_eq_u32_e32 vcc, 19, v0
	v_cndmask_b32_e32 v24, v24, v21, vcc
	v_cmp_eq_u32_e32 vcc, 20, v0
	;; [unrolled: 2-line block ×3, first 2 shown]
	v_cndmask_b32_e32 v24, v24, v23, vcc
	s_waitcnt lgkmcnt(0)
	v_mul_f32_e32 v28, v24, v25
	s_cbranch_execz .LBB21_9
	s_branch .LBB21_10
.LBB21_7:
                                        ; implicit-def: $vgpr24_vgpr25_vgpr26_vgpr27_vgpr28_vgpr29_vgpr30_vgpr31_vgpr32_vgpr33_vgpr34_vgpr35_vgpr36_vgpr37_vgpr38_vgpr39_vgpr40_vgpr41_vgpr42_vgpr43_vgpr44_vgpr45_vgpr46_vgpr47_vgpr48_vgpr49_vgpr50_vgpr51_vgpr52_vgpr53_vgpr54_vgpr55
	s_cbranch_execnz .LBB21_322
	s_branch .LBB21_535
.LBB21_8:
                                        ; implicit-def: $vgpr28
.LBB21_9:
	ds_read_b32 v28, v100
.LBB21_10:
	v_mov_b32_e32 v24, 0
	ds_read_b32 v29, v24 offset:80
	v_mov_b32_e32 v24, v2
	v_mov_b32_e32 v25, v3
	;; [unrolled: 1-line block ×4, first 2 shown]
	s_waitcnt lgkmcnt(0)
	v_mul_f32_e32 v44, v28, v29
	v_mov_b32_e32 v28, v6
	v_mov_b32_e32 v29, v7
	;; [unrolled: 1-line block ×17, first 2 shown]
.LBB21_11:
	s_or_b64 exec, exec, s[2:3]
	v_cmp_lt_u32_e64 s[2:3], 19, v0
	ds_write_b32 v100, v43
	s_waitcnt lgkmcnt(0)
	; wave barrier
	s_and_saveexec_b64 s[4:5], s[2:3]
	s_cbranch_execz .LBB21_17
; %bb.12:
	s_andn2_b64 vcc, exec, s[46:47]
	s_cbranch_vccnz .LBB21_14
; %bb.13:
	v_cmp_eq_u32_e32 vcc, 1, v0
	v_cndmask_b32_e32 v46, v24, v25, vcc
	v_cmp_eq_u32_e32 vcc, 2, v0
	v_cndmask_b32_e32 v46, v46, v26, vcc
	;; [unrolled: 2-line block ×19, first 2 shown]
	ds_read_b32 v46, v100
	v_cmp_eq_u32_e32 vcc, 20, v0
	v_cndmask_b32_e32 v43, v43, v44, vcc
	v_cmp_eq_u32_e32 vcc, 21, v0
	v_cndmask_b32_e32 v43, v43, v45, vcc
	s_waitcnt lgkmcnt(0)
	v_mul_f32_e32 v43, v43, v46
	s_cbranch_execz .LBB21_15
	s_branch .LBB21_16
.LBB21_14:
                                        ; implicit-def: $vgpr43
.LBB21_15:
	ds_read_b32 v43, v100
.LBB21_16:
	v_mov_b32_e32 v46, 0
	ds_read2_b32 v[46:47], v46 offset0:19 offset1:44
	s_waitcnt lgkmcnt(0)
	v_fma_f32 v47, v44, v47, v43
	v_cndmask_b32_e64 v43, v43, v47, s[0:1]
	v_mul_f32_e32 v43, v43, v46
.LBB21_17:
	s_or_b64 exec, exec, s[4:5]
	v_cmp_lt_u32_e64 s[0:1], 18, v0
	ds_write_b32 v100, v42
	s_waitcnt lgkmcnt(0)
	; wave barrier
	s_and_saveexec_b64 s[4:5], s[0:1]
	s_cbranch_execz .LBB21_33
; %bb.18:
	s_andn2_b64 vcc, exec, s[46:47]
	s_cbranch_vccnz .LBB21_20
; %bb.19:
	v_cmp_eq_u32_e32 vcc, 1, v0
	v_cndmask_b32_e32 v101, v24, v25, vcc
	v_cmp_eq_u32_e32 vcc, 2, v0
	v_cndmask_b32_e32 v101, v101, v26, vcc
	v_cmp_eq_u32_e32 vcc, 3, v0
	v_cndmask_b32_e32 v101, v101, v27, vcc
	v_cmp_eq_u32_e32 vcc, 4, v0
	v_cndmask_b32_e32 v101, v101, v28, vcc
	v_cmp_eq_u32_e32 vcc, 5, v0
	v_cndmask_b32_e32 v101, v101, v29, vcc
	v_cmp_eq_u32_e32 vcc, 6, v0
	v_cndmask_b32_e32 v101, v101, v30, vcc
	v_cmp_eq_u32_e32 vcc, 7, v0
	v_cndmask_b32_e32 v101, v101, v31, vcc
	v_cmp_eq_u32_e32 vcc, 8, v0
	v_cndmask_b32_e32 v101, v101, v32, vcc
	v_cmp_eq_u32_e32 vcc, 9, v0
	v_cndmask_b32_e32 v101, v101, v33, vcc
	v_cmp_eq_u32_e32 vcc, 10, v0
	v_cndmask_b32_e32 v101, v101, v34, vcc
	v_cmp_eq_u32_e32 vcc, 11, v0
	v_cndmask_b32_e32 v101, v101, v35, vcc
	v_cmp_eq_u32_e32 vcc, 12, v0
	v_cndmask_b32_e32 v101, v101, v36, vcc
	v_cmp_eq_u32_e32 vcc, 13, v0
	v_cndmask_b32_e32 v101, v101, v37, vcc
	v_cmp_eq_u32_e32 vcc, 14, v0
	v_cndmask_b32_e32 v101, v101, v38, vcc
	v_cmp_eq_u32_e32 vcc, 15, v0
	v_cndmask_b32_e32 v101, v101, v39, vcc
	v_cmp_eq_u32_e32 vcc, 16, v0
	v_cndmask_b32_e32 v101, v101, v40, vcc
	v_cmp_eq_u32_e32 vcc, 17, v0
	v_cndmask_b32_e32 v101, v101, v41, vcc
	v_cmp_eq_u32_e32 vcc, 18, v0
	ds_read_b32 v102, v100
	v_cndmask_b32_e32 v101, v101, v42, vcc
	v_cmp_eq_u32_e32 vcc, 19, v0
	v_cndmask_b32_e32 v101, v101, v43, vcc
	v_cmp_eq_u32_e32 vcc, 20, v0
	;; [unrolled: 2-line block ×3, first 2 shown]
	v_cndmask_b32_e32 v101, v101, v45, vcc
	s_waitcnt lgkmcnt(0)
	v_mul_f32_e32 v101, v101, v102
	s_cbranch_execz .LBB21_21
	s_branch .LBB21_22
.LBB21_20:
                                        ; implicit-def: $vgpr101
.LBB21_21:
	ds_read_b32 v101, v100
.LBB21_22:
	s_and_saveexec_b64 s[6:7], s[2:3]
	s_cbranch_execz .LBB21_32
; %bb.23:
	v_subrev_u32_e32 v104, 20, v0
	v_mov_b32_e32 v102, 19
	v_subrev_u32_e32 v103, 19, v0
	v_cmp_lt_u32_e32 vcc, 6, v104
	s_and_saveexec_b64 s[2:3], vcc
	s_cbranch_execz .LBB21_27
; %bb.24:
	v_and_b32_e32 v102, -8, v103
	v_sub_u32_e32 v104, 0, v102
	s_mov_b64 s[8:9], 26
	s_movk_i32 s12, 0xac
	s_mov_b64 s[10:11], 0
.LBB21_25:                              ; =>This Inner Loop Header: Depth=1
	s_add_i32 s13, s8, -7
	v_mov_b32_e32 v102, s12
	s_add_i32 s14, s8, -6
	s_set_gpr_idx_on s13, gpr_idx(SRC0)
	v_mov_b32_e32 v111, v24
	s_set_gpr_idx_off
	ds_read2_b32 v[105:106], v102 offset1:1
	s_add_i32 s15, s8, -5
	s_set_gpr_idx_on s14, gpr_idx(SRC0)
	v_mov_b32_e32 v112, v24
	s_set_gpr_idx_off
	s_add_i32 s16, s8, -4
	s_set_gpr_idx_on s15, gpr_idx(SRC0)
	v_mov_b32_e32 v113, v24
	s_set_gpr_idx_off
	ds_read2_b32 v[107:108], v102 offset0:2 offset1:3
	s_add_i32 s17, s8, -3
	s_set_gpr_idx_on s16, gpr_idx(SRC0)
	v_mov_b32_e32 v114, v24
	s_set_gpr_idx_off
	s_add_i32 s18, s8, -2
	s_set_gpr_idx_on s17, gpr_idx(SRC0)
	v_mov_b32_e32 v115, v24
	s_set_gpr_idx_off
	ds_read2_b32 v[109:110], v102 offset0:4 offset1:5
	s_add_i32 s19, s8, -1
	s_waitcnt lgkmcnt(2)
	v_fmac_f32_e32 v101, v111, v105
	s_set_gpr_idx_on s18, gpr_idx(SRC0)
	v_mov_b32_e32 v111, v24
	s_set_gpr_idx_off
	v_fmac_f32_e32 v101, v112, v106
	s_set_gpr_idx_on s19, gpr_idx(SRC0)
	v_mov_b32_e32 v112, v24
	s_set_gpr_idx_off
	ds_read2_b32 v[105:106], v102 offset0:6 offset1:7
	s_waitcnt lgkmcnt(2)
	v_fmac_f32_e32 v101, v113, v107
	s_set_gpr_idx_on s8, gpr_idx(SRC0)
	v_mov_b32_e32 v107, v24
	s_set_gpr_idx_off
	v_fmac_f32_e32 v101, v114, v108
	s_add_u32 s8, s8, 8
	s_waitcnt lgkmcnt(1)
	v_fmac_f32_e32 v101, v115, v109
	v_add_u32_e32 v102, s8, v104
	v_fmac_f32_e32 v101, v111, v110
	s_addc_u32 s9, s9, 0
	s_add_i32 s12, s12, 32
	s_add_i32 s13, s8, -7
	v_cmp_eq_u32_e32 vcc, 26, v102
	s_waitcnt lgkmcnt(0)
	v_fmac_f32_e32 v101, v112, v105
	v_mov_b32_e32 v102, s13
	s_or_b64 s[10:11], vcc, s[10:11]
	v_fmac_f32_e32 v101, v107, v106
	s_andn2_b64 exec, exec, s[10:11]
	s_cbranch_execnz .LBB21_25
; %bb.26:
	s_or_b64 exec, exec, s[10:11]
.LBB21_27:
	s_or_b64 exec, exec, s[2:3]
	v_and_b32_e32 v46, 7, v103
	v_cmp_ne_u32_e32 vcc, 0, v46
	s_and_saveexec_b64 s[8:9], vcc
	s_cbranch_execz .LBB21_31
; %bb.28:
	v_mov_b32_e32 v47, 0x60
	v_lshl_add_u32 v47, v102, 2, v47
	v_mov_b32_e32 v48, 0
	s_mov_b64 s[10:11], 0
.LBB21_29:                              ; =>This Inner Loop Header: Depth=1
	v_cmp_eq_u32_e32 vcc, 1, v102
	v_cndmask_b32_e32 v49, v24, v25, vcc
	v_add_u32_e32 v46, -1, v46
	v_cmp_eq_u32_e32 vcc, 2, v102
	v_cndmask_b32_e32 v49, v49, v26, vcc
	v_cmp_eq_u32_e32 vcc, 0, v46
	v_cmp_eq_u32_e64 s[2:3], 3, v102
	v_cndmask_b32_e64 v49, v49, v27, s[2:3]
	s_or_b64 s[10:11], vcc, s[10:11]
	v_cmp_eq_u32_e32 vcc, 4, v102
	v_cndmask_b32_e32 v49, v49, v28, vcc
	v_cmp_eq_u32_e32 vcc, 5, v102
	v_cndmask_b32_e32 v49, v49, v29, vcc
	;; [unrolled: 2-line block ×13, first 2 shown]
	v_cmp_eq_u32_e32 vcc, 17, v102
	ds_read_b32 v50, v47
	v_cndmask_b32_e32 v49, v49, v41, vcc
	v_cmp_eq_u32_e32 vcc, 18, v102
	v_cndmask_b32_e32 v49, v49, v42, vcc
	v_cmp_eq_u32_e32 vcc, 19, v102
	;; [unrolled: 2-line block ×4, first 2 shown]
	v_add_co_u32_e64 v102, s[2:3], 1, v102
	v_cndmask_b32_e32 v49, v49, v45, vcc
	v_add_u32_e32 v47, 4, v47
	v_addc_co_u32_e64 v48, s[2:3], 0, v48, s[2:3]
	s_waitcnt lgkmcnt(0)
	v_fmac_f32_e32 v101, v49, v50
	s_andn2_b64 exec, exec, s[10:11]
	s_cbranch_execnz .LBB21_29
; %bb.30:
	s_or_b64 exec, exec, s[10:11]
.LBB21_31:
	s_or_b64 exec, exec, s[8:9]
.LBB21_32:
	s_or_b64 exec, exec, s[6:7]
	v_mov_b32_e32 v42, 0
	ds_read_b32 v42, v42 offset:72
	s_waitcnt lgkmcnt(0)
	v_mul_f32_e32 v42, v101, v42
.LBB21_33:
	s_or_b64 exec, exec, s[4:5]
	v_cmp_lt_u32_e64 s[2:3], 17, v0
	ds_write_b32 v100, v41
	s_waitcnt lgkmcnt(0)
	; wave barrier
	s_and_saveexec_b64 s[4:5], s[2:3]
	s_cbranch_execz .LBB21_49
; %bb.34:
	s_andn2_b64 vcc, exec, s[46:47]
	s_cbranch_vccnz .LBB21_36
; %bb.35:
	v_cmp_eq_u32_e32 vcc, 1, v0
	v_cndmask_b32_e32 v101, v24, v25, vcc
	v_cmp_eq_u32_e32 vcc, 2, v0
	v_cndmask_b32_e32 v101, v101, v26, vcc
	;; [unrolled: 2-line block ×17, first 2 shown]
	v_cmp_eq_u32_e32 vcc, 18, v0
	ds_read_b32 v102, v100
	v_cndmask_b32_e32 v101, v101, v42, vcc
	v_cmp_eq_u32_e32 vcc, 19, v0
	v_cndmask_b32_e32 v101, v101, v43, vcc
	v_cmp_eq_u32_e32 vcc, 20, v0
	;; [unrolled: 2-line block ×3, first 2 shown]
	v_cndmask_b32_e32 v101, v101, v45, vcc
	s_waitcnt lgkmcnt(0)
	v_mul_f32_e32 v101, v101, v102
	s_cbranch_execz .LBB21_37
	s_branch .LBB21_38
.LBB21_36:
                                        ; implicit-def: $vgpr101
.LBB21_37:
	ds_read_b32 v101, v100
.LBB21_38:
	s_and_saveexec_b64 s[6:7], s[0:1]
	s_cbranch_execz .LBB21_48
; %bb.39:
	v_subrev_u32_e32 v104, 19, v0
	v_mov_b32_e32 v102, 18
	v_subrev_u32_e32 v103, 18, v0
	v_cmp_lt_u32_e32 vcc, 6, v104
	s_and_saveexec_b64 s[0:1], vcc
	s_cbranch_execz .LBB21_43
; %bb.40:
	v_and_b32_e32 v102, -8, v103
	v_sub_u32_e32 v104, 0, v102
	s_mov_b64 s[8:9], 25
	s_movk_i32 s12, 0xa8
	s_mov_b64 s[10:11], 0
.LBB21_41:                              ; =>This Inner Loop Header: Depth=1
	s_add_i32 s13, s8, -7
	v_mov_b32_e32 v102, s12
	s_add_i32 s14, s8, -6
	s_set_gpr_idx_on s13, gpr_idx(SRC0)
	v_mov_b32_e32 v113, v24
	s_set_gpr_idx_off
	ds_read2_b64 v[105:108], v102 offset1:1
	s_add_i32 s15, s8, -5
	s_set_gpr_idx_on s14, gpr_idx(SRC0)
	v_mov_b32_e32 v114, v24
	s_set_gpr_idx_off
	s_add_i32 s16, s8, -4
	s_set_gpr_idx_on s15, gpr_idx(SRC0)
	v_mov_b32_e32 v115, v24
	s_set_gpr_idx_off
	;; [unrolled: 4-line block ×4, first 2 shown]
	ds_read2_b64 v[109:112], v102 offset0:2 offset1:3
	s_add_i32 s19, s8, -1
	s_waitcnt lgkmcnt(1)
	v_fmac_f32_e32 v101, v113, v105
	s_set_gpr_idx_on s18, gpr_idx(SRC0)
	v_mov_b32_e32 v105, v24
	s_set_gpr_idx_off
	v_fmac_f32_e32 v101, v114, v106
	s_set_gpr_idx_on s19, gpr_idx(SRC0)
	v_mov_b32_e32 v106, v24
	s_set_gpr_idx_off
	;; [unrolled: 4-line block ×3, first 2 shown]
	v_fmac_f32_e32 v101, v116, v108
	s_add_u32 s8, s8, 8
	s_waitcnt lgkmcnt(0)
	v_fmac_f32_e32 v101, v117, v109
	v_add_u32_e32 v102, s8, v104
	v_fmac_f32_e32 v101, v105, v110
	s_addc_u32 s9, s9, 0
	s_add_i32 s12, s12, 32
	s_add_i32 s13, s8, -7
	v_cmp_eq_u32_e32 vcc, 25, v102
	v_fmac_f32_e32 v101, v106, v111
	v_mov_b32_e32 v102, s13
	s_or_b64 s[10:11], vcc, s[10:11]
	v_fmac_f32_e32 v101, v107, v112
	s_andn2_b64 exec, exec, s[10:11]
	s_cbranch_execnz .LBB21_41
; %bb.42:
	s_or_b64 exec, exec, s[10:11]
.LBB21_43:
	s_or_b64 exec, exec, s[0:1]
	v_and_b32_e32 v46, 7, v103
	v_cmp_ne_u32_e32 vcc, 0, v46
	s_and_saveexec_b64 s[8:9], vcc
	s_cbranch_execz .LBB21_47
; %bb.44:
	v_mov_b32_e32 v47, 0x60
	v_lshl_add_u32 v47, v102, 2, v47
	v_mov_b32_e32 v48, 0
	s_mov_b64 s[10:11], 0
.LBB21_45:                              ; =>This Inner Loop Header: Depth=1
	v_cmp_eq_u32_e32 vcc, 1, v102
	v_cndmask_b32_e32 v49, v24, v25, vcc
	v_add_u32_e32 v46, -1, v46
	v_cmp_eq_u32_e32 vcc, 2, v102
	v_cndmask_b32_e32 v49, v49, v26, vcc
	v_cmp_eq_u32_e32 vcc, 0, v46
	v_cmp_eq_u32_e64 s[0:1], 3, v102
	v_cndmask_b32_e64 v49, v49, v27, s[0:1]
	s_or_b64 s[10:11], vcc, s[10:11]
	v_cmp_eq_u32_e32 vcc, 4, v102
	v_cndmask_b32_e32 v49, v49, v28, vcc
	v_cmp_eq_u32_e32 vcc, 5, v102
	v_cndmask_b32_e32 v49, v49, v29, vcc
	v_cmp_eq_u32_e32 vcc, 6, v102
	v_cndmask_b32_e32 v49, v49, v30, vcc
	v_cmp_eq_u32_e32 vcc, 7, v102
	v_cndmask_b32_e32 v49, v49, v31, vcc
	v_cmp_eq_u32_e32 vcc, 8, v102
	v_cndmask_b32_e32 v49, v49, v32, vcc
	v_cmp_eq_u32_e32 vcc, 9, v102
	v_cndmask_b32_e32 v49, v49, v33, vcc
	v_cmp_eq_u32_e32 vcc, 10, v102
	v_cndmask_b32_e32 v49, v49, v34, vcc
	v_cmp_eq_u32_e32 vcc, 11, v102
	v_cndmask_b32_e32 v49, v49, v35, vcc
	v_cmp_eq_u32_e32 vcc, 12, v102
	v_cndmask_b32_e32 v49, v49, v36, vcc
	v_cmp_eq_u32_e32 vcc, 13, v102
	v_cndmask_b32_e32 v49, v49, v37, vcc
	v_cmp_eq_u32_e32 vcc, 14, v102
	v_cndmask_b32_e32 v49, v49, v38, vcc
	v_cmp_eq_u32_e32 vcc, 15, v102
	v_cndmask_b32_e32 v49, v49, v39, vcc
	v_cmp_eq_u32_e32 vcc, 16, v102
	v_cndmask_b32_e32 v49, v49, v40, vcc
	v_cmp_eq_u32_e32 vcc, 17, v102
	ds_read_b32 v50, v47
	v_cndmask_b32_e32 v49, v49, v41, vcc
	v_cmp_eq_u32_e32 vcc, 18, v102
	v_cndmask_b32_e32 v49, v49, v42, vcc
	v_cmp_eq_u32_e32 vcc, 19, v102
	;; [unrolled: 2-line block ×4, first 2 shown]
	v_add_co_u32_e64 v102, s[0:1], 1, v102
	v_cndmask_b32_e32 v49, v49, v45, vcc
	v_add_u32_e32 v47, 4, v47
	v_addc_co_u32_e64 v48, s[0:1], 0, v48, s[0:1]
	s_waitcnt lgkmcnt(0)
	v_fmac_f32_e32 v101, v49, v50
	s_andn2_b64 exec, exec, s[10:11]
	s_cbranch_execnz .LBB21_45
; %bb.46:
	s_or_b64 exec, exec, s[10:11]
.LBB21_47:
	s_or_b64 exec, exec, s[8:9]
.LBB21_48:
	s_or_b64 exec, exec, s[6:7]
	v_mov_b32_e32 v41, 0
	ds_read_b32 v41, v41 offset:68
	s_waitcnt lgkmcnt(0)
	v_mul_f32_e32 v41, v101, v41
.LBB21_49:
	s_or_b64 exec, exec, s[4:5]
	v_cmp_lt_u32_e64 s[0:1], 16, v0
	ds_write_b32 v100, v40
	s_waitcnt lgkmcnt(0)
	; wave barrier
	s_and_saveexec_b64 s[4:5], s[0:1]
	s_cbranch_execz .LBB21_65
; %bb.50:
	s_andn2_b64 vcc, exec, s[46:47]
	s_cbranch_vccnz .LBB21_52
; %bb.51:
	v_cmp_eq_u32_e32 vcc, 1, v0
	v_cndmask_b32_e32 v101, v24, v25, vcc
	v_cmp_eq_u32_e32 vcc, 2, v0
	v_cndmask_b32_e32 v101, v101, v26, vcc
	;; [unrolled: 2-line block ×17, first 2 shown]
	v_cmp_eq_u32_e32 vcc, 18, v0
	ds_read_b32 v102, v100
	v_cndmask_b32_e32 v101, v101, v42, vcc
	v_cmp_eq_u32_e32 vcc, 19, v0
	v_cndmask_b32_e32 v101, v101, v43, vcc
	v_cmp_eq_u32_e32 vcc, 20, v0
	v_cndmask_b32_e32 v101, v101, v44, vcc
	v_cmp_eq_u32_e32 vcc, 21, v0
	v_cndmask_b32_e32 v101, v101, v45, vcc
	s_waitcnt lgkmcnt(0)
	v_mul_f32_e32 v101, v101, v102
	s_cbranch_execz .LBB21_53
	s_branch .LBB21_54
.LBB21_52:
                                        ; implicit-def: $vgpr101
.LBB21_53:
	ds_read_b32 v101, v100
.LBB21_54:
	s_and_saveexec_b64 s[6:7], s[2:3]
	s_cbranch_execz .LBB21_64
; %bb.55:
	v_subrev_u32_e32 v104, 18, v0
	v_mov_b32_e32 v102, 17
	v_subrev_u32_e32 v103, 17, v0
	v_cmp_lt_u32_e32 vcc, 6, v104
	s_and_saveexec_b64 s[2:3], vcc
	s_cbranch_execz .LBB21_59
; %bb.56:
	v_and_b32_e32 v102, -8, v103
	v_sub_u32_e32 v104, 0, v102
	s_mov_b64 s[8:9], 24
	s_movk_i32 s12, 0xa4
	s_mov_b64 s[10:11], 0
.LBB21_57:                              ; =>This Inner Loop Header: Depth=1
	s_add_i32 s13, s8, -7
	v_mov_b32_e32 v102, s12
	s_add_i32 s14, s8, -6
	s_set_gpr_idx_on s13, gpr_idx(SRC0)
	v_mov_b32_e32 v111, v24
	s_set_gpr_idx_off
	ds_read2_b32 v[105:106], v102 offset1:1
	s_add_i32 s15, s8, -5
	s_set_gpr_idx_on s14, gpr_idx(SRC0)
	v_mov_b32_e32 v112, v24
	s_set_gpr_idx_off
	s_add_i32 s16, s8, -4
	s_set_gpr_idx_on s15, gpr_idx(SRC0)
	v_mov_b32_e32 v113, v24
	s_set_gpr_idx_off
	ds_read2_b32 v[107:108], v102 offset0:2 offset1:3
	s_add_i32 s17, s8, -3
	s_set_gpr_idx_on s16, gpr_idx(SRC0)
	v_mov_b32_e32 v114, v24
	s_set_gpr_idx_off
	s_add_i32 s18, s8, -2
	s_set_gpr_idx_on s17, gpr_idx(SRC0)
	v_mov_b32_e32 v115, v24
	s_set_gpr_idx_off
	ds_read2_b32 v[109:110], v102 offset0:4 offset1:5
	s_add_i32 s19, s8, -1
	s_waitcnt lgkmcnt(2)
	v_fmac_f32_e32 v101, v111, v105
	s_set_gpr_idx_on s18, gpr_idx(SRC0)
	v_mov_b32_e32 v111, v24
	s_set_gpr_idx_off
	v_fmac_f32_e32 v101, v112, v106
	s_set_gpr_idx_on s19, gpr_idx(SRC0)
	v_mov_b32_e32 v112, v24
	s_set_gpr_idx_off
	ds_read2_b32 v[105:106], v102 offset0:6 offset1:7
	s_waitcnt lgkmcnt(2)
	v_fmac_f32_e32 v101, v113, v107
	s_set_gpr_idx_on s8, gpr_idx(SRC0)
	v_mov_b32_e32 v107, v24
	s_set_gpr_idx_off
	v_fmac_f32_e32 v101, v114, v108
	s_add_u32 s8, s8, 8
	s_waitcnt lgkmcnt(1)
	v_fmac_f32_e32 v101, v115, v109
	v_add_u32_e32 v102, s8, v104
	v_fmac_f32_e32 v101, v111, v110
	s_addc_u32 s9, s9, 0
	s_add_i32 s12, s12, 32
	s_add_i32 s13, s8, -7
	v_cmp_eq_u32_e32 vcc, 24, v102
	s_waitcnt lgkmcnt(0)
	v_fmac_f32_e32 v101, v112, v105
	v_mov_b32_e32 v102, s13
	s_or_b64 s[10:11], vcc, s[10:11]
	v_fmac_f32_e32 v101, v107, v106
	s_andn2_b64 exec, exec, s[10:11]
	s_cbranch_execnz .LBB21_57
; %bb.58:
	s_or_b64 exec, exec, s[10:11]
.LBB21_59:
	s_or_b64 exec, exec, s[2:3]
	v_and_b32_e32 v46, 7, v103
	v_cmp_ne_u32_e32 vcc, 0, v46
	s_and_saveexec_b64 s[8:9], vcc
	s_cbranch_execz .LBB21_63
; %bb.60:
	v_mov_b32_e32 v47, 0x60
	v_lshl_add_u32 v47, v102, 2, v47
	v_mov_b32_e32 v48, 0
	s_mov_b64 s[10:11], 0
.LBB21_61:                              ; =>This Inner Loop Header: Depth=1
	v_cmp_eq_u32_e32 vcc, 1, v102
	v_cndmask_b32_e32 v49, v24, v25, vcc
	v_add_u32_e32 v46, -1, v46
	v_cmp_eq_u32_e32 vcc, 2, v102
	v_cndmask_b32_e32 v49, v49, v26, vcc
	v_cmp_eq_u32_e32 vcc, 0, v46
	v_cmp_eq_u32_e64 s[2:3], 3, v102
	v_cndmask_b32_e64 v49, v49, v27, s[2:3]
	s_or_b64 s[10:11], vcc, s[10:11]
	v_cmp_eq_u32_e32 vcc, 4, v102
	v_cndmask_b32_e32 v49, v49, v28, vcc
	v_cmp_eq_u32_e32 vcc, 5, v102
	v_cndmask_b32_e32 v49, v49, v29, vcc
	;; [unrolled: 2-line block ×13, first 2 shown]
	v_cmp_eq_u32_e32 vcc, 17, v102
	ds_read_b32 v50, v47
	v_cndmask_b32_e32 v49, v49, v41, vcc
	v_cmp_eq_u32_e32 vcc, 18, v102
	v_cndmask_b32_e32 v49, v49, v42, vcc
	v_cmp_eq_u32_e32 vcc, 19, v102
	;; [unrolled: 2-line block ×4, first 2 shown]
	v_add_co_u32_e64 v102, s[2:3], 1, v102
	v_cndmask_b32_e32 v49, v49, v45, vcc
	v_add_u32_e32 v47, 4, v47
	v_addc_co_u32_e64 v48, s[2:3], 0, v48, s[2:3]
	s_waitcnt lgkmcnt(0)
	v_fmac_f32_e32 v101, v49, v50
	s_andn2_b64 exec, exec, s[10:11]
	s_cbranch_execnz .LBB21_61
; %bb.62:
	s_or_b64 exec, exec, s[10:11]
.LBB21_63:
	s_or_b64 exec, exec, s[8:9]
.LBB21_64:
	s_or_b64 exec, exec, s[6:7]
	v_mov_b32_e32 v40, 0
	ds_read_b32 v40, v40 offset:64
	s_waitcnt lgkmcnt(0)
	v_mul_f32_e32 v40, v101, v40
.LBB21_65:
	s_or_b64 exec, exec, s[4:5]
	v_cmp_lt_u32_e64 s[2:3], 15, v0
	ds_write_b32 v100, v39
	s_waitcnt lgkmcnt(0)
	; wave barrier
	s_and_saveexec_b64 s[4:5], s[2:3]
	s_cbranch_execz .LBB21_81
; %bb.66:
	s_andn2_b64 vcc, exec, s[46:47]
	s_cbranch_vccnz .LBB21_68
; %bb.67:
	v_cmp_eq_u32_e32 vcc, 1, v0
	v_cndmask_b32_e32 v101, v24, v25, vcc
	v_cmp_eq_u32_e32 vcc, 2, v0
	v_cndmask_b32_e32 v101, v101, v26, vcc
	;; [unrolled: 2-line block ×17, first 2 shown]
	v_cmp_eq_u32_e32 vcc, 18, v0
	ds_read_b32 v102, v100
	v_cndmask_b32_e32 v101, v101, v42, vcc
	v_cmp_eq_u32_e32 vcc, 19, v0
	v_cndmask_b32_e32 v101, v101, v43, vcc
	v_cmp_eq_u32_e32 vcc, 20, v0
	;; [unrolled: 2-line block ×3, first 2 shown]
	v_cndmask_b32_e32 v101, v101, v45, vcc
	s_waitcnt lgkmcnt(0)
	v_mul_f32_e32 v101, v101, v102
	s_cbranch_execz .LBB21_69
	s_branch .LBB21_70
.LBB21_68:
                                        ; implicit-def: $vgpr101
.LBB21_69:
	ds_read_b32 v101, v100
.LBB21_70:
	s_and_saveexec_b64 s[6:7], s[0:1]
	s_cbranch_execz .LBB21_80
; %bb.71:
	v_subrev_u32_e32 v102, 17, v0
	v_cmp_lt_u32_e32 vcc, 6, v102
	v_mov_b32_e32 v102, 16
	s_and_saveexec_b64 s[0:1], vcc
	s_cbranch_execz .LBB21_75
; %bb.72:
	v_and_b32_e32 v102, 24, v0
	v_sub_u32_e32 v103, 0, v102
	s_mov_b64 s[8:9], 23
	s_movk_i32 s12, 0xa0
	s_mov_b64 s[10:11], 0
.LBB21_73:                              ; =>This Inner Loop Header: Depth=1
	s_add_i32 s13, s8, -7
	v_mov_b32_e32 v102, s12
	s_add_i32 s14, s8, -6
	s_set_gpr_idx_on s13, gpr_idx(SRC0)
	v_mov_b32_e32 v112, v24
	s_set_gpr_idx_off
	s_add_i32 s15, s8, -5
	ds_read_b128 v[104:107], v102
	ds_read_b128 v[108:111], v102 offset:16
	s_set_gpr_idx_on s14, gpr_idx(SRC0)
	v_mov_b32_e32 v102, v24
	s_set_gpr_idx_off
	s_add_i32 s16, s8, -4
	s_set_gpr_idx_on s15, gpr_idx(SRC0)
	v_mov_b32_e32 v113, v24
	s_set_gpr_idx_off
	s_add_i32 s17, s8, -3
	;; [unrolled: 4-line block ×4, first 2 shown]
	s_waitcnt lgkmcnt(1)
	v_fmac_f32_e32 v101, v112, v104
	s_set_gpr_idx_on s18, gpr_idx(SRC0)
	v_mov_b32_e32 v104, v24
	s_set_gpr_idx_off
	v_fmac_f32_e32 v101, v102, v105
	s_set_gpr_idx_on s19, gpr_idx(SRC0)
	v_mov_b32_e32 v105, v24
	s_set_gpr_idx_off
	;; [unrolled: 4-line block ×3, first 2 shown]
	v_fmac_f32_e32 v101, v114, v107
	s_add_u32 s8, s8, 8
	s_waitcnt lgkmcnt(0)
	v_fmac_f32_e32 v101, v115, v108
	v_add_u32_e32 v102, s8, v103
	v_fmac_f32_e32 v101, v104, v109
	s_addc_u32 s9, s9, 0
	s_add_i32 s12, s12, 32
	s_add_i32 s13, s8, -7
	v_cmp_eq_u32_e32 vcc, 7, v102
	v_fmac_f32_e32 v101, v105, v110
	v_mov_b32_e32 v102, s13
	s_or_b64 s[10:11], vcc, s[10:11]
	v_fmac_f32_e32 v101, v106, v111
	s_andn2_b64 exec, exec, s[10:11]
	s_cbranch_execnz .LBB21_73
; %bb.74:
	s_or_b64 exec, exec, s[10:11]
.LBB21_75:
	s_or_b64 exec, exec, s[0:1]
	v_and_b32_e32 v46, 7, v0
	v_cmp_ne_u32_e32 vcc, 0, v46
	s_and_saveexec_b64 s[8:9], vcc
	s_cbranch_execz .LBB21_79
; %bb.76:
	v_mov_b32_e32 v47, 0x60
	v_lshl_add_u32 v47, v102, 2, v47
	v_mov_b32_e32 v48, 0
	s_mov_b64 s[10:11], 0
.LBB21_77:                              ; =>This Inner Loop Header: Depth=1
	v_cmp_eq_u32_e32 vcc, 1, v102
	v_cndmask_b32_e32 v49, v24, v25, vcc
	v_add_u32_e32 v46, -1, v46
	v_cmp_eq_u32_e32 vcc, 2, v102
	v_cndmask_b32_e32 v49, v49, v26, vcc
	v_cmp_eq_u32_e32 vcc, 0, v46
	v_cmp_eq_u32_e64 s[0:1], 3, v102
	v_cndmask_b32_e64 v49, v49, v27, s[0:1]
	s_or_b64 s[10:11], vcc, s[10:11]
	v_cmp_eq_u32_e32 vcc, 4, v102
	v_cndmask_b32_e32 v49, v49, v28, vcc
	v_cmp_eq_u32_e32 vcc, 5, v102
	v_cndmask_b32_e32 v49, v49, v29, vcc
	;; [unrolled: 2-line block ×13, first 2 shown]
	v_cmp_eq_u32_e32 vcc, 17, v102
	ds_read_b32 v50, v47
	v_cndmask_b32_e32 v49, v49, v41, vcc
	v_cmp_eq_u32_e32 vcc, 18, v102
	v_cndmask_b32_e32 v49, v49, v42, vcc
	v_cmp_eq_u32_e32 vcc, 19, v102
	;; [unrolled: 2-line block ×4, first 2 shown]
	v_add_co_u32_e64 v102, s[0:1], 1, v102
	v_cndmask_b32_e32 v49, v49, v45, vcc
	v_add_u32_e32 v47, 4, v47
	v_addc_co_u32_e64 v48, s[0:1], 0, v48, s[0:1]
	s_waitcnt lgkmcnt(0)
	v_fmac_f32_e32 v101, v49, v50
	s_andn2_b64 exec, exec, s[10:11]
	s_cbranch_execnz .LBB21_77
; %bb.78:
	s_or_b64 exec, exec, s[10:11]
.LBB21_79:
	s_or_b64 exec, exec, s[8:9]
.LBB21_80:
	s_or_b64 exec, exec, s[6:7]
	v_mov_b32_e32 v39, 0
	ds_read_b32 v39, v39 offset:60
	s_waitcnt lgkmcnt(0)
	v_mul_f32_e32 v39, v101, v39
.LBB21_81:
	s_or_b64 exec, exec, s[4:5]
	v_cmp_lt_u32_e64 s[0:1], 14, v0
	ds_write_b32 v100, v38
	s_waitcnt lgkmcnt(0)
	; wave barrier
	s_and_saveexec_b64 s[4:5], s[0:1]
	s_cbranch_execz .LBB21_97
; %bb.82:
	s_andn2_b64 vcc, exec, s[46:47]
	s_cbranch_vccnz .LBB21_84
; %bb.83:
	v_cmp_eq_u32_e32 vcc, 1, v0
	v_cndmask_b32_e32 v101, v24, v25, vcc
	v_cmp_eq_u32_e32 vcc, 2, v0
	v_cndmask_b32_e32 v101, v101, v26, vcc
	;; [unrolled: 2-line block ×17, first 2 shown]
	v_cmp_eq_u32_e32 vcc, 18, v0
	ds_read_b32 v102, v100
	v_cndmask_b32_e32 v101, v101, v42, vcc
	v_cmp_eq_u32_e32 vcc, 19, v0
	v_cndmask_b32_e32 v101, v101, v43, vcc
	v_cmp_eq_u32_e32 vcc, 20, v0
	;; [unrolled: 2-line block ×3, first 2 shown]
	v_cndmask_b32_e32 v101, v101, v45, vcc
	s_waitcnt lgkmcnt(0)
	v_mul_f32_e32 v101, v101, v102
	s_cbranch_execz .LBB21_85
	s_branch .LBB21_86
.LBB21_84:
                                        ; implicit-def: $vgpr101
.LBB21_85:
	ds_read_b32 v101, v100
.LBB21_86:
	s_and_saveexec_b64 s[6:7], s[2:3]
	s_cbranch_execz .LBB21_96
; %bb.87:
	v_add_u32_e32 v102, -16, v0
	v_add_u32_e32 v103, -15, v0
	v_cmp_lt_u32_e32 vcc, 6, v102
	v_mov_b32_e32 v102, 15
	s_and_saveexec_b64 s[2:3], vcc
	s_cbranch_execz .LBB21_91
; %bb.88:
	v_and_b32_e32 v102, -8, v103
	v_sub_u32_e32 v104, 0, v102
	s_mov_b64 s[8:9], 22
	s_movk_i32 s12, 0x9c
	s_mov_b64 s[10:11], 0
.LBB21_89:                              ; =>This Inner Loop Header: Depth=1
	s_add_i32 s13, s8, -7
	v_mov_b32_e32 v102, s12
	s_add_i32 s14, s8, -6
	s_set_gpr_idx_on s13, gpr_idx(SRC0)
	v_mov_b32_e32 v111, v24
	s_set_gpr_idx_off
	ds_read2_b32 v[105:106], v102 offset1:1
	s_add_i32 s15, s8, -5
	s_set_gpr_idx_on s14, gpr_idx(SRC0)
	v_mov_b32_e32 v112, v24
	s_set_gpr_idx_off
	s_add_i32 s16, s8, -4
	s_set_gpr_idx_on s15, gpr_idx(SRC0)
	v_mov_b32_e32 v113, v24
	s_set_gpr_idx_off
	ds_read2_b32 v[107:108], v102 offset0:2 offset1:3
	s_add_i32 s17, s8, -3
	s_set_gpr_idx_on s16, gpr_idx(SRC0)
	v_mov_b32_e32 v114, v24
	s_set_gpr_idx_off
	s_add_i32 s18, s8, -2
	s_set_gpr_idx_on s17, gpr_idx(SRC0)
	v_mov_b32_e32 v115, v24
	s_set_gpr_idx_off
	ds_read2_b32 v[109:110], v102 offset0:4 offset1:5
	s_add_i32 s19, s8, -1
	s_waitcnt lgkmcnt(2)
	v_fmac_f32_e32 v101, v111, v105
	s_set_gpr_idx_on s18, gpr_idx(SRC0)
	v_mov_b32_e32 v111, v24
	s_set_gpr_idx_off
	v_fmac_f32_e32 v101, v112, v106
	s_set_gpr_idx_on s19, gpr_idx(SRC0)
	v_mov_b32_e32 v112, v24
	s_set_gpr_idx_off
	ds_read2_b32 v[105:106], v102 offset0:6 offset1:7
	s_waitcnt lgkmcnt(2)
	v_fmac_f32_e32 v101, v113, v107
	s_set_gpr_idx_on s8, gpr_idx(SRC0)
	v_mov_b32_e32 v107, v24
	s_set_gpr_idx_off
	v_fmac_f32_e32 v101, v114, v108
	s_add_u32 s8, s8, 8
	s_waitcnt lgkmcnt(1)
	v_fmac_f32_e32 v101, v115, v109
	v_add_u32_e32 v102, s8, v104
	v_fmac_f32_e32 v101, v111, v110
	s_addc_u32 s9, s9, 0
	s_add_i32 s12, s12, 32
	s_add_i32 s13, s8, -7
	v_cmp_eq_u32_e32 vcc, 22, v102
	s_waitcnt lgkmcnt(0)
	v_fmac_f32_e32 v101, v112, v105
	v_mov_b32_e32 v102, s13
	s_or_b64 s[10:11], vcc, s[10:11]
	v_fmac_f32_e32 v101, v107, v106
	s_andn2_b64 exec, exec, s[10:11]
	s_cbranch_execnz .LBB21_89
; %bb.90:
	s_or_b64 exec, exec, s[10:11]
.LBB21_91:
	s_or_b64 exec, exec, s[2:3]
	v_and_b32_e32 v46, 7, v103
	v_cmp_ne_u32_e32 vcc, 0, v46
	s_and_saveexec_b64 s[8:9], vcc
	s_cbranch_execz .LBB21_95
; %bb.92:
	v_mov_b32_e32 v47, 0x60
	v_lshl_add_u32 v47, v102, 2, v47
	v_mov_b32_e32 v48, 0
	s_mov_b64 s[10:11], 0
.LBB21_93:                              ; =>This Inner Loop Header: Depth=1
	v_cmp_eq_u32_e32 vcc, 1, v102
	v_cndmask_b32_e32 v49, v24, v25, vcc
	v_add_u32_e32 v46, -1, v46
	v_cmp_eq_u32_e32 vcc, 2, v102
	v_cndmask_b32_e32 v49, v49, v26, vcc
	v_cmp_eq_u32_e32 vcc, 0, v46
	v_cmp_eq_u32_e64 s[2:3], 3, v102
	v_cndmask_b32_e64 v49, v49, v27, s[2:3]
	s_or_b64 s[10:11], vcc, s[10:11]
	v_cmp_eq_u32_e32 vcc, 4, v102
	v_cndmask_b32_e32 v49, v49, v28, vcc
	v_cmp_eq_u32_e32 vcc, 5, v102
	v_cndmask_b32_e32 v49, v49, v29, vcc
	;; [unrolled: 2-line block ×13, first 2 shown]
	v_cmp_eq_u32_e32 vcc, 17, v102
	ds_read_b32 v50, v47
	v_cndmask_b32_e32 v49, v49, v41, vcc
	v_cmp_eq_u32_e32 vcc, 18, v102
	v_cndmask_b32_e32 v49, v49, v42, vcc
	v_cmp_eq_u32_e32 vcc, 19, v102
	;; [unrolled: 2-line block ×4, first 2 shown]
	v_add_co_u32_e64 v102, s[2:3], 1, v102
	v_cndmask_b32_e32 v49, v49, v45, vcc
	v_add_u32_e32 v47, 4, v47
	v_addc_co_u32_e64 v48, s[2:3], 0, v48, s[2:3]
	s_waitcnt lgkmcnt(0)
	v_fmac_f32_e32 v101, v49, v50
	s_andn2_b64 exec, exec, s[10:11]
	s_cbranch_execnz .LBB21_93
; %bb.94:
	s_or_b64 exec, exec, s[10:11]
.LBB21_95:
	s_or_b64 exec, exec, s[8:9]
.LBB21_96:
	s_or_b64 exec, exec, s[6:7]
	v_mov_b32_e32 v38, 0
	ds_read_b32 v38, v38 offset:56
	s_waitcnt lgkmcnt(0)
	v_mul_f32_e32 v38, v101, v38
.LBB21_97:
	s_or_b64 exec, exec, s[4:5]
	v_cmp_lt_u32_e64 s[2:3], 13, v0
	ds_write_b32 v100, v37
	s_waitcnt lgkmcnt(0)
	; wave barrier
	s_and_saveexec_b64 s[4:5], s[2:3]
	s_cbranch_execz .LBB21_113
; %bb.98:
	s_andn2_b64 vcc, exec, s[46:47]
	s_cbranch_vccnz .LBB21_100
; %bb.99:
	v_cmp_eq_u32_e32 vcc, 1, v0
	v_cndmask_b32_e32 v101, v24, v25, vcc
	v_cmp_eq_u32_e32 vcc, 2, v0
	v_cndmask_b32_e32 v101, v101, v26, vcc
	;; [unrolled: 2-line block ×17, first 2 shown]
	v_cmp_eq_u32_e32 vcc, 18, v0
	ds_read_b32 v102, v100
	v_cndmask_b32_e32 v101, v101, v42, vcc
	v_cmp_eq_u32_e32 vcc, 19, v0
	v_cndmask_b32_e32 v101, v101, v43, vcc
	v_cmp_eq_u32_e32 vcc, 20, v0
	;; [unrolled: 2-line block ×3, first 2 shown]
	v_cndmask_b32_e32 v101, v101, v45, vcc
	s_waitcnt lgkmcnt(0)
	v_mul_f32_e32 v101, v101, v102
	s_cbranch_execz .LBB21_101
	s_branch .LBB21_102
.LBB21_100:
                                        ; implicit-def: $vgpr101
.LBB21_101:
	ds_read_b32 v101, v100
.LBB21_102:
	s_and_saveexec_b64 s[6:7], s[0:1]
	s_cbranch_execz .LBB21_112
; %bb.103:
	v_add_u32_e32 v102, -15, v0
	v_add_u32_e32 v103, -14, v0
	v_cmp_lt_u32_e32 vcc, 6, v102
	v_mov_b32_e32 v102, 14
	s_and_saveexec_b64 s[0:1], vcc
	s_cbranch_execz .LBB21_107
; %bb.104:
	v_and_b32_e32 v102, -8, v103
	v_sub_u32_e32 v104, 0, v102
	s_mov_b64 s[8:9], 21
	s_movk_i32 s12, 0x98
	s_mov_b64 s[10:11], 0
.LBB21_105:                             ; =>This Inner Loop Header: Depth=1
	s_add_i32 s13, s8, -7
	v_mov_b32_e32 v102, s12
	s_add_i32 s14, s8, -6
	s_set_gpr_idx_on s13, gpr_idx(SRC0)
	v_mov_b32_e32 v113, v24
	s_set_gpr_idx_off
	ds_read2_b64 v[105:108], v102 offset1:1
	s_add_i32 s15, s8, -5
	s_set_gpr_idx_on s14, gpr_idx(SRC0)
	v_mov_b32_e32 v114, v24
	s_set_gpr_idx_off
	s_add_i32 s16, s8, -4
	s_set_gpr_idx_on s15, gpr_idx(SRC0)
	v_mov_b32_e32 v115, v24
	s_set_gpr_idx_off
	;; [unrolled: 4-line block ×4, first 2 shown]
	ds_read2_b64 v[109:112], v102 offset0:2 offset1:3
	s_add_i32 s19, s8, -1
	s_waitcnt lgkmcnt(1)
	v_fmac_f32_e32 v101, v113, v105
	s_set_gpr_idx_on s18, gpr_idx(SRC0)
	v_mov_b32_e32 v105, v24
	s_set_gpr_idx_off
	v_fmac_f32_e32 v101, v114, v106
	s_set_gpr_idx_on s19, gpr_idx(SRC0)
	v_mov_b32_e32 v106, v24
	s_set_gpr_idx_off
	;; [unrolled: 4-line block ×3, first 2 shown]
	v_fmac_f32_e32 v101, v116, v108
	s_add_u32 s8, s8, 8
	s_waitcnt lgkmcnt(0)
	v_fmac_f32_e32 v101, v117, v109
	v_add_u32_e32 v102, s8, v104
	v_fmac_f32_e32 v101, v105, v110
	s_addc_u32 s9, s9, 0
	s_add_i32 s12, s12, 32
	s_add_i32 s13, s8, -7
	v_cmp_eq_u32_e32 vcc, 21, v102
	v_fmac_f32_e32 v101, v106, v111
	v_mov_b32_e32 v102, s13
	s_or_b64 s[10:11], vcc, s[10:11]
	v_fmac_f32_e32 v101, v107, v112
	s_andn2_b64 exec, exec, s[10:11]
	s_cbranch_execnz .LBB21_105
; %bb.106:
	s_or_b64 exec, exec, s[10:11]
.LBB21_107:
	s_or_b64 exec, exec, s[0:1]
	v_and_b32_e32 v46, 7, v103
	v_cmp_ne_u32_e32 vcc, 0, v46
	s_and_saveexec_b64 s[8:9], vcc
	s_cbranch_execz .LBB21_111
; %bb.108:
	v_mov_b32_e32 v47, 0x60
	v_lshl_add_u32 v47, v102, 2, v47
	v_mov_b32_e32 v48, 0
	s_mov_b64 s[10:11], 0
.LBB21_109:                             ; =>This Inner Loop Header: Depth=1
	v_cmp_eq_u32_e32 vcc, 1, v102
	v_cndmask_b32_e32 v49, v24, v25, vcc
	v_add_u32_e32 v46, -1, v46
	v_cmp_eq_u32_e32 vcc, 2, v102
	v_cndmask_b32_e32 v49, v49, v26, vcc
	v_cmp_eq_u32_e32 vcc, 0, v46
	v_cmp_eq_u32_e64 s[0:1], 3, v102
	v_cndmask_b32_e64 v49, v49, v27, s[0:1]
	s_or_b64 s[10:11], vcc, s[10:11]
	v_cmp_eq_u32_e32 vcc, 4, v102
	v_cndmask_b32_e32 v49, v49, v28, vcc
	v_cmp_eq_u32_e32 vcc, 5, v102
	v_cndmask_b32_e32 v49, v49, v29, vcc
	;; [unrolled: 2-line block ×13, first 2 shown]
	v_cmp_eq_u32_e32 vcc, 17, v102
	ds_read_b32 v50, v47
	v_cndmask_b32_e32 v49, v49, v41, vcc
	v_cmp_eq_u32_e32 vcc, 18, v102
	v_cndmask_b32_e32 v49, v49, v42, vcc
	v_cmp_eq_u32_e32 vcc, 19, v102
	;; [unrolled: 2-line block ×4, first 2 shown]
	v_add_co_u32_e64 v102, s[0:1], 1, v102
	v_cndmask_b32_e32 v49, v49, v45, vcc
	v_add_u32_e32 v47, 4, v47
	v_addc_co_u32_e64 v48, s[0:1], 0, v48, s[0:1]
	s_waitcnt lgkmcnt(0)
	v_fmac_f32_e32 v101, v49, v50
	s_andn2_b64 exec, exec, s[10:11]
	s_cbranch_execnz .LBB21_109
; %bb.110:
	s_or_b64 exec, exec, s[10:11]
.LBB21_111:
	s_or_b64 exec, exec, s[8:9]
.LBB21_112:
	s_or_b64 exec, exec, s[6:7]
	v_mov_b32_e32 v37, 0
	ds_read_b32 v37, v37 offset:52
	s_waitcnt lgkmcnt(0)
	v_mul_f32_e32 v37, v101, v37
.LBB21_113:
	s_or_b64 exec, exec, s[4:5]
	v_cmp_lt_u32_e64 s[0:1], 12, v0
	ds_write_b32 v100, v36
	s_waitcnt lgkmcnt(0)
	; wave barrier
	s_and_saveexec_b64 s[4:5], s[0:1]
	s_cbranch_execz .LBB21_129
; %bb.114:
	s_andn2_b64 vcc, exec, s[46:47]
	s_cbranch_vccnz .LBB21_116
; %bb.115:
	v_cmp_eq_u32_e32 vcc, 1, v0
	v_cndmask_b32_e32 v101, v24, v25, vcc
	v_cmp_eq_u32_e32 vcc, 2, v0
	v_cndmask_b32_e32 v101, v101, v26, vcc
	;; [unrolled: 2-line block ×17, first 2 shown]
	v_cmp_eq_u32_e32 vcc, 18, v0
	ds_read_b32 v102, v100
	v_cndmask_b32_e32 v101, v101, v42, vcc
	v_cmp_eq_u32_e32 vcc, 19, v0
	v_cndmask_b32_e32 v101, v101, v43, vcc
	v_cmp_eq_u32_e32 vcc, 20, v0
	;; [unrolled: 2-line block ×3, first 2 shown]
	v_cndmask_b32_e32 v101, v101, v45, vcc
	s_waitcnt lgkmcnt(0)
	v_mul_f32_e32 v101, v101, v102
	s_cbranch_execz .LBB21_117
	s_branch .LBB21_118
.LBB21_116:
                                        ; implicit-def: $vgpr101
.LBB21_117:
	ds_read_b32 v101, v100
.LBB21_118:
	s_and_saveexec_b64 s[6:7], s[2:3]
	s_cbranch_execz .LBB21_128
; %bb.119:
	v_add_u32_e32 v102, -14, v0
	v_add_u32_e32 v103, -13, v0
	v_cmp_lt_u32_e32 vcc, 6, v102
	v_mov_b32_e32 v102, 13
	s_and_saveexec_b64 s[2:3], vcc
	s_cbranch_execz .LBB21_123
; %bb.120:
	v_and_b32_e32 v102, -8, v103
	v_sub_u32_e32 v104, 0, v102
	s_mov_b64 s[8:9], 20
	s_movk_i32 s12, 0x94
	s_mov_b64 s[10:11], 0
.LBB21_121:                             ; =>This Inner Loop Header: Depth=1
	s_add_i32 s13, s8, -7
	v_mov_b32_e32 v102, s12
	s_add_i32 s14, s8, -6
	s_set_gpr_idx_on s13, gpr_idx(SRC0)
	v_mov_b32_e32 v111, v24
	s_set_gpr_idx_off
	ds_read2_b32 v[105:106], v102 offset1:1
	s_add_i32 s15, s8, -5
	s_set_gpr_idx_on s14, gpr_idx(SRC0)
	v_mov_b32_e32 v112, v24
	s_set_gpr_idx_off
	s_add_i32 s16, s8, -4
	s_set_gpr_idx_on s15, gpr_idx(SRC0)
	v_mov_b32_e32 v113, v24
	s_set_gpr_idx_off
	ds_read2_b32 v[107:108], v102 offset0:2 offset1:3
	s_add_i32 s17, s8, -3
	s_set_gpr_idx_on s16, gpr_idx(SRC0)
	v_mov_b32_e32 v114, v24
	s_set_gpr_idx_off
	s_add_i32 s18, s8, -2
	s_set_gpr_idx_on s17, gpr_idx(SRC0)
	v_mov_b32_e32 v115, v24
	s_set_gpr_idx_off
	ds_read2_b32 v[109:110], v102 offset0:4 offset1:5
	s_add_i32 s19, s8, -1
	s_waitcnt lgkmcnt(2)
	v_fmac_f32_e32 v101, v111, v105
	s_set_gpr_idx_on s18, gpr_idx(SRC0)
	v_mov_b32_e32 v111, v24
	s_set_gpr_idx_off
	v_fmac_f32_e32 v101, v112, v106
	s_set_gpr_idx_on s19, gpr_idx(SRC0)
	v_mov_b32_e32 v112, v24
	s_set_gpr_idx_off
	ds_read2_b32 v[105:106], v102 offset0:6 offset1:7
	s_waitcnt lgkmcnt(2)
	v_fmac_f32_e32 v101, v113, v107
	s_set_gpr_idx_on s8, gpr_idx(SRC0)
	v_mov_b32_e32 v107, v24
	s_set_gpr_idx_off
	v_fmac_f32_e32 v101, v114, v108
	s_add_u32 s8, s8, 8
	s_waitcnt lgkmcnt(1)
	v_fmac_f32_e32 v101, v115, v109
	v_add_u32_e32 v102, s8, v104
	v_fmac_f32_e32 v101, v111, v110
	s_addc_u32 s9, s9, 0
	s_add_i32 s12, s12, 32
	s_add_i32 s13, s8, -7
	v_cmp_eq_u32_e32 vcc, 20, v102
	s_waitcnt lgkmcnt(0)
	v_fmac_f32_e32 v101, v112, v105
	v_mov_b32_e32 v102, s13
	s_or_b64 s[10:11], vcc, s[10:11]
	v_fmac_f32_e32 v101, v107, v106
	s_andn2_b64 exec, exec, s[10:11]
	s_cbranch_execnz .LBB21_121
; %bb.122:
	s_or_b64 exec, exec, s[10:11]
.LBB21_123:
	s_or_b64 exec, exec, s[2:3]
	v_and_b32_e32 v46, 7, v103
	v_cmp_ne_u32_e32 vcc, 0, v46
	s_and_saveexec_b64 s[8:9], vcc
	s_cbranch_execz .LBB21_127
; %bb.124:
	v_mov_b32_e32 v47, 0x60
	v_lshl_add_u32 v47, v102, 2, v47
	v_mov_b32_e32 v48, 0
	s_mov_b64 s[10:11], 0
.LBB21_125:                             ; =>This Inner Loop Header: Depth=1
	v_cmp_eq_u32_e32 vcc, 1, v102
	v_cndmask_b32_e32 v49, v24, v25, vcc
	v_add_u32_e32 v46, -1, v46
	v_cmp_eq_u32_e32 vcc, 2, v102
	v_cndmask_b32_e32 v49, v49, v26, vcc
	v_cmp_eq_u32_e32 vcc, 0, v46
	v_cmp_eq_u32_e64 s[2:3], 3, v102
	v_cndmask_b32_e64 v49, v49, v27, s[2:3]
	s_or_b64 s[10:11], vcc, s[10:11]
	v_cmp_eq_u32_e32 vcc, 4, v102
	v_cndmask_b32_e32 v49, v49, v28, vcc
	v_cmp_eq_u32_e32 vcc, 5, v102
	v_cndmask_b32_e32 v49, v49, v29, vcc
	;; [unrolled: 2-line block ×13, first 2 shown]
	v_cmp_eq_u32_e32 vcc, 17, v102
	ds_read_b32 v50, v47
	v_cndmask_b32_e32 v49, v49, v41, vcc
	v_cmp_eq_u32_e32 vcc, 18, v102
	v_cndmask_b32_e32 v49, v49, v42, vcc
	v_cmp_eq_u32_e32 vcc, 19, v102
	;; [unrolled: 2-line block ×4, first 2 shown]
	v_add_co_u32_e64 v102, s[2:3], 1, v102
	v_cndmask_b32_e32 v49, v49, v45, vcc
	v_add_u32_e32 v47, 4, v47
	v_addc_co_u32_e64 v48, s[2:3], 0, v48, s[2:3]
	s_waitcnt lgkmcnt(0)
	v_fmac_f32_e32 v101, v49, v50
	s_andn2_b64 exec, exec, s[10:11]
	s_cbranch_execnz .LBB21_125
; %bb.126:
	s_or_b64 exec, exec, s[10:11]
.LBB21_127:
	s_or_b64 exec, exec, s[8:9]
.LBB21_128:
	s_or_b64 exec, exec, s[6:7]
	v_mov_b32_e32 v36, 0
	ds_read_b32 v36, v36 offset:48
	s_waitcnt lgkmcnt(0)
	v_mul_f32_e32 v36, v101, v36
.LBB21_129:
	s_or_b64 exec, exec, s[4:5]
	v_cmp_lt_u32_e64 s[2:3], 11, v0
	ds_write_b32 v100, v35
	s_waitcnt lgkmcnt(0)
	; wave barrier
	s_and_saveexec_b64 s[4:5], s[2:3]
	s_cbranch_execz .LBB21_145
; %bb.130:
	s_andn2_b64 vcc, exec, s[46:47]
	s_cbranch_vccnz .LBB21_132
; %bb.131:
	v_cmp_eq_u32_e32 vcc, 1, v0
	v_cndmask_b32_e32 v101, v24, v25, vcc
	v_cmp_eq_u32_e32 vcc, 2, v0
	v_cndmask_b32_e32 v101, v101, v26, vcc
	;; [unrolled: 2-line block ×17, first 2 shown]
	v_cmp_eq_u32_e32 vcc, 18, v0
	ds_read_b32 v102, v100
	v_cndmask_b32_e32 v101, v101, v42, vcc
	v_cmp_eq_u32_e32 vcc, 19, v0
	v_cndmask_b32_e32 v101, v101, v43, vcc
	v_cmp_eq_u32_e32 vcc, 20, v0
	v_cndmask_b32_e32 v101, v101, v44, vcc
	v_cmp_eq_u32_e32 vcc, 21, v0
	v_cndmask_b32_e32 v101, v101, v45, vcc
	s_waitcnt lgkmcnt(0)
	v_mul_f32_e32 v101, v101, v102
	s_cbranch_execz .LBB21_133
	s_branch .LBB21_134
.LBB21_132:
                                        ; implicit-def: $vgpr101
.LBB21_133:
	ds_read_b32 v101, v100
.LBB21_134:
	s_and_saveexec_b64 s[6:7], s[0:1]
	s_cbranch_execz .LBB21_144
; %bb.135:
	v_add_u32_e32 v102, -13, v0
	v_add_u32_e32 v103, -12, v0
	v_cmp_lt_u32_e32 vcc, 6, v102
	v_mov_b32_e32 v102, 12
	s_and_saveexec_b64 s[0:1], vcc
	s_cbranch_execz .LBB21_139
; %bb.136:
	v_and_b32_e32 v102, -8, v103
	v_sub_u32_e32 v104, 0, v102
	s_mov_b64 s[8:9], 19
	s_movk_i32 s12, 0x90
	s_mov_b64 s[10:11], 0
.LBB21_137:                             ; =>This Inner Loop Header: Depth=1
	s_add_i32 s13, s8, -7
	v_mov_b32_e32 v102, s12
	s_add_i32 s14, s8, -6
	s_set_gpr_idx_on s13, gpr_idx(SRC0)
	v_mov_b32_e32 v113, v24
	s_set_gpr_idx_off
	s_add_i32 s15, s8, -5
	ds_read_b128 v[105:108], v102
	ds_read_b128 v[109:112], v102 offset:16
	s_set_gpr_idx_on s14, gpr_idx(SRC0)
	v_mov_b32_e32 v102, v24
	s_set_gpr_idx_off
	s_add_i32 s16, s8, -4
	s_set_gpr_idx_on s15, gpr_idx(SRC0)
	v_mov_b32_e32 v114, v24
	s_set_gpr_idx_off
	s_add_i32 s17, s8, -3
	;; [unrolled: 4-line block ×4, first 2 shown]
	s_waitcnt lgkmcnt(1)
	v_fmac_f32_e32 v101, v113, v105
	s_set_gpr_idx_on s18, gpr_idx(SRC0)
	v_mov_b32_e32 v105, v24
	s_set_gpr_idx_off
	v_fmac_f32_e32 v101, v102, v106
	s_set_gpr_idx_on s19, gpr_idx(SRC0)
	v_mov_b32_e32 v106, v24
	s_set_gpr_idx_off
	;; [unrolled: 4-line block ×3, first 2 shown]
	v_fmac_f32_e32 v101, v115, v108
	s_add_u32 s8, s8, 8
	s_waitcnt lgkmcnt(0)
	v_fmac_f32_e32 v101, v116, v109
	v_add_u32_e32 v102, s8, v104
	v_fmac_f32_e32 v101, v105, v110
	s_addc_u32 s9, s9, 0
	s_add_i32 s12, s12, 32
	s_add_i32 s13, s8, -7
	v_cmp_eq_u32_e32 vcc, 19, v102
	v_fmac_f32_e32 v101, v106, v111
	v_mov_b32_e32 v102, s13
	s_or_b64 s[10:11], vcc, s[10:11]
	v_fmac_f32_e32 v101, v107, v112
	s_andn2_b64 exec, exec, s[10:11]
	s_cbranch_execnz .LBB21_137
; %bb.138:
	s_or_b64 exec, exec, s[10:11]
.LBB21_139:
	s_or_b64 exec, exec, s[0:1]
	v_and_b32_e32 v46, 7, v103
	v_cmp_ne_u32_e32 vcc, 0, v46
	s_and_saveexec_b64 s[8:9], vcc
	s_cbranch_execz .LBB21_143
; %bb.140:
	v_mov_b32_e32 v47, 0x60
	v_lshl_add_u32 v47, v102, 2, v47
	v_mov_b32_e32 v48, 0
	s_mov_b64 s[10:11], 0
.LBB21_141:                             ; =>This Inner Loop Header: Depth=1
	v_cmp_eq_u32_e32 vcc, 1, v102
	v_cndmask_b32_e32 v49, v24, v25, vcc
	v_add_u32_e32 v46, -1, v46
	v_cmp_eq_u32_e32 vcc, 2, v102
	v_cndmask_b32_e32 v49, v49, v26, vcc
	v_cmp_eq_u32_e32 vcc, 0, v46
	v_cmp_eq_u32_e64 s[0:1], 3, v102
	v_cndmask_b32_e64 v49, v49, v27, s[0:1]
	s_or_b64 s[10:11], vcc, s[10:11]
	v_cmp_eq_u32_e32 vcc, 4, v102
	v_cndmask_b32_e32 v49, v49, v28, vcc
	v_cmp_eq_u32_e32 vcc, 5, v102
	v_cndmask_b32_e32 v49, v49, v29, vcc
	v_cmp_eq_u32_e32 vcc, 6, v102
	v_cndmask_b32_e32 v49, v49, v30, vcc
	v_cmp_eq_u32_e32 vcc, 7, v102
	v_cndmask_b32_e32 v49, v49, v31, vcc
	v_cmp_eq_u32_e32 vcc, 8, v102
	v_cndmask_b32_e32 v49, v49, v32, vcc
	v_cmp_eq_u32_e32 vcc, 9, v102
	v_cndmask_b32_e32 v49, v49, v33, vcc
	v_cmp_eq_u32_e32 vcc, 10, v102
	v_cndmask_b32_e32 v49, v49, v34, vcc
	v_cmp_eq_u32_e32 vcc, 11, v102
	v_cndmask_b32_e32 v49, v49, v35, vcc
	v_cmp_eq_u32_e32 vcc, 12, v102
	v_cndmask_b32_e32 v49, v49, v36, vcc
	v_cmp_eq_u32_e32 vcc, 13, v102
	v_cndmask_b32_e32 v49, v49, v37, vcc
	v_cmp_eq_u32_e32 vcc, 14, v102
	v_cndmask_b32_e32 v49, v49, v38, vcc
	v_cmp_eq_u32_e32 vcc, 15, v102
	v_cndmask_b32_e32 v49, v49, v39, vcc
	v_cmp_eq_u32_e32 vcc, 16, v102
	v_cndmask_b32_e32 v49, v49, v40, vcc
	v_cmp_eq_u32_e32 vcc, 17, v102
	ds_read_b32 v50, v47
	v_cndmask_b32_e32 v49, v49, v41, vcc
	v_cmp_eq_u32_e32 vcc, 18, v102
	v_cndmask_b32_e32 v49, v49, v42, vcc
	v_cmp_eq_u32_e32 vcc, 19, v102
	;; [unrolled: 2-line block ×4, first 2 shown]
	v_add_co_u32_e64 v102, s[0:1], 1, v102
	v_cndmask_b32_e32 v49, v49, v45, vcc
	v_add_u32_e32 v47, 4, v47
	v_addc_co_u32_e64 v48, s[0:1], 0, v48, s[0:1]
	s_waitcnt lgkmcnt(0)
	v_fmac_f32_e32 v101, v49, v50
	s_andn2_b64 exec, exec, s[10:11]
	s_cbranch_execnz .LBB21_141
; %bb.142:
	s_or_b64 exec, exec, s[10:11]
.LBB21_143:
	s_or_b64 exec, exec, s[8:9]
.LBB21_144:
	s_or_b64 exec, exec, s[6:7]
	v_mov_b32_e32 v35, 0
	ds_read_b32 v35, v35 offset:44
	s_waitcnt lgkmcnt(0)
	v_mul_f32_e32 v35, v101, v35
.LBB21_145:
	s_or_b64 exec, exec, s[4:5]
	v_cmp_lt_u32_e64 s[0:1], 10, v0
	ds_write_b32 v100, v34
	s_waitcnt lgkmcnt(0)
	; wave barrier
	s_and_saveexec_b64 s[4:5], s[0:1]
	s_cbranch_execz .LBB21_161
; %bb.146:
	s_andn2_b64 vcc, exec, s[46:47]
	s_cbranch_vccnz .LBB21_148
; %bb.147:
	v_cmp_eq_u32_e32 vcc, 1, v0
	v_cndmask_b32_e32 v101, v24, v25, vcc
	v_cmp_eq_u32_e32 vcc, 2, v0
	v_cndmask_b32_e32 v101, v101, v26, vcc
	;; [unrolled: 2-line block ×17, first 2 shown]
	v_cmp_eq_u32_e32 vcc, 18, v0
	ds_read_b32 v102, v100
	v_cndmask_b32_e32 v101, v101, v42, vcc
	v_cmp_eq_u32_e32 vcc, 19, v0
	v_cndmask_b32_e32 v101, v101, v43, vcc
	v_cmp_eq_u32_e32 vcc, 20, v0
	;; [unrolled: 2-line block ×3, first 2 shown]
	v_cndmask_b32_e32 v101, v101, v45, vcc
	s_waitcnt lgkmcnt(0)
	v_mul_f32_e32 v101, v101, v102
	s_cbranch_execz .LBB21_149
	s_branch .LBB21_150
.LBB21_148:
                                        ; implicit-def: $vgpr101
.LBB21_149:
	ds_read_b32 v101, v100
.LBB21_150:
	s_and_saveexec_b64 s[6:7], s[2:3]
	s_cbranch_execz .LBB21_160
; %bb.151:
	v_add_u32_e32 v102, -12, v0
	v_add_u32_e32 v103, -11, v0
	v_cmp_lt_u32_e32 vcc, 6, v102
	v_mov_b32_e32 v102, 11
	s_and_saveexec_b64 s[2:3], vcc
	s_cbranch_execz .LBB21_155
; %bb.152:
	v_and_b32_e32 v102, -8, v103
	v_sub_u32_e32 v104, 0, v102
	s_mov_b64 s[8:9], 18
	s_movk_i32 s12, 0x8c
	s_mov_b64 s[10:11], 0
.LBB21_153:                             ; =>This Inner Loop Header: Depth=1
	s_add_i32 s13, s8, -7
	v_mov_b32_e32 v102, s12
	s_add_i32 s14, s8, -6
	s_set_gpr_idx_on s13, gpr_idx(SRC0)
	v_mov_b32_e32 v111, v24
	s_set_gpr_idx_off
	ds_read2_b32 v[105:106], v102 offset1:1
	s_add_i32 s15, s8, -5
	s_set_gpr_idx_on s14, gpr_idx(SRC0)
	v_mov_b32_e32 v112, v24
	s_set_gpr_idx_off
	s_add_i32 s16, s8, -4
	s_set_gpr_idx_on s15, gpr_idx(SRC0)
	v_mov_b32_e32 v113, v24
	s_set_gpr_idx_off
	ds_read2_b32 v[107:108], v102 offset0:2 offset1:3
	s_add_i32 s17, s8, -3
	s_set_gpr_idx_on s16, gpr_idx(SRC0)
	v_mov_b32_e32 v114, v24
	s_set_gpr_idx_off
	s_add_i32 s18, s8, -2
	s_set_gpr_idx_on s17, gpr_idx(SRC0)
	v_mov_b32_e32 v115, v24
	s_set_gpr_idx_off
	ds_read2_b32 v[109:110], v102 offset0:4 offset1:5
	s_add_i32 s19, s8, -1
	s_waitcnt lgkmcnt(2)
	v_fmac_f32_e32 v101, v111, v105
	s_set_gpr_idx_on s18, gpr_idx(SRC0)
	v_mov_b32_e32 v111, v24
	s_set_gpr_idx_off
	v_fmac_f32_e32 v101, v112, v106
	s_set_gpr_idx_on s19, gpr_idx(SRC0)
	v_mov_b32_e32 v112, v24
	s_set_gpr_idx_off
	ds_read2_b32 v[105:106], v102 offset0:6 offset1:7
	s_waitcnt lgkmcnt(2)
	v_fmac_f32_e32 v101, v113, v107
	s_set_gpr_idx_on s8, gpr_idx(SRC0)
	v_mov_b32_e32 v107, v24
	s_set_gpr_idx_off
	v_fmac_f32_e32 v101, v114, v108
	s_add_u32 s8, s8, 8
	s_waitcnt lgkmcnt(1)
	v_fmac_f32_e32 v101, v115, v109
	v_add_u32_e32 v102, s8, v104
	v_fmac_f32_e32 v101, v111, v110
	s_addc_u32 s9, s9, 0
	s_add_i32 s12, s12, 32
	s_add_i32 s13, s8, -7
	v_cmp_eq_u32_e32 vcc, 18, v102
	s_waitcnt lgkmcnt(0)
	v_fmac_f32_e32 v101, v112, v105
	v_mov_b32_e32 v102, s13
	s_or_b64 s[10:11], vcc, s[10:11]
	v_fmac_f32_e32 v101, v107, v106
	s_andn2_b64 exec, exec, s[10:11]
	s_cbranch_execnz .LBB21_153
; %bb.154:
	s_or_b64 exec, exec, s[10:11]
.LBB21_155:
	s_or_b64 exec, exec, s[2:3]
	v_and_b32_e32 v46, 7, v103
	v_cmp_ne_u32_e32 vcc, 0, v46
	s_and_saveexec_b64 s[8:9], vcc
	s_cbranch_execz .LBB21_159
; %bb.156:
	v_mov_b32_e32 v47, 0x60
	v_lshl_add_u32 v47, v102, 2, v47
	v_mov_b32_e32 v48, 0
	s_mov_b64 s[10:11], 0
.LBB21_157:                             ; =>This Inner Loop Header: Depth=1
	v_cmp_eq_u32_e32 vcc, 1, v102
	v_cndmask_b32_e32 v49, v24, v25, vcc
	v_add_u32_e32 v46, -1, v46
	v_cmp_eq_u32_e32 vcc, 2, v102
	v_cndmask_b32_e32 v49, v49, v26, vcc
	v_cmp_eq_u32_e32 vcc, 0, v46
	v_cmp_eq_u32_e64 s[2:3], 3, v102
	v_cndmask_b32_e64 v49, v49, v27, s[2:3]
	s_or_b64 s[10:11], vcc, s[10:11]
	v_cmp_eq_u32_e32 vcc, 4, v102
	v_cndmask_b32_e32 v49, v49, v28, vcc
	v_cmp_eq_u32_e32 vcc, 5, v102
	v_cndmask_b32_e32 v49, v49, v29, vcc
	;; [unrolled: 2-line block ×13, first 2 shown]
	v_cmp_eq_u32_e32 vcc, 17, v102
	ds_read_b32 v50, v47
	v_cndmask_b32_e32 v49, v49, v41, vcc
	v_cmp_eq_u32_e32 vcc, 18, v102
	v_cndmask_b32_e32 v49, v49, v42, vcc
	v_cmp_eq_u32_e32 vcc, 19, v102
	;; [unrolled: 2-line block ×4, first 2 shown]
	v_add_co_u32_e64 v102, s[2:3], 1, v102
	v_cndmask_b32_e32 v49, v49, v45, vcc
	v_add_u32_e32 v47, 4, v47
	v_addc_co_u32_e64 v48, s[2:3], 0, v48, s[2:3]
	s_waitcnt lgkmcnt(0)
	v_fmac_f32_e32 v101, v49, v50
	s_andn2_b64 exec, exec, s[10:11]
	s_cbranch_execnz .LBB21_157
; %bb.158:
	s_or_b64 exec, exec, s[10:11]
.LBB21_159:
	s_or_b64 exec, exec, s[8:9]
.LBB21_160:
	s_or_b64 exec, exec, s[6:7]
	v_mov_b32_e32 v34, 0
	ds_read_b32 v34, v34 offset:40
	s_waitcnt lgkmcnt(0)
	v_mul_f32_e32 v34, v101, v34
.LBB21_161:
	s_or_b64 exec, exec, s[4:5]
	v_cmp_lt_u32_e64 s[2:3], 9, v0
	ds_write_b32 v100, v33
	s_waitcnt lgkmcnt(0)
	; wave barrier
	s_and_saveexec_b64 s[4:5], s[2:3]
	s_cbranch_execz .LBB21_177
; %bb.162:
	s_andn2_b64 vcc, exec, s[46:47]
	s_cbranch_vccnz .LBB21_164
; %bb.163:
	v_cmp_eq_u32_e32 vcc, 1, v0
	v_cndmask_b32_e32 v101, v24, v25, vcc
	v_cmp_eq_u32_e32 vcc, 2, v0
	v_cndmask_b32_e32 v101, v101, v26, vcc
	;; [unrolled: 2-line block ×17, first 2 shown]
	v_cmp_eq_u32_e32 vcc, 18, v0
	ds_read_b32 v102, v100
	v_cndmask_b32_e32 v101, v101, v42, vcc
	v_cmp_eq_u32_e32 vcc, 19, v0
	v_cndmask_b32_e32 v101, v101, v43, vcc
	v_cmp_eq_u32_e32 vcc, 20, v0
	;; [unrolled: 2-line block ×3, first 2 shown]
	v_cndmask_b32_e32 v101, v101, v45, vcc
	s_waitcnt lgkmcnt(0)
	v_mul_f32_e32 v101, v101, v102
	s_cbranch_execz .LBB21_165
	s_branch .LBB21_166
.LBB21_164:
                                        ; implicit-def: $vgpr101
.LBB21_165:
	ds_read_b32 v101, v100
.LBB21_166:
	s_and_saveexec_b64 s[6:7], s[0:1]
	s_cbranch_execz .LBB21_176
; %bb.167:
	v_add_u32_e32 v102, -11, v0
	v_add_u32_e32 v103, -10, v0
	v_cmp_lt_u32_e32 vcc, 6, v102
	v_mov_b32_e32 v102, 10
	s_and_saveexec_b64 s[0:1], vcc
	s_cbranch_execz .LBB21_171
; %bb.168:
	v_and_b32_e32 v102, -8, v103
	v_sub_u32_e32 v104, 0, v102
	s_mov_b64 s[8:9], 17
	s_movk_i32 s12, 0x88
	s_mov_b64 s[10:11], 0
.LBB21_169:                             ; =>This Inner Loop Header: Depth=1
	s_add_i32 s13, s8, -7
	v_mov_b32_e32 v102, s12
	s_add_i32 s14, s8, -6
	s_set_gpr_idx_on s13, gpr_idx(SRC0)
	v_mov_b32_e32 v113, v24
	s_set_gpr_idx_off
	ds_read2_b64 v[105:108], v102 offset1:1
	s_add_i32 s15, s8, -5
	s_set_gpr_idx_on s14, gpr_idx(SRC0)
	v_mov_b32_e32 v114, v24
	s_set_gpr_idx_off
	s_add_i32 s16, s8, -4
	s_set_gpr_idx_on s15, gpr_idx(SRC0)
	v_mov_b32_e32 v115, v24
	s_set_gpr_idx_off
	;; [unrolled: 4-line block ×4, first 2 shown]
	ds_read2_b64 v[109:112], v102 offset0:2 offset1:3
	s_add_i32 s19, s8, -1
	s_waitcnt lgkmcnt(1)
	v_fmac_f32_e32 v101, v113, v105
	s_set_gpr_idx_on s18, gpr_idx(SRC0)
	v_mov_b32_e32 v105, v24
	s_set_gpr_idx_off
	v_fmac_f32_e32 v101, v114, v106
	s_set_gpr_idx_on s19, gpr_idx(SRC0)
	v_mov_b32_e32 v106, v24
	s_set_gpr_idx_off
	;; [unrolled: 4-line block ×3, first 2 shown]
	v_fmac_f32_e32 v101, v116, v108
	s_add_u32 s8, s8, 8
	s_waitcnt lgkmcnt(0)
	v_fmac_f32_e32 v101, v117, v109
	v_add_u32_e32 v102, s8, v104
	v_fmac_f32_e32 v101, v105, v110
	s_addc_u32 s9, s9, 0
	s_add_i32 s12, s12, 32
	s_add_i32 s13, s8, -7
	v_cmp_eq_u32_e32 vcc, 17, v102
	v_fmac_f32_e32 v101, v106, v111
	v_mov_b32_e32 v102, s13
	s_or_b64 s[10:11], vcc, s[10:11]
	v_fmac_f32_e32 v101, v107, v112
	s_andn2_b64 exec, exec, s[10:11]
	s_cbranch_execnz .LBB21_169
; %bb.170:
	s_or_b64 exec, exec, s[10:11]
.LBB21_171:
	s_or_b64 exec, exec, s[0:1]
	v_and_b32_e32 v46, 7, v103
	v_cmp_ne_u32_e32 vcc, 0, v46
	s_and_saveexec_b64 s[8:9], vcc
	s_cbranch_execz .LBB21_175
; %bb.172:
	v_mov_b32_e32 v47, 0x60
	v_lshl_add_u32 v47, v102, 2, v47
	v_mov_b32_e32 v48, 0
	s_mov_b64 s[10:11], 0
.LBB21_173:                             ; =>This Inner Loop Header: Depth=1
	v_cmp_eq_u32_e32 vcc, 1, v102
	v_cndmask_b32_e32 v49, v24, v25, vcc
	v_add_u32_e32 v46, -1, v46
	v_cmp_eq_u32_e32 vcc, 2, v102
	v_cndmask_b32_e32 v49, v49, v26, vcc
	v_cmp_eq_u32_e32 vcc, 0, v46
	v_cmp_eq_u32_e64 s[0:1], 3, v102
	v_cndmask_b32_e64 v49, v49, v27, s[0:1]
	s_or_b64 s[10:11], vcc, s[10:11]
	v_cmp_eq_u32_e32 vcc, 4, v102
	v_cndmask_b32_e32 v49, v49, v28, vcc
	v_cmp_eq_u32_e32 vcc, 5, v102
	v_cndmask_b32_e32 v49, v49, v29, vcc
	;; [unrolled: 2-line block ×13, first 2 shown]
	v_cmp_eq_u32_e32 vcc, 17, v102
	ds_read_b32 v50, v47
	v_cndmask_b32_e32 v49, v49, v41, vcc
	v_cmp_eq_u32_e32 vcc, 18, v102
	v_cndmask_b32_e32 v49, v49, v42, vcc
	v_cmp_eq_u32_e32 vcc, 19, v102
	;; [unrolled: 2-line block ×4, first 2 shown]
	v_add_co_u32_e64 v102, s[0:1], 1, v102
	v_cndmask_b32_e32 v49, v49, v45, vcc
	v_add_u32_e32 v47, 4, v47
	v_addc_co_u32_e64 v48, s[0:1], 0, v48, s[0:1]
	s_waitcnt lgkmcnt(0)
	v_fmac_f32_e32 v101, v49, v50
	s_andn2_b64 exec, exec, s[10:11]
	s_cbranch_execnz .LBB21_173
; %bb.174:
	s_or_b64 exec, exec, s[10:11]
.LBB21_175:
	s_or_b64 exec, exec, s[8:9]
.LBB21_176:
	s_or_b64 exec, exec, s[6:7]
	v_mov_b32_e32 v33, 0
	ds_read_b32 v33, v33 offset:36
	s_waitcnt lgkmcnt(0)
	v_mul_f32_e32 v33, v101, v33
.LBB21_177:
	s_or_b64 exec, exec, s[4:5]
	v_cmp_lt_u32_e64 s[0:1], 8, v0
	ds_write_b32 v100, v32
	s_waitcnt lgkmcnt(0)
	; wave barrier
	s_and_saveexec_b64 s[4:5], s[0:1]
	s_cbranch_execz .LBB21_193
; %bb.178:
	s_andn2_b64 vcc, exec, s[46:47]
	s_cbranch_vccnz .LBB21_180
; %bb.179:
	v_cmp_eq_u32_e32 vcc, 1, v0
	v_cndmask_b32_e32 v101, v24, v25, vcc
	v_cmp_eq_u32_e32 vcc, 2, v0
	v_cndmask_b32_e32 v101, v101, v26, vcc
	;; [unrolled: 2-line block ×17, first 2 shown]
	v_cmp_eq_u32_e32 vcc, 18, v0
	ds_read_b32 v102, v100
	v_cndmask_b32_e32 v101, v101, v42, vcc
	v_cmp_eq_u32_e32 vcc, 19, v0
	v_cndmask_b32_e32 v101, v101, v43, vcc
	v_cmp_eq_u32_e32 vcc, 20, v0
	;; [unrolled: 2-line block ×3, first 2 shown]
	v_cndmask_b32_e32 v101, v101, v45, vcc
	s_waitcnt lgkmcnt(0)
	v_mul_f32_e32 v101, v101, v102
	s_cbranch_execz .LBB21_181
	s_branch .LBB21_182
.LBB21_180:
                                        ; implicit-def: $vgpr101
.LBB21_181:
	ds_read_b32 v101, v100
.LBB21_182:
	s_and_saveexec_b64 s[6:7], s[2:3]
	s_cbranch_execz .LBB21_192
; %bb.183:
	v_add_u32_e32 v102, -10, v0
	v_add_u32_e32 v103, -9, v0
	v_cmp_lt_u32_e32 vcc, 6, v102
	v_mov_b32_e32 v102, 9
	s_and_saveexec_b64 s[2:3], vcc
	s_cbranch_execz .LBB21_187
; %bb.184:
	v_and_b32_e32 v102, -8, v103
	v_sub_u32_e32 v104, 0, v102
	s_mov_b64 s[8:9], 16
	s_movk_i32 s12, 0x84
	s_mov_b64 s[10:11], 0
.LBB21_185:                             ; =>This Inner Loop Header: Depth=1
	s_add_i32 s13, s8, -7
	v_mov_b32_e32 v102, s12
	s_add_i32 s14, s8, -6
	s_set_gpr_idx_on s13, gpr_idx(SRC0)
	v_mov_b32_e32 v111, v24
	s_set_gpr_idx_off
	ds_read2_b32 v[105:106], v102 offset1:1
	s_add_i32 s15, s8, -5
	s_set_gpr_idx_on s14, gpr_idx(SRC0)
	v_mov_b32_e32 v112, v24
	s_set_gpr_idx_off
	s_add_i32 s16, s8, -4
	s_set_gpr_idx_on s15, gpr_idx(SRC0)
	v_mov_b32_e32 v113, v24
	s_set_gpr_idx_off
	ds_read2_b32 v[107:108], v102 offset0:2 offset1:3
	s_add_i32 s17, s8, -3
	s_set_gpr_idx_on s16, gpr_idx(SRC0)
	v_mov_b32_e32 v114, v24
	s_set_gpr_idx_off
	s_add_i32 s18, s8, -2
	s_set_gpr_idx_on s17, gpr_idx(SRC0)
	v_mov_b32_e32 v115, v24
	s_set_gpr_idx_off
	ds_read2_b32 v[109:110], v102 offset0:4 offset1:5
	s_add_i32 s19, s8, -1
	s_waitcnt lgkmcnt(2)
	v_fmac_f32_e32 v101, v111, v105
	s_set_gpr_idx_on s18, gpr_idx(SRC0)
	v_mov_b32_e32 v111, v24
	s_set_gpr_idx_off
	v_fmac_f32_e32 v101, v112, v106
	s_set_gpr_idx_on s19, gpr_idx(SRC0)
	v_mov_b32_e32 v112, v24
	s_set_gpr_idx_off
	ds_read2_b32 v[105:106], v102 offset0:6 offset1:7
	s_waitcnt lgkmcnt(2)
	v_fmac_f32_e32 v101, v113, v107
	s_set_gpr_idx_on s8, gpr_idx(SRC0)
	v_mov_b32_e32 v107, v24
	s_set_gpr_idx_off
	v_fmac_f32_e32 v101, v114, v108
	s_add_u32 s8, s8, 8
	s_waitcnt lgkmcnt(1)
	v_fmac_f32_e32 v101, v115, v109
	v_add_u32_e32 v102, s8, v104
	v_fmac_f32_e32 v101, v111, v110
	s_addc_u32 s9, s9, 0
	s_add_i32 s12, s12, 32
	s_add_i32 s13, s8, -7
	v_cmp_eq_u32_e32 vcc, 16, v102
	s_waitcnt lgkmcnt(0)
	v_fmac_f32_e32 v101, v112, v105
	v_mov_b32_e32 v102, s13
	s_or_b64 s[10:11], vcc, s[10:11]
	v_fmac_f32_e32 v101, v107, v106
	s_andn2_b64 exec, exec, s[10:11]
	s_cbranch_execnz .LBB21_185
; %bb.186:
	s_or_b64 exec, exec, s[10:11]
.LBB21_187:
	s_or_b64 exec, exec, s[2:3]
	v_and_b32_e32 v46, 7, v103
	v_cmp_ne_u32_e32 vcc, 0, v46
	s_and_saveexec_b64 s[8:9], vcc
	s_cbranch_execz .LBB21_191
; %bb.188:
	v_mov_b32_e32 v47, 0x60
	v_lshl_add_u32 v47, v102, 2, v47
	v_mov_b32_e32 v48, 0
	s_mov_b64 s[10:11], 0
.LBB21_189:                             ; =>This Inner Loop Header: Depth=1
	v_cmp_eq_u32_e32 vcc, 1, v102
	v_cndmask_b32_e32 v49, v24, v25, vcc
	v_add_u32_e32 v46, -1, v46
	v_cmp_eq_u32_e32 vcc, 2, v102
	v_cndmask_b32_e32 v49, v49, v26, vcc
	v_cmp_eq_u32_e32 vcc, 0, v46
	v_cmp_eq_u32_e64 s[2:3], 3, v102
	v_cndmask_b32_e64 v49, v49, v27, s[2:3]
	s_or_b64 s[10:11], vcc, s[10:11]
	v_cmp_eq_u32_e32 vcc, 4, v102
	v_cndmask_b32_e32 v49, v49, v28, vcc
	v_cmp_eq_u32_e32 vcc, 5, v102
	v_cndmask_b32_e32 v49, v49, v29, vcc
	v_cmp_eq_u32_e32 vcc, 6, v102
	v_cndmask_b32_e32 v49, v49, v30, vcc
	v_cmp_eq_u32_e32 vcc, 7, v102
	v_cndmask_b32_e32 v49, v49, v31, vcc
	v_cmp_eq_u32_e32 vcc, 8, v102
	v_cndmask_b32_e32 v49, v49, v32, vcc
	v_cmp_eq_u32_e32 vcc, 9, v102
	v_cndmask_b32_e32 v49, v49, v33, vcc
	v_cmp_eq_u32_e32 vcc, 10, v102
	v_cndmask_b32_e32 v49, v49, v34, vcc
	v_cmp_eq_u32_e32 vcc, 11, v102
	v_cndmask_b32_e32 v49, v49, v35, vcc
	v_cmp_eq_u32_e32 vcc, 12, v102
	v_cndmask_b32_e32 v49, v49, v36, vcc
	v_cmp_eq_u32_e32 vcc, 13, v102
	v_cndmask_b32_e32 v49, v49, v37, vcc
	v_cmp_eq_u32_e32 vcc, 14, v102
	v_cndmask_b32_e32 v49, v49, v38, vcc
	v_cmp_eq_u32_e32 vcc, 15, v102
	v_cndmask_b32_e32 v49, v49, v39, vcc
	v_cmp_eq_u32_e32 vcc, 16, v102
	v_cndmask_b32_e32 v49, v49, v40, vcc
	v_cmp_eq_u32_e32 vcc, 17, v102
	ds_read_b32 v50, v47
	v_cndmask_b32_e32 v49, v49, v41, vcc
	v_cmp_eq_u32_e32 vcc, 18, v102
	v_cndmask_b32_e32 v49, v49, v42, vcc
	v_cmp_eq_u32_e32 vcc, 19, v102
	;; [unrolled: 2-line block ×4, first 2 shown]
	v_add_co_u32_e64 v102, s[2:3], 1, v102
	v_cndmask_b32_e32 v49, v49, v45, vcc
	v_add_u32_e32 v47, 4, v47
	v_addc_co_u32_e64 v48, s[2:3], 0, v48, s[2:3]
	s_waitcnt lgkmcnt(0)
	v_fmac_f32_e32 v101, v49, v50
	s_andn2_b64 exec, exec, s[10:11]
	s_cbranch_execnz .LBB21_189
; %bb.190:
	s_or_b64 exec, exec, s[10:11]
.LBB21_191:
	s_or_b64 exec, exec, s[8:9]
.LBB21_192:
	s_or_b64 exec, exec, s[6:7]
	v_mov_b32_e32 v32, 0
	ds_read_b32 v32, v32 offset:32
	s_waitcnt lgkmcnt(0)
	v_mul_f32_e32 v32, v101, v32
.LBB21_193:
	s_or_b64 exec, exec, s[4:5]
	v_cmp_lt_u32_e64 s[2:3], 7, v0
	ds_write_b32 v100, v31
	s_waitcnt lgkmcnt(0)
	; wave barrier
	s_and_saveexec_b64 s[4:5], s[2:3]
	s_cbranch_execz .LBB21_209
; %bb.194:
	s_andn2_b64 vcc, exec, s[46:47]
	s_cbranch_vccnz .LBB21_196
; %bb.195:
	v_cmp_eq_u32_e32 vcc, 1, v0
	v_cndmask_b32_e32 v101, v24, v25, vcc
	v_cmp_eq_u32_e32 vcc, 2, v0
	v_cndmask_b32_e32 v101, v101, v26, vcc
	;; [unrolled: 2-line block ×17, first 2 shown]
	v_cmp_eq_u32_e32 vcc, 18, v0
	ds_read_b32 v102, v100
	v_cndmask_b32_e32 v101, v101, v42, vcc
	v_cmp_eq_u32_e32 vcc, 19, v0
	v_cndmask_b32_e32 v101, v101, v43, vcc
	v_cmp_eq_u32_e32 vcc, 20, v0
	;; [unrolled: 2-line block ×3, first 2 shown]
	v_cndmask_b32_e32 v101, v101, v45, vcc
	s_waitcnt lgkmcnt(0)
	v_mul_f32_e32 v101, v101, v102
	s_cbranch_execz .LBB21_197
	s_branch .LBB21_198
.LBB21_196:
                                        ; implicit-def: $vgpr101
.LBB21_197:
	ds_read_b32 v101, v100
.LBB21_198:
	s_and_saveexec_b64 s[6:7], s[0:1]
	s_cbranch_execz .LBB21_208
; %bb.199:
	v_add_u32_e32 v102, -9, v0
	v_cmp_lt_u32_e32 vcc, 6, v102
	v_mov_b32_e32 v102, 8
	s_and_saveexec_b64 s[0:1], vcc
	s_cbranch_execz .LBB21_203
; %bb.200:
	v_and_b32_e32 v102, 24, v0
	v_sub_u32_e32 v103, 0, v102
	s_mov_b64 s[8:9], 15
	s_movk_i32 s12, 0x80
	s_mov_b64 s[10:11], 0
.LBB21_201:                             ; =>This Inner Loop Header: Depth=1
	s_add_i32 s13, s8, -7
	v_mov_b32_e32 v102, s12
	s_add_i32 s14, s8, -6
	s_set_gpr_idx_on s13, gpr_idx(SRC0)
	v_mov_b32_e32 v112, v24
	s_set_gpr_idx_off
	s_add_i32 s15, s8, -5
	ds_read_b128 v[104:107], v102
	ds_read_b128 v[108:111], v102 offset:16
	s_set_gpr_idx_on s14, gpr_idx(SRC0)
	v_mov_b32_e32 v102, v24
	s_set_gpr_idx_off
	s_add_i32 s16, s8, -4
	s_set_gpr_idx_on s15, gpr_idx(SRC0)
	v_mov_b32_e32 v113, v24
	s_set_gpr_idx_off
	s_add_i32 s17, s8, -3
	;; [unrolled: 4-line block ×4, first 2 shown]
	s_waitcnt lgkmcnt(1)
	v_fmac_f32_e32 v101, v112, v104
	s_set_gpr_idx_on s18, gpr_idx(SRC0)
	v_mov_b32_e32 v104, v24
	s_set_gpr_idx_off
	v_fmac_f32_e32 v101, v102, v105
	s_set_gpr_idx_on s19, gpr_idx(SRC0)
	v_mov_b32_e32 v105, v24
	s_set_gpr_idx_off
	v_fmac_f32_e32 v101, v113, v106
	s_set_gpr_idx_on s8, gpr_idx(SRC0)
	v_mov_b32_e32 v106, v24
	s_set_gpr_idx_off
	v_fmac_f32_e32 v101, v114, v107
	s_add_u32 s8, s8, 8
	s_waitcnt lgkmcnt(0)
	v_fmac_f32_e32 v101, v115, v108
	v_add_u32_e32 v102, s8, v103
	v_fmac_f32_e32 v101, v104, v109
	s_addc_u32 s9, s9, 0
	s_add_i32 s12, s12, 32
	s_add_i32 s13, s8, -7
	v_cmp_eq_u32_e32 vcc, 7, v102
	v_fmac_f32_e32 v101, v105, v110
	v_mov_b32_e32 v102, s13
	s_or_b64 s[10:11], vcc, s[10:11]
	v_fmac_f32_e32 v101, v106, v111
	s_andn2_b64 exec, exec, s[10:11]
	s_cbranch_execnz .LBB21_201
; %bb.202:
	s_or_b64 exec, exec, s[10:11]
.LBB21_203:
	s_or_b64 exec, exec, s[0:1]
	v_and_b32_e32 v46, 7, v0
	v_cmp_ne_u32_e32 vcc, 0, v46
	s_and_saveexec_b64 s[8:9], vcc
	s_cbranch_execz .LBB21_207
; %bb.204:
	v_mov_b32_e32 v47, 0x60
	v_lshl_add_u32 v47, v102, 2, v47
	v_mov_b32_e32 v48, 0
	s_mov_b64 s[10:11], 0
.LBB21_205:                             ; =>This Inner Loop Header: Depth=1
	v_cmp_eq_u32_e32 vcc, 1, v102
	v_cndmask_b32_e32 v49, v24, v25, vcc
	v_add_u32_e32 v46, -1, v46
	v_cmp_eq_u32_e32 vcc, 2, v102
	v_cndmask_b32_e32 v49, v49, v26, vcc
	v_cmp_eq_u32_e32 vcc, 0, v46
	v_cmp_eq_u32_e64 s[0:1], 3, v102
	v_cndmask_b32_e64 v49, v49, v27, s[0:1]
	s_or_b64 s[10:11], vcc, s[10:11]
	v_cmp_eq_u32_e32 vcc, 4, v102
	v_cndmask_b32_e32 v49, v49, v28, vcc
	v_cmp_eq_u32_e32 vcc, 5, v102
	v_cndmask_b32_e32 v49, v49, v29, vcc
	;; [unrolled: 2-line block ×13, first 2 shown]
	v_cmp_eq_u32_e32 vcc, 17, v102
	ds_read_b32 v50, v47
	v_cndmask_b32_e32 v49, v49, v41, vcc
	v_cmp_eq_u32_e32 vcc, 18, v102
	v_cndmask_b32_e32 v49, v49, v42, vcc
	v_cmp_eq_u32_e32 vcc, 19, v102
	;; [unrolled: 2-line block ×4, first 2 shown]
	v_add_co_u32_e64 v102, s[0:1], 1, v102
	v_cndmask_b32_e32 v49, v49, v45, vcc
	v_add_u32_e32 v47, 4, v47
	v_addc_co_u32_e64 v48, s[0:1], 0, v48, s[0:1]
	s_waitcnt lgkmcnt(0)
	v_fmac_f32_e32 v101, v49, v50
	s_andn2_b64 exec, exec, s[10:11]
	s_cbranch_execnz .LBB21_205
; %bb.206:
	s_or_b64 exec, exec, s[10:11]
.LBB21_207:
	s_or_b64 exec, exec, s[8:9]
.LBB21_208:
	s_or_b64 exec, exec, s[6:7]
	v_mov_b32_e32 v31, 0
	ds_read_b32 v31, v31 offset:28
	s_waitcnt lgkmcnt(0)
	v_mul_f32_e32 v31, v101, v31
.LBB21_209:
	s_or_b64 exec, exec, s[4:5]
	v_cmp_lt_u32_e64 s[0:1], 6, v0
	ds_write_b32 v100, v30
	s_waitcnt lgkmcnt(0)
	; wave barrier
	s_and_saveexec_b64 s[4:5], s[0:1]
	s_cbranch_execz .LBB21_225
; %bb.210:
	s_andn2_b64 vcc, exec, s[46:47]
	s_cbranch_vccnz .LBB21_212
; %bb.211:
	v_cmp_eq_u32_e32 vcc, 1, v0
	v_cndmask_b32_e32 v101, v24, v25, vcc
	v_cmp_eq_u32_e32 vcc, 2, v0
	v_cndmask_b32_e32 v101, v101, v26, vcc
	;; [unrolled: 2-line block ×17, first 2 shown]
	v_cmp_eq_u32_e32 vcc, 18, v0
	ds_read_b32 v102, v100
	v_cndmask_b32_e32 v101, v101, v42, vcc
	v_cmp_eq_u32_e32 vcc, 19, v0
	v_cndmask_b32_e32 v101, v101, v43, vcc
	v_cmp_eq_u32_e32 vcc, 20, v0
	;; [unrolled: 2-line block ×3, first 2 shown]
	v_cndmask_b32_e32 v101, v101, v45, vcc
	s_waitcnt lgkmcnt(0)
	v_mul_f32_e32 v101, v101, v102
	s_cbranch_execz .LBB21_213
	s_branch .LBB21_214
.LBB21_212:
                                        ; implicit-def: $vgpr101
.LBB21_213:
	ds_read_b32 v101, v100
.LBB21_214:
	s_and_saveexec_b64 s[6:7], s[2:3]
	s_cbranch_execz .LBB21_224
; %bb.215:
	v_add_u32_e32 v102, -8, v0
	v_add_u32_e32 v103, -7, v0
	v_cmp_lt_u32_e32 vcc, 6, v102
	v_mov_b32_e32 v102, 7
	s_and_saveexec_b64 s[2:3], vcc
	s_cbranch_execz .LBB21_219
; %bb.216:
	v_and_b32_e32 v102, -8, v103
	v_sub_u32_e32 v104, 0, v102
	s_mov_b64 s[8:9], 14
	s_movk_i32 s12, 0x7c
	s_mov_b64 s[10:11], 0
.LBB21_217:                             ; =>This Inner Loop Header: Depth=1
	s_add_i32 s13, s8, -7
	v_mov_b32_e32 v102, s12
	s_add_i32 s14, s8, -6
	s_set_gpr_idx_on s13, gpr_idx(SRC0)
	v_mov_b32_e32 v111, v24
	s_set_gpr_idx_off
	ds_read2_b32 v[105:106], v102 offset1:1
	s_add_i32 s15, s8, -5
	s_set_gpr_idx_on s14, gpr_idx(SRC0)
	v_mov_b32_e32 v112, v24
	s_set_gpr_idx_off
	s_add_i32 s16, s8, -4
	s_set_gpr_idx_on s15, gpr_idx(SRC0)
	v_mov_b32_e32 v113, v24
	s_set_gpr_idx_off
	ds_read2_b32 v[107:108], v102 offset0:2 offset1:3
	s_add_i32 s17, s8, -3
	s_set_gpr_idx_on s16, gpr_idx(SRC0)
	v_mov_b32_e32 v114, v24
	s_set_gpr_idx_off
	s_add_i32 s18, s8, -2
	s_set_gpr_idx_on s17, gpr_idx(SRC0)
	v_mov_b32_e32 v115, v24
	s_set_gpr_idx_off
	ds_read2_b32 v[109:110], v102 offset0:4 offset1:5
	s_add_i32 s19, s8, -1
	s_waitcnt lgkmcnt(2)
	v_fmac_f32_e32 v101, v111, v105
	s_set_gpr_idx_on s18, gpr_idx(SRC0)
	v_mov_b32_e32 v111, v24
	s_set_gpr_idx_off
	v_fmac_f32_e32 v101, v112, v106
	s_set_gpr_idx_on s19, gpr_idx(SRC0)
	v_mov_b32_e32 v112, v24
	s_set_gpr_idx_off
	ds_read2_b32 v[105:106], v102 offset0:6 offset1:7
	s_waitcnt lgkmcnt(2)
	v_fmac_f32_e32 v101, v113, v107
	s_set_gpr_idx_on s8, gpr_idx(SRC0)
	v_mov_b32_e32 v107, v24
	s_set_gpr_idx_off
	v_fmac_f32_e32 v101, v114, v108
	s_add_u32 s8, s8, 8
	s_waitcnt lgkmcnt(1)
	v_fmac_f32_e32 v101, v115, v109
	v_add_u32_e32 v102, s8, v104
	v_fmac_f32_e32 v101, v111, v110
	s_addc_u32 s9, s9, 0
	s_add_i32 s12, s12, 32
	s_add_i32 s13, s8, -7
	v_cmp_eq_u32_e32 vcc, 14, v102
	s_waitcnt lgkmcnt(0)
	v_fmac_f32_e32 v101, v112, v105
	v_mov_b32_e32 v102, s13
	s_or_b64 s[10:11], vcc, s[10:11]
	v_fmac_f32_e32 v101, v107, v106
	s_andn2_b64 exec, exec, s[10:11]
	s_cbranch_execnz .LBB21_217
; %bb.218:
	s_or_b64 exec, exec, s[10:11]
.LBB21_219:
	s_or_b64 exec, exec, s[2:3]
	v_and_b32_e32 v46, 7, v103
	v_cmp_ne_u32_e32 vcc, 0, v46
	s_and_saveexec_b64 s[8:9], vcc
	s_cbranch_execz .LBB21_223
; %bb.220:
	v_mov_b32_e32 v47, 0x60
	v_lshl_add_u32 v47, v102, 2, v47
	v_mov_b32_e32 v48, 0
	s_mov_b64 s[10:11], 0
.LBB21_221:                             ; =>This Inner Loop Header: Depth=1
	v_cmp_eq_u32_e32 vcc, 1, v102
	v_cndmask_b32_e32 v49, v24, v25, vcc
	v_add_u32_e32 v46, -1, v46
	v_cmp_eq_u32_e32 vcc, 2, v102
	v_cndmask_b32_e32 v49, v49, v26, vcc
	v_cmp_eq_u32_e32 vcc, 0, v46
	v_cmp_eq_u32_e64 s[2:3], 3, v102
	v_cndmask_b32_e64 v49, v49, v27, s[2:3]
	s_or_b64 s[10:11], vcc, s[10:11]
	v_cmp_eq_u32_e32 vcc, 4, v102
	v_cndmask_b32_e32 v49, v49, v28, vcc
	v_cmp_eq_u32_e32 vcc, 5, v102
	v_cndmask_b32_e32 v49, v49, v29, vcc
	;; [unrolled: 2-line block ×13, first 2 shown]
	v_cmp_eq_u32_e32 vcc, 17, v102
	ds_read_b32 v50, v47
	v_cndmask_b32_e32 v49, v49, v41, vcc
	v_cmp_eq_u32_e32 vcc, 18, v102
	v_cndmask_b32_e32 v49, v49, v42, vcc
	v_cmp_eq_u32_e32 vcc, 19, v102
	;; [unrolled: 2-line block ×4, first 2 shown]
	v_add_co_u32_e64 v102, s[2:3], 1, v102
	v_cndmask_b32_e32 v49, v49, v45, vcc
	v_add_u32_e32 v47, 4, v47
	v_addc_co_u32_e64 v48, s[2:3], 0, v48, s[2:3]
	s_waitcnt lgkmcnt(0)
	v_fmac_f32_e32 v101, v49, v50
	s_andn2_b64 exec, exec, s[10:11]
	s_cbranch_execnz .LBB21_221
; %bb.222:
	s_or_b64 exec, exec, s[10:11]
.LBB21_223:
	s_or_b64 exec, exec, s[8:9]
.LBB21_224:
	s_or_b64 exec, exec, s[6:7]
	v_mov_b32_e32 v30, 0
	ds_read_b32 v30, v30 offset:24
	s_waitcnt lgkmcnt(0)
	v_mul_f32_e32 v30, v101, v30
.LBB21_225:
	s_or_b64 exec, exec, s[4:5]
	v_cmp_lt_u32_e64 s[2:3], 5, v0
	ds_write_b32 v100, v29
	s_waitcnt lgkmcnt(0)
	; wave barrier
	s_and_saveexec_b64 s[4:5], s[2:3]
	s_cbranch_execz .LBB21_241
; %bb.226:
	s_andn2_b64 vcc, exec, s[46:47]
	s_cbranch_vccnz .LBB21_228
; %bb.227:
	v_cmp_eq_u32_e32 vcc, 1, v0
	v_cndmask_b32_e32 v101, v24, v25, vcc
	v_cmp_eq_u32_e32 vcc, 2, v0
	v_cndmask_b32_e32 v101, v101, v26, vcc
	;; [unrolled: 2-line block ×17, first 2 shown]
	v_cmp_eq_u32_e32 vcc, 18, v0
	ds_read_b32 v102, v100
	v_cndmask_b32_e32 v101, v101, v42, vcc
	v_cmp_eq_u32_e32 vcc, 19, v0
	v_cndmask_b32_e32 v101, v101, v43, vcc
	v_cmp_eq_u32_e32 vcc, 20, v0
	;; [unrolled: 2-line block ×3, first 2 shown]
	v_cndmask_b32_e32 v101, v101, v45, vcc
	s_waitcnt lgkmcnt(0)
	v_mul_f32_e32 v101, v101, v102
	s_cbranch_execz .LBB21_229
	s_branch .LBB21_230
.LBB21_228:
                                        ; implicit-def: $vgpr101
.LBB21_229:
	ds_read_b32 v101, v100
.LBB21_230:
	s_and_saveexec_b64 s[6:7], s[0:1]
	s_cbranch_execz .LBB21_240
; %bb.231:
	v_add_u32_e32 v104, -7, v0
	v_add_u32_e32 v103, -6, v0
	v_mov_b32_e32 v102, 6
	v_cmp_lt_u32_e32 vcc, 6, v104
	s_and_saveexec_b64 s[0:1], vcc
	s_cbranch_execz .LBB21_235
; %bb.232:
	v_and_b32_e32 v102, -8, v103
	v_sub_u32_e32 v104, 0, v102
	s_mov_b64 s[8:9], 13
	s_movk_i32 s12, 0x78
	s_mov_b64 s[10:11], 0
.LBB21_233:                             ; =>This Inner Loop Header: Depth=1
	s_add_i32 s13, s8, -7
	v_mov_b32_e32 v102, s12
	s_add_i32 s14, s8, -6
	s_set_gpr_idx_on s13, gpr_idx(SRC0)
	v_mov_b32_e32 v113, v24
	s_set_gpr_idx_off
	ds_read2_b64 v[105:108], v102 offset1:1
	s_add_i32 s15, s8, -5
	s_set_gpr_idx_on s14, gpr_idx(SRC0)
	v_mov_b32_e32 v114, v24
	s_set_gpr_idx_off
	s_add_i32 s16, s8, -4
	s_set_gpr_idx_on s15, gpr_idx(SRC0)
	v_mov_b32_e32 v115, v24
	s_set_gpr_idx_off
	;; [unrolled: 4-line block ×4, first 2 shown]
	ds_read2_b64 v[109:112], v102 offset0:2 offset1:3
	s_add_i32 s19, s8, -1
	s_waitcnt lgkmcnt(1)
	v_fmac_f32_e32 v101, v113, v105
	s_set_gpr_idx_on s18, gpr_idx(SRC0)
	v_mov_b32_e32 v105, v24
	s_set_gpr_idx_off
	v_fmac_f32_e32 v101, v114, v106
	s_set_gpr_idx_on s19, gpr_idx(SRC0)
	v_mov_b32_e32 v106, v24
	s_set_gpr_idx_off
	;; [unrolled: 4-line block ×3, first 2 shown]
	v_fmac_f32_e32 v101, v116, v108
	s_add_u32 s8, s8, 8
	s_waitcnt lgkmcnt(0)
	v_fmac_f32_e32 v101, v117, v109
	v_add_u32_e32 v102, s8, v104
	v_fmac_f32_e32 v101, v105, v110
	s_addc_u32 s9, s9, 0
	s_add_i32 s12, s12, 32
	s_add_i32 s13, s8, -7
	v_cmp_eq_u32_e32 vcc, 13, v102
	v_fmac_f32_e32 v101, v106, v111
	v_mov_b32_e32 v102, s13
	s_or_b64 s[10:11], vcc, s[10:11]
	v_fmac_f32_e32 v101, v107, v112
	s_andn2_b64 exec, exec, s[10:11]
	s_cbranch_execnz .LBB21_233
; %bb.234:
	s_or_b64 exec, exec, s[10:11]
.LBB21_235:
	s_or_b64 exec, exec, s[0:1]
	v_and_b32_e32 v46, 7, v103
	v_cmp_ne_u32_e32 vcc, 0, v46
	s_and_saveexec_b64 s[8:9], vcc
	s_cbranch_execz .LBB21_239
; %bb.236:
	v_mov_b32_e32 v47, 0x60
	v_lshl_add_u32 v47, v102, 2, v47
	v_mov_b32_e32 v48, 0
	s_mov_b64 s[10:11], 0
.LBB21_237:                             ; =>This Inner Loop Header: Depth=1
	v_cmp_eq_u32_e32 vcc, 1, v102
	v_cndmask_b32_e32 v49, v24, v25, vcc
	v_add_u32_e32 v46, -1, v46
	v_cmp_eq_u32_e32 vcc, 2, v102
	v_cndmask_b32_e32 v49, v49, v26, vcc
	v_cmp_eq_u32_e32 vcc, 0, v46
	v_cmp_eq_u32_e64 s[0:1], 3, v102
	v_cndmask_b32_e64 v49, v49, v27, s[0:1]
	s_or_b64 s[10:11], vcc, s[10:11]
	v_cmp_eq_u32_e32 vcc, 4, v102
	v_cndmask_b32_e32 v49, v49, v28, vcc
	v_cmp_eq_u32_e32 vcc, 5, v102
	v_cndmask_b32_e32 v49, v49, v29, vcc
	;; [unrolled: 2-line block ×13, first 2 shown]
	v_cmp_eq_u32_e32 vcc, 17, v102
	ds_read_b32 v50, v47
	v_cndmask_b32_e32 v49, v49, v41, vcc
	v_cmp_eq_u32_e32 vcc, 18, v102
	v_cndmask_b32_e32 v49, v49, v42, vcc
	v_cmp_eq_u32_e32 vcc, 19, v102
	;; [unrolled: 2-line block ×4, first 2 shown]
	v_add_co_u32_e64 v102, s[0:1], 1, v102
	v_cndmask_b32_e32 v49, v49, v45, vcc
	v_add_u32_e32 v47, 4, v47
	v_addc_co_u32_e64 v48, s[0:1], 0, v48, s[0:1]
	s_waitcnt lgkmcnt(0)
	v_fmac_f32_e32 v101, v49, v50
	s_andn2_b64 exec, exec, s[10:11]
	s_cbranch_execnz .LBB21_237
; %bb.238:
	s_or_b64 exec, exec, s[10:11]
.LBB21_239:
	s_or_b64 exec, exec, s[8:9]
.LBB21_240:
	s_or_b64 exec, exec, s[6:7]
	v_mov_b32_e32 v29, 0
	ds_read_b32 v29, v29 offset:20
	s_waitcnt lgkmcnt(0)
	v_mul_f32_e32 v29, v101, v29
.LBB21_241:
	s_or_b64 exec, exec, s[4:5]
	v_cmp_lt_u32_e64 s[0:1], 4, v0
	ds_write_b32 v100, v28
	s_waitcnt lgkmcnt(0)
	; wave barrier
	s_and_saveexec_b64 s[4:5], s[0:1]
	s_cbranch_execz .LBB21_257
; %bb.242:
	s_andn2_b64 vcc, exec, s[46:47]
	s_cbranch_vccnz .LBB21_244
; %bb.243:
	v_cmp_eq_u32_e32 vcc, 1, v0
	v_cndmask_b32_e32 v101, v24, v25, vcc
	v_cmp_eq_u32_e32 vcc, 2, v0
	v_cndmask_b32_e32 v101, v101, v26, vcc
	;; [unrolled: 2-line block ×17, first 2 shown]
	v_cmp_eq_u32_e32 vcc, 18, v0
	ds_read_b32 v102, v100
	v_cndmask_b32_e32 v101, v101, v42, vcc
	v_cmp_eq_u32_e32 vcc, 19, v0
	v_cndmask_b32_e32 v101, v101, v43, vcc
	v_cmp_eq_u32_e32 vcc, 20, v0
	;; [unrolled: 2-line block ×3, first 2 shown]
	v_cndmask_b32_e32 v101, v101, v45, vcc
	s_waitcnt lgkmcnt(0)
	v_mul_f32_e32 v101, v101, v102
	s_cbranch_execz .LBB21_245
	s_branch .LBB21_246
.LBB21_244:
                                        ; implicit-def: $vgpr101
.LBB21_245:
	ds_read_b32 v101, v100
.LBB21_246:
	s_and_saveexec_b64 s[6:7], s[2:3]
	s_cbranch_execz .LBB21_256
; %bb.247:
	v_add_u32_e32 v102, -6, v0
	v_add_u32_e32 v103, -5, v0
	v_cmp_lt_u32_e32 vcc, 6, v102
	v_mov_b32_e32 v102, 5
	s_and_saveexec_b64 s[2:3], vcc
	s_cbranch_execz .LBB21_251
; %bb.248:
	v_and_b32_e32 v102, -8, v103
	v_sub_u32_e32 v104, 0, v102
	s_mov_b64 s[8:9], 12
	s_movk_i32 s12, 0x74
	s_mov_b64 s[10:11], 0
.LBB21_249:                             ; =>This Inner Loop Header: Depth=1
	s_add_i32 s13, s8, -7
	v_mov_b32_e32 v102, s12
	s_add_i32 s14, s8, -6
	s_set_gpr_idx_on s13, gpr_idx(SRC0)
	v_mov_b32_e32 v111, v24
	s_set_gpr_idx_off
	ds_read2_b32 v[105:106], v102 offset1:1
	s_add_i32 s15, s8, -5
	s_set_gpr_idx_on s14, gpr_idx(SRC0)
	v_mov_b32_e32 v112, v24
	s_set_gpr_idx_off
	s_add_i32 s16, s8, -4
	s_set_gpr_idx_on s15, gpr_idx(SRC0)
	v_mov_b32_e32 v113, v24
	s_set_gpr_idx_off
	ds_read2_b32 v[107:108], v102 offset0:2 offset1:3
	s_add_i32 s17, s8, -3
	s_set_gpr_idx_on s16, gpr_idx(SRC0)
	v_mov_b32_e32 v114, v24
	s_set_gpr_idx_off
	s_add_i32 s18, s8, -2
	s_set_gpr_idx_on s17, gpr_idx(SRC0)
	v_mov_b32_e32 v115, v24
	s_set_gpr_idx_off
	ds_read2_b32 v[109:110], v102 offset0:4 offset1:5
	s_add_i32 s19, s8, -1
	s_waitcnt lgkmcnt(2)
	v_fmac_f32_e32 v101, v111, v105
	s_set_gpr_idx_on s18, gpr_idx(SRC0)
	v_mov_b32_e32 v111, v24
	s_set_gpr_idx_off
	v_fmac_f32_e32 v101, v112, v106
	s_set_gpr_idx_on s19, gpr_idx(SRC0)
	v_mov_b32_e32 v112, v24
	s_set_gpr_idx_off
	ds_read2_b32 v[105:106], v102 offset0:6 offset1:7
	s_waitcnt lgkmcnt(2)
	v_fmac_f32_e32 v101, v113, v107
	s_set_gpr_idx_on s8, gpr_idx(SRC0)
	v_mov_b32_e32 v107, v24
	s_set_gpr_idx_off
	v_fmac_f32_e32 v101, v114, v108
	s_add_u32 s8, s8, 8
	s_waitcnt lgkmcnt(1)
	v_fmac_f32_e32 v101, v115, v109
	v_add_u32_e32 v102, s8, v104
	v_fmac_f32_e32 v101, v111, v110
	s_addc_u32 s9, s9, 0
	s_add_i32 s12, s12, 32
	s_add_i32 s13, s8, -7
	v_cmp_eq_u32_e32 vcc, 12, v102
	s_waitcnt lgkmcnt(0)
	v_fmac_f32_e32 v101, v112, v105
	v_mov_b32_e32 v102, s13
	s_or_b64 s[10:11], vcc, s[10:11]
	v_fmac_f32_e32 v101, v107, v106
	s_andn2_b64 exec, exec, s[10:11]
	s_cbranch_execnz .LBB21_249
; %bb.250:
	s_or_b64 exec, exec, s[10:11]
.LBB21_251:
	s_or_b64 exec, exec, s[2:3]
	v_and_b32_e32 v46, 7, v103
	v_cmp_ne_u32_e32 vcc, 0, v46
	s_and_saveexec_b64 s[8:9], vcc
	s_cbranch_execz .LBB21_255
; %bb.252:
	v_mov_b32_e32 v47, 0x60
	v_lshl_add_u32 v47, v102, 2, v47
	v_mov_b32_e32 v48, 0
	s_mov_b64 s[10:11], 0
.LBB21_253:                             ; =>This Inner Loop Header: Depth=1
	v_cmp_eq_u32_e32 vcc, 1, v102
	v_cndmask_b32_e32 v49, v24, v25, vcc
	v_add_u32_e32 v46, -1, v46
	v_cmp_eq_u32_e32 vcc, 2, v102
	v_cndmask_b32_e32 v49, v49, v26, vcc
	v_cmp_eq_u32_e32 vcc, 0, v46
	v_cmp_eq_u32_e64 s[2:3], 3, v102
	v_cndmask_b32_e64 v49, v49, v27, s[2:3]
	s_or_b64 s[10:11], vcc, s[10:11]
	v_cmp_eq_u32_e32 vcc, 4, v102
	v_cndmask_b32_e32 v49, v49, v28, vcc
	v_cmp_eq_u32_e32 vcc, 5, v102
	v_cndmask_b32_e32 v49, v49, v29, vcc
	;; [unrolled: 2-line block ×13, first 2 shown]
	v_cmp_eq_u32_e32 vcc, 17, v102
	ds_read_b32 v50, v47
	v_cndmask_b32_e32 v49, v49, v41, vcc
	v_cmp_eq_u32_e32 vcc, 18, v102
	v_cndmask_b32_e32 v49, v49, v42, vcc
	v_cmp_eq_u32_e32 vcc, 19, v102
	;; [unrolled: 2-line block ×4, first 2 shown]
	v_add_co_u32_e64 v102, s[2:3], 1, v102
	v_cndmask_b32_e32 v49, v49, v45, vcc
	v_add_u32_e32 v47, 4, v47
	v_addc_co_u32_e64 v48, s[2:3], 0, v48, s[2:3]
	s_waitcnt lgkmcnt(0)
	v_fmac_f32_e32 v101, v49, v50
	s_andn2_b64 exec, exec, s[10:11]
	s_cbranch_execnz .LBB21_253
; %bb.254:
	s_or_b64 exec, exec, s[10:11]
.LBB21_255:
	s_or_b64 exec, exec, s[8:9]
.LBB21_256:
	s_or_b64 exec, exec, s[6:7]
	v_mov_b32_e32 v28, 0
	ds_read_b32 v28, v28 offset:16
	s_waitcnt lgkmcnt(0)
	v_mul_f32_e32 v28, v101, v28
.LBB21_257:
	s_or_b64 exec, exec, s[4:5]
	v_cmp_lt_u32_e64 s[2:3], 3, v0
	ds_write_b32 v100, v27
	s_waitcnt lgkmcnt(0)
	; wave barrier
	s_and_saveexec_b64 s[4:5], s[2:3]
	s_cbranch_execz .LBB21_273
; %bb.258:
	s_andn2_b64 vcc, exec, s[46:47]
	s_cbranch_vccnz .LBB21_260
; %bb.259:
	v_cmp_eq_u32_e32 vcc, 1, v0
	v_cndmask_b32_e32 v101, v24, v25, vcc
	v_cmp_eq_u32_e32 vcc, 2, v0
	v_cndmask_b32_e32 v101, v101, v26, vcc
	;; [unrolled: 2-line block ×17, first 2 shown]
	v_cmp_eq_u32_e32 vcc, 18, v0
	ds_read_b32 v102, v100
	v_cndmask_b32_e32 v101, v101, v42, vcc
	v_cmp_eq_u32_e32 vcc, 19, v0
	v_cndmask_b32_e32 v101, v101, v43, vcc
	v_cmp_eq_u32_e32 vcc, 20, v0
	v_cndmask_b32_e32 v101, v101, v44, vcc
	v_cmp_eq_u32_e32 vcc, 21, v0
	v_cndmask_b32_e32 v101, v101, v45, vcc
	s_waitcnt lgkmcnt(0)
	v_mul_f32_e32 v101, v101, v102
	s_cbranch_execz .LBB21_261
	s_branch .LBB21_262
.LBB21_260:
                                        ; implicit-def: $vgpr101
.LBB21_261:
	ds_read_b32 v101, v100
.LBB21_262:
	s_and_saveexec_b64 s[6:7], s[0:1]
	s_cbranch_execz .LBB21_272
; %bb.263:
	v_add_u32_e32 v102, -5, v0
	v_add_u32_e32 v103, -4, v0
	v_cmp_lt_u32_e32 vcc, 6, v102
	v_mov_b32_e32 v102, 4
	s_and_saveexec_b64 s[0:1], vcc
	s_cbranch_execz .LBB21_267
; %bb.264:
	v_and_b32_e32 v102, -8, v103
	v_sub_u32_e32 v104, 0, v102
	s_mov_b64 s[8:9], 5
	s_movk_i32 s12, 0x70
	s_mov_b64 s[10:11], 0
.LBB21_265:                             ; =>This Inner Loop Header: Depth=1
	s_add_i32 s13, s8, -1
	v_mov_b32_e32 v102, s12
	s_set_gpr_idx_on s13, gpr_idx(SRC0)
	v_mov_b32_e32 v113, v24
	s_set_gpr_idx_off
	s_add_i32 s14, s8, 1
	ds_read_b128 v[105:108], v102
	ds_read_b128 v[109:112], v102 offset:16
	s_set_gpr_idx_on s8, gpr_idx(SRC0)
	v_mov_b32_e32 v114, v24
	s_set_gpr_idx_off
	s_add_i32 s15, s8, 2
	s_set_gpr_idx_on s14, gpr_idx(SRC0)
	v_mov_b32_e32 v115, v24
	s_set_gpr_idx_off
	s_add_i32 s16, s8, 3
	;; [unrolled: 4-line block ×4, first 2 shown]
	s_waitcnt lgkmcnt(1)
	v_fmac_f32_e32 v101, v113, v105
	s_set_gpr_idx_on s17, gpr_idx(SRC0)
	v_mov_b32_e32 v105, v24
	s_set_gpr_idx_off
	s_add_i32 s19, s8, 6
	v_fmac_f32_e32 v101, v114, v106
	s_set_gpr_idx_on s18, gpr_idx(SRC0)
	v_mov_b32_e32 v106, v24
	s_set_gpr_idx_off
	v_fmac_f32_e32 v101, v115, v107
	s_set_gpr_idx_on s19, gpr_idx(SRC0)
	v_mov_b32_e32 v107, v24
	s_set_gpr_idx_off
	v_fmac_f32_e32 v101, v116, v108
	s_add_u32 s8, s8, 8
	s_waitcnt lgkmcnt(0)
	v_fmac_f32_e32 v101, v117, v109
	v_add_u32_e32 v102, s8, v104
	v_fmac_f32_e32 v101, v105, v110
	s_addc_u32 s9, s9, 0
	s_add_i32 s12, s12, 32
	s_add_i32 s13, s8, -1
	v_cmp_eq_u32_e32 vcc, 5, v102
	v_fmac_f32_e32 v101, v106, v111
	v_mov_b32_e32 v102, s13
	s_or_b64 s[10:11], vcc, s[10:11]
	v_fmac_f32_e32 v101, v107, v112
	s_andn2_b64 exec, exec, s[10:11]
	s_cbranch_execnz .LBB21_265
; %bb.266:
	s_or_b64 exec, exec, s[10:11]
.LBB21_267:
	s_or_b64 exec, exec, s[0:1]
	v_and_b32_e32 v46, 7, v103
	v_cmp_ne_u32_e32 vcc, 0, v46
	s_and_saveexec_b64 s[8:9], vcc
	s_cbranch_execz .LBB21_271
; %bb.268:
	v_mov_b32_e32 v47, 0x60
	v_lshl_add_u32 v47, v102, 2, v47
	v_mov_b32_e32 v48, 0
	s_mov_b64 s[10:11], 0
.LBB21_269:                             ; =>This Inner Loop Header: Depth=1
	v_cmp_eq_u32_e32 vcc, 1, v102
	v_cndmask_b32_e32 v49, v24, v25, vcc
	v_add_u32_e32 v46, -1, v46
	v_cmp_eq_u32_e32 vcc, 2, v102
	v_cndmask_b32_e32 v49, v49, v26, vcc
	v_cmp_eq_u32_e32 vcc, 0, v46
	v_cmp_eq_u32_e64 s[0:1], 3, v102
	v_cndmask_b32_e64 v49, v49, v27, s[0:1]
	s_or_b64 s[10:11], vcc, s[10:11]
	v_cmp_eq_u32_e32 vcc, 4, v102
	v_cndmask_b32_e32 v49, v49, v28, vcc
	v_cmp_eq_u32_e32 vcc, 5, v102
	v_cndmask_b32_e32 v49, v49, v29, vcc
	;; [unrolled: 2-line block ×13, first 2 shown]
	v_cmp_eq_u32_e32 vcc, 17, v102
	ds_read_b32 v50, v47
	v_cndmask_b32_e32 v49, v49, v41, vcc
	v_cmp_eq_u32_e32 vcc, 18, v102
	v_cndmask_b32_e32 v49, v49, v42, vcc
	v_cmp_eq_u32_e32 vcc, 19, v102
	;; [unrolled: 2-line block ×4, first 2 shown]
	v_add_co_u32_e64 v102, s[0:1], 1, v102
	v_cndmask_b32_e32 v49, v49, v45, vcc
	v_add_u32_e32 v47, 4, v47
	v_addc_co_u32_e64 v48, s[0:1], 0, v48, s[0:1]
	s_waitcnt lgkmcnt(0)
	v_fmac_f32_e32 v101, v49, v50
	s_andn2_b64 exec, exec, s[10:11]
	s_cbranch_execnz .LBB21_269
; %bb.270:
	s_or_b64 exec, exec, s[10:11]
.LBB21_271:
	s_or_b64 exec, exec, s[8:9]
.LBB21_272:
	s_or_b64 exec, exec, s[6:7]
	v_mov_b32_e32 v27, 0
	ds_read_b32 v27, v27 offset:12
	s_waitcnt lgkmcnt(0)
	v_mul_f32_e32 v27, v101, v27
.LBB21_273:
	s_or_b64 exec, exec, s[4:5]
	v_cmp_lt_u32_e64 s[0:1], 2, v0
	ds_write_b32 v100, v26
	s_waitcnt lgkmcnt(0)
	; wave barrier
	s_and_saveexec_b64 s[4:5], s[0:1]
	s_cbranch_execz .LBB21_289
; %bb.274:
	s_andn2_b64 vcc, exec, s[46:47]
	s_cbranch_vccnz .LBB21_276
; %bb.275:
	v_cmp_eq_u32_e32 vcc, 1, v0
	v_cndmask_b32_e32 v101, v24, v25, vcc
	v_cmp_eq_u32_e32 vcc, 2, v0
	v_cndmask_b32_e32 v101, v101, v26, vcc
	;; [unrolled: 2-line block ×17, first 2 shown]
	v_cmp_eq_u32_e32 vcc, 18, v0
	ds_read_b32 v102, v100
	v_cndmask_b32_e32 v101, v101, v42, vcc
	v_cmp_eq_u32_e32 vcc, 19, v0
	v_cndmask_b32_e32 v101, v101, v43, vcc
	v_cmp_eq_u32_e32 vcc, 20, v0
	;; [unrolled: 2-line block ×3, first 2 shown]
	v_cndmask_b32_e32 v101, v101, v45, vcc
	s_waitcnt lgkmcnt(0)
	v_mul_f32_e32 v101, v101, v102
	s_cbranch_execz .LBB21_277
	s_branch .LBB21_278
.LBB21_276:
                                        ; implicit-def: $vgpr101
.LBB21_277:
	ds_read_b32 v101, v100
.LBB21_278:
	s_and_saveexec_b64 s[6:7], s[2:3]
	s_cbranch_execz .LBB21_288
; %bb.279:
	v_add_u32_e32 v102, -4, v0
	v_add_u32_e32 v103, -3, v0
	v_cmp_lt_u32_e32 vcc, 6, v102
	v_mov_b32_e32 v102, 3
	s_and_saveexec_b64 s[2:3], vcc
	s_cbranch_execz .LBB21_283
; %bb.280:
	v_and_b32_e32 v102, -8, v103
	v_sub_u32_e32 v104, 0, v102
	s_mov_b64 s[8:9], 10
	s_movk_i32 s12, 0x6c
	s_mov_b64 s[10:11], 0
.LBB21_281:                             ; =>This Inner Loop Header: Depth=1
	s_add_i32 s13, s8, -7
	v_mov_b32_e32 v102, s12
	s_add_i32 s14, s8, -6
	s_set_gpr_idx_on s13, gpr_idx(SRC0)
	v_mov_b32_e32 v111, v24
	s_set_gpr_idx_off
	ds_read2_b32 v[105:106], v102 offset1:1
	s_add_i32 s15, s8, -5
	s_set_gpr_idx_on s14, gpr_idx(SRC0)
	v_mov_b32_e32 v112, v24
	s_set_gpr_idx_off
	s_add_i32 s16, s8, -4
	s_set_gpr_idx_on s15, gpr_idx(SRC0)
	v_mov_b32_e32 v113, v24
	s_set_gpr_idx_off
	ds_read2_b32 v[107:108], v102 offset0:2 offset1:3
	s_add_i32 s17, s8, -3
	s_set_gpr_idx_on s16, gpr_idx(SRC0)
	v_mov_b32_e32 v114, v24
	s_set_gpr_idx_off
	s_add_i32 s18, s8, -2
	s_set_gpr_idx_on s17, gpr_idx(SRC0)
	v_mov_b32_e32 v115, v24
	s_set_gpr_idx_off
	ds_read2_b32 v[109:110], v102 offset0:4 offset1:5
	s_add_i32 s19, s8, -1
	s_waitcnt lgkmcnt(2)
	v_fmac_f32_e32 v101, v111, v105
	s_set_gpr_idx_on s18, gpr_idx(SRC0)
	v_mov_b32_e32 v111, v24
	s_set_gpr_idx_off
	v_fmac_f32_e32 v101, v112, v106
	s_set_gpr_idx_on s19, gpr_idx(SRC0)
	v_mov_b32_e32 v112, v24
	s_set_gpr_idx_off
	ds_read2_b32 v[105:106], v102 offset0:6 offset1:7
	s_waitcnt lgkmcnt(2)
	v_fmac_f32_e32 v101, v113, v107
	s_set_gpr_idx_on s8, gpr_idx(SRC0)
	v_mov_b32_e32 v107, v24
	s_set_gpr_idx_off
	v_fmac_f32_e32 v101, v114, v108
	s_add_u32 s8, s8, 8
	s_waitcnt lgkmcnt(1)
	v_fmac_f32_e32 v101, v115, v109
	v_add_u32_e32 v102, s8, v104
	v_fmac_f32_e32 v101, v111, v110
	s_addc_u32 s9, s9, 0
	s_add_i32 s12, s12, 32
	s_add_i32 s13, s8, -7
	v_cmp_eq_u32_e32 vcc, 10, v102
	s_waitcnt lgkmcnt(0)
	v_fmac_f32_e32 v101, v112, v105
	v_mov_b32_e32 v102, s13
	s_or_b64 s[10:11], vcc, s[10:11]
	v_fmac_f32_e32 v101, v107, v106
	s_andn2_b64 exec, exec, s[10:11]
	s_cbranch_execnz .LBB21_281
; %bb.282:
	s_or_b64 exec, exec, s[10:11]
.LBB21_283:
	s_or_b64 exec, exec, s[2:3]
	v_and_b32_e32 v46, 7, v103
	v_cmp_ne_u32_e32 vcc, 0, v46
	s_and_saveexec_b64 s[8:9], vcc
	s_cbranch_execz .LBB21_287
; %bb.284:
	v_mov_b32_e32 v47, 0x60
	v_lshl_add_u32 v47, v102, 2, v47
	v_mov_b32_e32 v48, 0
	s_mov_b64 s[10:11], 0
.LBB21_285:                             ; =>This Inner Loop Header: Depth=1
	v_cmp_eq_u32_e32 vcc, 1, v102
	v_cndmask_b32_e32 v49, v24, v25, vcc
	v_add_u32_e32 v46, -1, v46
	v_cmp_eq_u32_e32 vcc, 2, v102
	v_cndmask_b32_e32 v49, v49, v26, vcc
	v_cmp_eq_u32_e32 vcc, 0, v46
	v_cmp_eq_u32_e64 s[2:3], 3, v102
	v_cndmask_b32_e64 v49, v49, v27, s[2:3]
	s_or_b64 s[10:11], vcc, s[10:11]
	v_cmp_eq_u32_e32 vcc, 4, v102
	v_cndmask_b32_e32 v49, v49, v28, vcc
	v_cmp_eq_u32_e32 vcc, 5, v102
	v_cndmask_b32_e32 v49, v49, v29, vcc
	;; [unrolled: 2-line block ×13, first 2 shown]
	v_cmp_eq_u32_e32 vcc, 17, v102
	ds_read_b32 v50, v47
	v_cndmask_b32_e32 v49, v49, v41, vcc
	v_cmp_eq_u32_e32 vcc, 18, v102
	v_cndmask_b32_e32 v49, v49, v42, vcc
	v_cmp_eq_u32_e32 vcc, 19, v102
	;; [unrolled: 2-line block ×4, first 2 shown]
	v_add_co_u32_e64 v102, s[2:3], 1, v102
	v_cndmask_b32_e32 v49, v49, v45, vcc
	v_add_u32_e32 v47, 4, v47
	v_addc_co_u32_e64 v48, s[2:3], 0, v48, s[2:3]
	s_waitcnt lgkmcnt(0)
	v_fmac_f32_e32 v101, v49, v50
	s_andn2_b64 exec, exec, s[10:11]
	s_cbranch_execnz .LBB21_285
; %bb.286:
	s_or_b64 exec, exec, s[10:11]
.LBB21_287:
	s_or_b64 exec, exec, s[8:9]
.LBB21_288:
	s_or_b64 exec, exec, s[6:7]
	v_mov_b32_e32 v26, 0
	ds_read_b32 v26, v26 offset:8
	s_waitcnt lgkmcnt(0)
	v_mul_f32_e32 v26, v101, v26
.LBB21_289:
	s_or_b64 exec, exec, s[4:5]
	v_cmp_lt_u32_e64 s[2:3], 1, v0
	ds_write_b32 v100, v25
	s_waitcnt lgkmcnt(0)
	; wave barrier
	s_and_saveexec_b64 s[4:5], s[2:3]
	s_cbranch_execz .LBB21_305
; %bb.290:
	s_andn2_b64 vcc, exec, s[46:47]
	s_cbranch_vccnz .LBB21_292
; %bb.291:
	v_cmp_eq_u32_e32 vcc, 1, v0
	v_cndmask_b32_e32 v101, v24, v25, vcc
	v_cmp_eq_u32_e32 vcc, 2, v0
	v_cndmask_b32_e32 v101, v101, v26, vcc
	;; [unrolled: 2-line block ×17, first 2 shown]
	v_cmp_eq_u32_e32 vcc, 18, v0
	ds_read_b32 v102, v100
	v_cndmask_b32_e32 v101, v101, v42, vcc
	v_cmp_eq_u32_e32 vcc, 19, v0
	v_cndmask_b32_e32 v101, v101, v43, vcc
	v_cmp_eq_u32_e32 vcc, 20, v0
	;; [unrolled: 2-line block ×3, first 2 shown]
	v_cndmask_b32_e32 v101, v101, v45, vcc
	s_waitcnt lgkmcnt(0)
	v_mul_f32_e32 v101, v101, v102
	s_cbranch_execz .LBB21_293
	s_branch .LBB21_294
.LBB21_292:
                                        ; implicit-def: $vgpr101
.LBB21_293:
	ds_read_b32 v101, v100
.LBB21_294:
	s_and_saveexec_b64 s[6:7], s[0:1]
	s_cbranch_execz .LBB21_304
; %bb.295:
	v_add_u32_e32 v102, -3, v0
	v_add_u32_e32 v103, -2, v0
	v_cmp_lt_u32_e32 vcc, 6, v102
	v_mov_b32_e32 v102, 2
	s_and_saveexec_b64 s[0:1], vcc
	s_cbranch_execz .LBB21_299
; %bb.296:
	v_and_b32_e32 v102, -8, v103
	v_sub_u32_e32 v104, 0, v102
	s_mov_b64 s[8:9], 9
	s_movk_i32 s12, 0x68
	s_mov_b64 s[10:11], 0
.LBB21_297:                             ; =>This Inner Loop Header: Depth=1
	s_add_i32 s13, s8, -7
	v_mov_b32_e32 v102, s12
	s_add_i32 s14, s8, -6
	s_set_gpr_idx_on s13, gpr_idx(SRC0)
	v_mov_b32_e32 v113, v24
	s_set_gpr_idx_off
	ds_read2_b64 v[105:108], v102 offset1:1
	s_add_i32 s15, s8, -5
	s_set_gpr_idx_on s14, gpr_idx(SRC0)
	v_mov_b32_e32 v114, v24
	s_set_gpr_idx_off
	s_add_i32 s16, s8, -4
	s_set_gpr_idx_on s15, gpr_idx(SRC0)
	v_mov_b32_e32 v115, v24
	s_set_gpr_idx_off
	;; [unrolled: 4-line block ×4, first 2 shown]
	ds_read2_b64 v[109:112], v102 offset0:2 offset1:3
	s_add_i32 s19, s8, -1
	s_waitcnt lgkmcnt(1)
	v_fmac_f32_e32 v101, v113, v105
	s_set_gpr_idx_on s18, gpr_idx(SRC0)
	v_mov_b32_e32 v105, v24
	s_set_gpr_idx_off
	v_fmac_f32_e32 v101, v114, v106
	s_set_gpr_idx_on s19, gpr_idx(SRC0)
	v_mov_b32_e32 v106, v24
	s_set_gpr_idx_off
	;; [unrolled: 4-line block ×3, first 2 shown]
	v_fmac_f32_e32 v101, v116, v108
	s_add_u32 s8, s8, 8
	s_waitcnt lgkmcnt(0)
	v_fmac_f32_e32 v101, v117, v109
	v_add_u32_e32 v102, s8, v104
	v_fmac_f32_e32 v101, v105, v110
	s_addc_u32 s9, s9, 0
	s_add_i32 s12, s12, 32
	s_add_i32 s13, s8, -7
	v_cmp_eq_u32_e32 vcc, 9, v102
	v_fmac_f32_e32 v101, v106, v111
	v_mov_b32_e32 v102, s13
	s_or_b64 s[10:11], vcc, s[10:11]
	v_fmac_f32_e32 v101, v107, v112
	s_andn2_b64 exec, exec, s[10:11]
	s_cbranch_execnz .LBB21_297
; %bb.298:
	s_or_b64 exec, exec, s[10:11]
.LBB21_299:
	s_or_b64 exec, exec, s[0:1]
	v_and_b32_e32 v46, 7, v103
	v_cmp_ne_u32_e32 vcc, 0, v46
	s_and_saveexec_b64 s[8:9], vcc
	s_cbranch_execz .LBB21_303
; %bb.300:
	v_mov_b32_e32 v47, 0x60
	v_lshl_add_u32 v47, v102, 2, v47
	v_mov_b32_e32 v48, 0
	s_mov_b64 s[10:11], 0
.LBB21_301:                             ; =>This Inner Loop Header: Depth=1
	v_cmp_eq_u32_e32 vcc, 1, v102
	v_cndmask_b32_e32 v49, v24, v25, vcc
	v_add_u32_e32 v46, -1, v46
	v_cmp_eq_u32_e32 vcc, 2, v102
	v_cndmask_b32_e32 v49, v49, v26, vcc
	v_cmp_eq_u32_e32 vcc, 0, v46
	v_cmp_eq_u32_e64 s[0:1], 3, v102
	v_cndmask_b32_e64 v49, v49, v27, s[0:1]
	s_or_b64 s[10:11], vcc, s[10:11]
	v_cmp_eq_u32_e32 vcc, 4, v102
	v_cndmask_b32_e32 v49, v49, v28, vcc
	v_cmp_eq_u32_e32 vcc, 5, v102
	v_cndmask_b32_e32 v49, v49, v29, vcc
	;; [unrolled: 2-line block ×13, first 2 shown]
	v_cmp_eq_u32_e32 vcc, 17, v102
	ds_read_b32 v50, v47
	v_cndmask_b32_e32 v49, v49, v41, vcc
	v_cmp_eq_u32_e32 vcc, 18, v102
	v_cndmask_b32_e32 v49, v49, v42, vcc
	v_cmp_eq_u32_e32 vcc, 19, v102
	;; [unrolled: 2-line block ×4, first 2 shown]
	v_add_co_u32_e64 v102, s[0:1], 1, v102
	v_cndmask_b32_e32 v49, v49, v45, vcc
	v_add_u32_e32 v47, 4, v47
	v_addc_co_u32_e64 v48, s[0:1], 0, v48, s[0:1]
	s_waitcnt lgkmcnt(0)
	v_fmac_f32_e32 v101, v49, v50
	s_andn2_b64 exec, exec, s[10:11]
	s_cbranch_execnz .LBB21_301
; %bb.302:
	s_or_b64 exec, exec, s[10:11]
.LBB21_303:
	s_or_b64 exec, exec, s[8:9]
.LBB21_304:
	s_or_b64 exec, exec, s[6:7]
	v_mov_b32_e32 v25, 0
	ds_read_b32 v25, v25 offset:4
	s_waitcnt lgkmcnt(0)
	v_mul_f32_e32 v25, v101, v25
.LBB21_305:
	s_or_b64 exec, exec, s[4:5]
	v_cmp_ne_u32_e32 vcc, 0, v0
	ds_write_b32 v100, v24
	s_waitcnt lgkmcnt(0)
	; wave barrier
	s_and_saveexec_b64 s[4:5], vcc
	s_cbranch_execz .LBB21_321
; %bb.306:
	s_andn2_b64 vcc, exec, s[46:47]
	s_cbranch_vccnz .LBB21_308
; %bb.307:
	v_cmp_eq_u32_e32 vcc, 1, v0
	v_cndmask_b32_e32 v101, v24, v25, vcc
	v_cmp_eq_u32_e32 vcc, 2, v0
	v_cndmask_b32_e32 v101, v101, v26, vcc
	;; [unrolled: 2-line block ×17, first 2 shown]
	v_cmp_eq_u32_e32 vcc, 18, v0
	ds_read_b32 v102, v100
	v_cndmask_b32_e32 v101, v101, v42, vcc
	v_cmp_eq_u32_e32 vcc, 19, v0
	v_cndmask_b32_e32 v101, v101, v43, vcc
	v_cmp_eq_u32_e32 vcc, 20, v0
	;; [unrolled: 2-line block ×3, first 2 shown]
	v_cndmask_b32_e32 v101, v101, v45, vcc
	s_waitcnt lgkmcnt(0)
	v_mul_f32_e32 v101, v101, v102
	s_cbranch_execz .LBB21_309
	s_branch .LBB21_310
.LBB21_308:
                                        ; implicit-def: $vgpr101
.LBB21_309:
	ds_read_b32 v101, v100
.LBB21_310:
	s_and_saveexec_b64 s[6:7], s[2:3]
	s_cbranch_execz .LBB21_320
; %bb.311:
	v_add_u32_e32 v102, -2, v0
	v_add_u32_e32 v103, -1, v0
	v_cmp_lt_u32_e32 vcc, 6, v102
	v_mov_b32_e32 v102, 1
	s_and_saveexec_b64 s[0:1], vcc
	s_cbranch_execz .LBB21_315
; %bb.312:
	v_and_b32_e32 v102, -8, v103
	v_sub_u32_e32 v104, 0, v102
	s_mov_b64 s[2:3], 8
	s_movk_i32 s10, 0x64
	s_mov_b64 s[8:9], 0
.LBB21_313:                             ; =>This Inner Loop Header: Depth=1
	s_add_i32 s11, s2, -7
	v_mov_b32_e32 v102, s10
	s_add_i32 s12, s2, -6
	s_set_gpr_idx_on s11, gpr_idx(SRC0)
	v_mov_b32_e32 v111, v24
	s_set_gpr_idx_off
	ds_read2_b32 v[105:106], v102 offset1:1
	s_add_i32 s13, s2, -5
	s_set_gpr_idx_on s12, gpr_idx(SRC0)
	v_mov_b32_e32 v112, v24
	s_set_gpr_idx_off
	s_add_i32 s14, s2, -4
	s_set_gpr_idx_on s13, gpr_idx(SRC0)
	v_mov_b32_e32 v113, v24
	s_set_gpr_idx_off
	ds_read2_b32 v[107:108], v102 offset0:2 offset1:3
	s_add_i32 s15, s2, -3
	s_set_gpr_idx_on s14, gpr_idx(SRC0)
	v_mov_b32_e32 v114, v24
	s_set_gpr_idx_off
	s_add_i32 s16, s2, -2
	s_set_gpr_idx_on s15, gpr_idx(SRC0)
	v_mov_b32_e32 v115, v24
	s_set_gpr_idx_off
	ds_read2_b32 v[109:110], v102 offset0:4 offset1:5
	s_add_i32 s17, s2, -1
	s_waitcnt lgkmcnt(2)
	v_fmac_f32_e32 v101, v111, v105
	s_set_gpr_idx_on s16, gpr_idx(SRC0)
	v_mov_b32_e32 v111, v24
	s_set_gpr_idx_off
	v_fmac_f32_e32 v101, v112, v106
	s_set_gpr_idx_on s17, gpr_idx(SRC0)
	v_mov_b32_e32 v112, v24
	s_set_gpr_idx_off
	ds_read2_b32 v[105:106], v102 offset0:6 offset1:7
	s_waitcnt lgkmcnt(2)
	v_fmac_f32_e32 v101, v113, v107
	s_set_gpr_idx_on s2, gpr_idx(SRC0)
	v_mov_b32_e32 v107, v24
	s_set_gpr_idx_off
	v_fmac_f32_e32 v101, v114, v108
	s_add_u32 s2, s2, 8
	s_waitcnt lgkmcnt(1)
	v_fmac_f32_e32 v101, v115, v109
	v_add_u32_e32 v102, s2, v104
	v_fmac_f32_e32 v101, v111, v110
	s_addc_u32 s3, s3, 0
	s_add_i32 s10, s10, 32
	s_add_i32 s11, s2, -7
	v_cmp_eq_u32_e32 vcc, 8, v102
	s_waitcnt lgkmcnt(0)
	v_fmac_f32_e32 v101, v112, v105
	v_mov_b32_e32 v102, s11
	s_or_b64 s[8:9], vcc, s[8:9]
	v_fmac_f32_e32 v101, v107, v106
	s_andn2_b64 exec, exec, s[8:9]
	s_cbranch_execnz .LBB21_313
; %bb.314:
	s_or_b64 exec, exec, s[8:9]
.LBB21_315:
	s_or_b64 exec, exec, s[0:1]
	v_and_b32_e32 v46, 7, v103
	v_cmp_ne_u32_e32 vcc, 0, v46
	s_and_saveexec_b64 s[2:3], vcc
	s_cbranch_execz .LBB21_319
; %bb.316:
	v_mov_b32_e32 v47, 0x60
	v_lshl_add_u32 v47, v102, 2, v47
	v_mov_b32_e32 v48, 0
	s_mov_b64 s[8:9], 0
.LBB21_317:                             ; =>This Inner Loop Header: Depth=1
	v_cmp_eq_u32_e32 vcc, 1, v102
	v_cndmask_b32_e32 v49, v24, v25, vcc
	v_add_u32_e32 v46, -1, v46
	v_cmp_eq_u32_e32 vcc, 2, v102
	v_cndmask_b32_e32 v49, v49, v26, vcc
	v_cmp_eq_u32_e32 vcc, 0, v46
	v_cmp_eq_u32_e64 s[0:1], 3, v102
	v_cndmask_b32_e64 v49, v49, v27, s[0:1]
	s_or_b64 s[8:9], vcc, s[8:9]
	v_cmp_eq_u32_e32 vcc, 4, v102
	v_cndmask_b32_e32 v49, v49, v28, vcc
	v_cmp_eq_u32_e32 vcc, 5, v102
	v_cndmask_b32_e32 v49, v49, v29, vcc
	;; [unrolled: 2-line block ×13, first 2 shown]
	v_cmp_eq_u32_e32 vcc, 17, v102
	ds_read_b32 v50, v47
	v_cndmask_b32_e32 v49, v49, v41, vcc
	v_cmp_eq_u32_e32 vcc, 18, v102
	v_cndmask_b32_e32 v49, v49, v42, vcc
	v_cmp_eq_u32_e32 vcc, 19, v102
	;; [unrolled: 2-line block ×4, first 2 shown]
	v_add_co_u32_e64 v102, s[0:1], 1, v102
	v_cndmask_b32_e32 v49, v49, v45, vcc
	v_add_u32_e32 v47, 4, v47
	v_addc_co_u32_e64 v48, s[0:1], 0, v48, s[0:1]
	s_waitcnt lgkmcnt(0)
	v_fmac_f32_e32 v101, v49, v50
	s_andn2_b64 exec, exec, s[8:9]
	s_cbranch_execnz .LBB21_317
; %bb.318:
	s_or_b64 exec, exec, s[8:9]
.LBB21_319:
	s_or_b64 exec, exec, s[2:3]
.LBB21_320:
	s_or_b64 exec, exec, s[6:7]
	v_mov_b32_e32 v24, 0
	ds_read_b32 v24, v24
	s_waitcnt lgkmcnt(0)
	v_mul_f32_e32 v24, v101, v24
.LBB21_321:
	s_or_b64 exec, exec, s[4:5]
	s_branch .LBB21_535
.LBB21_322:
	v_cmp_eq_u32_e64 s[2:3], 0, v0
	s_waitcnt vmcnt(21)
	ds_write_b32 v100, v3
	s_waitcnt lgkmcnt(0)
	; wave barrier
	s_and_saveexec_b64 s[0:1], s[2:3]
	s_cbranch_execz .LBB21_328
; %bb.323:
	s_and_b64 vcc, exec, s[46:47]
	s_cbranch_vccz .LBB21_325
; %bb.324:
	v_cmp_eq_u32_e32 vcc, 1, v0
	s_waitcnt vmcnt(5)
	v_cndmask_b32_e32 v3, v2, v3, vcc
	v_cmp_eq_u32_e32 vcc, 2, v0
	v_cndmask_b32_e32 v3, v3, v4, vcc
	v_cmp_eq_u32_e32 vcc, 3, v0
	;; [unrolled: 2-line block ×16, first 2 shown]
	s_waitcnt vmcnt(4)
	v_cndmask_b32_e32 v3, v3, v19, vcc
	v_cmp_eq_u32_e32 vcc, 18, v0
	ds_read_b32 v24, v100
	s_waitcnt vmcnt(3)
	v_cndmask_b32_e32 v3, v3, v20, vcc
	v_cmp_eq_u32_e32 vcc, 19, v0
	s_waitcnt vmcnt(2)
	v_cndmask_b32_e32 v3, v3, v21, vcc
	v_cmp_eq_u32_e32 vcc, 20, v0
	;; [unrolled: 3-line block ×3, first 2 shown]
	s_waitcnt vmcnt(0)
	v_cndmask_b32_e32 v3, v3, v23, vcc
	s_waitcnt lgkmcnt(0)
	v_mul_f32_e32 v3, v3, v24
	s_cbranch_execz .LBB21_326
	s_branch .LBB21_327
.LBB21_325:
                                        ; implicit-def: $vgpr3
.LBB21_326:
	ds_read_b32 v3, v100
.LBB21_327:
	v_mov_b32_e32 v24, 0
	ds_read_b32 v24, v24 offset:4
	s_waitcnt lgkmcnt(0)
	v_mul_f32_e32 v3, v3, v24
.LBB21_328:
	s_or_b64 exec, exec, s[0:1]
	v_cndmask_b32_e64 v24, 0, 1, s[46:47]
	v_cmp_gt_u32_e32 vcc, 2, v0
	v_cmp_ne_u32_e64 s[0:1], 1, v24
	s_waitcnt vmcnt(20)
	ds_write_b32 v100, v4
	s_waitcnt lgkmcnt(0)
	; wave barrier
	s_and_saveexec_b64 s[4:5], vcc
	s_cbranch_execz .LBB21_334
; %bb.329:
	s_and_b64 vcc, exec, s[0:1]
	s_cbranch_vccnz .LBB21_331
; %bb.330:
	v_cmp_eq_u32_e32 vcc, 1, v0
	s_waitcnt vmcnt(5)
	v_cndmask_b32_e32 v24, v2, v3, vcc
	v_cmp_eq_u32_e32 vcc, 2, v0
	v_cndmask_b32_e32 v4, v24, v4, vcc
	v_cmp_eq_u32_e32 vcc, 3, v0
	;; [unrolled: 2-line block ×16, first 2 shown]
	s_waitcnt vmcnt(4)
	v_cndmask_b32_e32 v4, v4, v19, vcc
	v_cmp_eq_u32_e32 vcc, 18, v0
	ds_read_b32 v24, v100
	s_waitcnt vmcnt(3)
	v_cndmask_b32_e32 v4, v4, v20, vcc
	v_cmp_eq_u32_e32 vcc, 19, v0
	s_waitcnt vmcnt(2)
	v_cndmask_b32_e32 v4, v4, v21, vcc
	v_cmp_eq_u32_e32 vcc, 20, v0
	;; [unrolled: 3-line block ×3, first 2 shown]
	s_waitcnt vmcnt(0)
	v_cndmask_b32_e32 v4, v4, v23, vcc
	s_waitcnt lgkmcnt(0)
	v_mul_f32_e32 v4, v4, v24
	s_cbranch_execz .LBB21_332
	s_branch .LBB21_333
.LBB21_331:
                                        ; implicit-def: $vgpr4
.LBB21_332:
	ds_read_b32 v4, v100
.LBB21_333:
	v_mov_b32_e32 v24, 0
	ds_read2_b32 v[24:25], v24 offset0:2 offset1:25
	s_waitcnt lgkmcnt(0)
	v_fma_f32 v25, v3, v25, v4
	v_cndmask_b32_e64 v4, v4, v25, s[2:3]
	v_mul_f32_e32 v4, v4, v24
.LBB21_334:
	s_or_b64 exec, exec, s[4:5]
	v_add_u32_e32 v26, 1, v0
	v_cmp_gt_u32_e64 s[4:5], 3, v0
	s_waitcnt vmcnt(19)
	ds_write_b32 v100, v5
	s_waitcnt lgkmcnt(0)
	; wave barrier
	s_and_saveexec_b64 s[6:7], s[4:5]
	s_cbranch_execz .LBB21_342
; %bb.335:
	s_and_b64 vcc, exec, s[0:1]
	s_cbranch_vccnz .LBB21_337
; %bb.336:
	v_cmp_eq_u32_e32 vcc, 1, v0
	s_waitcnt vmcnt(5)
	v_cndmask_b32_e32 v24, v2, v3, vcc
	v_cmp_eq_u32_e32 vcc, 2, v0
	v_cndmask_b32_e32 v24, v24, v4, vcc
	v_cmp_eq_u32_e32 vcc, 3, v0
	;; [unrolled: 2-line block ×16, first 2 shown]
	s_waitcnt vmcnt(4)
	v_cndmask_b32_e32 v24, v24, v19, vcc
	v_cmp_eq_u32_e32 vcc, 18, v0
	ds_read_b32 v25, v100
	s_waitcnt vmcnt(3)
	v_cndmask_b32_e32 v24, v24, v20, vcc
	v_cmp_eq_u32_e32 vcc, 19, v0
	s_waitcnt vmcnt(2)
	v_cndmask_b32_e32 v24, v24, v21, vcc
	v_cmp_eq_u32_e32 vcc, 20, v0
	;; [unrolled: 3-line block ×3, first 2 shown]
	s_waitcnt vmcnt(0)
	v_cndmask_b32_e32 v24, v24, v23, vcc
	s_waitcnt lgkmcnt(0)
	v_mul_f32_e32 v24, v24, v25
	s_cbranch_execz .LBB21_338
	s_branch .LBB21_339
.LBB21_337:
                                        ; implicit-def: $vgpr24
.LBB21_338:
	ds_read_b32 v24, v100
.LBB21_339:
	v_cmp_ne_u32_e32 vcc, 2, v0
	s_and_saveexec_b64 s[8:9], vcc
	s_cbranch_execz .LBB21_341
; %bb.340:
	v_cmp_eq_u32_e32 vcc, 1, v26
	s_waitcnt vmcnt(5)
	v_cndmask_b32_e32 v25, v2, v3, vcc
	v_cmp_eq_u32_e32 vcc, 2, v26
	v_cndmask_b32_e32 v25, v25, v4, vcc
	v_cmp_eq_u32_e32 vcc, 3, v26
	v_cndmask_b32_e32 v5, v25, v5, vcc
	v_cmp_eq_u32_e32 vcc, 4, v26
	v_cndmask_b32_e32 v5, v5, v6, vcc
	v_cmp_eq_u32_e32 vcc, 5, v26
	v_cndmask_b32_e32 v5, v5, v7, vcc
	v_cmp_eq_u32_e32 vcc, 6, v26
	v_cndmask_b32_e32 v5, v5, v8, vcc
	v_cmp_eq_u32_e32 vcc, 7, v26
	v_cndmask_b32_e32 v5, v5, v9, vcc
	v_cmp_eq_u32_e32 vcc, 8, v26
	v_cndmask_b32_e32 v5, v5, v10, vcc
	v_cmp_eq_u32_e32 vcc, 9, v26
	v_cndmask_b32_e32 v5, v5, v11, vcc
	v_cmp_eq_u32_e32 vcc, 10, v26
	v_cndmask_b32_e32 v5, v5, v12, vcc
	v_cmp_eq_u32_e32 vcc, 11, v26
	v_cndmask_b32_e32 v5, v5, v13, vcc
	v_cmp_eq_u32_e32 vcc, 12, v26
	v_cndmask_b32_e32 v5, v5, v14, vcc
	v_cmp_eq_u32_e32 vcc, 13, v26
	v_cndmask_b32_e32 v5, v5, v15, vcc
	v_cmp_eq_u32_e32 vcc, 14, v26
	v_cndmask_b32_e32 v5, v5, v16, vcc
	v_cmp_eq_u32_e32 vcc, 15, v26
	v_cndmask_b32_e32 v5, v5, v17, vcc
	v_cmp_eq_u32_e32 vcc, 16, v26
	v_cndmask_b32_e32 v5, v5, v18, vcc
	v_cmp_eq_u32_e32 vcc, 17, v26
	s_waitcnt vmcnt(4)
	v_cndmask_b32_e32 v5, v5, v19, vcc
	v_cmp_eq_u32_e32 vcc, 18, v26
	v_mov_b32_e32 v25, 0
	s_waitcnt vmcnt(3)
	v_cndmask_b32_e32 v5, v5, v20, vcc
	v_cmp_eq_u32_e32 vcc, 19, v26
	ds_read_b32 v27, v100 offset:4
	ds_read_b32 v25, v25 offset:104
	s_waitcnt vmcnt(2)
	v_cndmask_b32_e32 v5, v5, v21, vcc
	v_cmp_eq_u32_e32 vcc, 20, v26
	s_waitcnt vmcnt(1)
	v_cndmask_b32_e32 v5, v5, v22, vcc
	v_cmp_eq_u32_e32 vcc, 21, v26
	s_waitcnt vmcnt(0)
	v_cndmask_b32_e32 v5, v5, v23, vcc
	s_waitcnt lgkmcnt(1)
	v_fmac_f32_e32 v24, v5, v27
	s_waitcnt lgkmcnt(0)
	v_fma_f32 v5, v4, v25, v24
	v_cndmask_b32_e64 v24, v24, v5, s[2:3]
.LBB21_341:
	s_or_b64 exec, exec, s[8:9]
	v_mov_b32_e32 v5, 0
	ds_read_b32 v5, v5 offset:12
	s_waitcnt lgkmcnt(0)
	v_mul_f32_e32 v5, v24, v5
.LBB21_342:
	s_or_b64 exec, exec, s[6:7]
	v_cmp_gt_u32_e32 vcc, 4, v0
	s_waitcnt vmcnt(18)
	ds_write_b32 v100, v6
	s_waitcnt lgkmcnt(0)
	; wave barrier
	s_and_saveexec_b64 s[8:9], vcc
	s_cbranch_execz .LBB21_352
; %bb.343:
	s_and_b64 vcc, exec, s[0:1]
	s_cbranch_vccnz .LBB21_345
; %bb.344:
	v_cmp_eq_u32_e32 vcc, 1, v0
	s_waitcnt vmcnt(5)
	v_cndmask_b32_e32 v24, v2, v3, vcc
	v_cmp_eq_u32_e32 vcc, 2, v0
	v_cndmask_b32_e32 v24, v24, v4, vcc
	v_cmp_eq_u32_e32 vcc, 3, v0
	;; [unrolled: 2-line block ×16, first 2 shown]
	s_waitcnt vmcnt(4)
	v_cndmask_b32_e32 v24, v24, v19, vcc
	v_cmp_eq_u32_e32 vcc, 18, v0
	ds_read_b32 v25, v100
	s_waitcnt vmcnt(3)
	v_cndmask_b32_e32 v24, v24, v20, vcc
	v_cmp_eq_u32_e32 vcc, 19, v0
	s_waitcnt vmcnt(2)
	v_cndmask_b32_e32 v24, v24, v21, vcc
	v_cmp_eq_u32_e32 vcc, 20, v0
	;; [unrolled: 3-line block ×3, first 2 shown]
	s_waitcnt vmcnt(0)
	v_cndmask_b32_e32 v24, v24, v23, vcc
	s_waitcnt lgkmcnt(0)
	v_mul_f32_e32 v27, v24, v25
	s_cbranch_execz .LBB21_346
	s_branch .LBB21_347
.LBB21_345:
                                        ; implicit-def: $vgpr27
.LBB21_346:
	ds_read_b32 v27, v100
.LBB21_347:
	v_cmp_ne_u32_e32 vcc, 3, v0
	s_and_saveexec_b64 s[10:11], vcc
	s_cbranch_execz .LBB21_351
; %bb.348:
	v_mov_b32_e32 v24, 0x64
	v_lshl_add_u32 v28, v0, 2, v24
	v_mov_b32_e32 v25, v1
	s_mov_b64 s[12:13], 0
	v_mov_b32_e32 v24, v0
.LBB21_349:                             ; =>This Inner Loop Header: Depth=1
	v_add_co_u32_e32 v24, vcc, 1, v24
	v_addc_co_u32_e32 v25, vcc, 0, v25, vcc
	v_cmp_eq_u32_e32 vcc, 1, v24
	s_waitcnt vmcnt(5)
	v_cndmask_b32_e32 v30, v2, v3, vcc
	v_cmp_lt_u32_e32 vcc, 2, v24
	v_cmp_eq_u32_e64 s[6:7], 2, v24
	v_cndmask_b32_e64 v30, v30, v4, s[6:7]
	s_or_b64 s[12:13], vcc, s[12:13]
	v_cmp_eq_u32_e32 vcc, 3, v24
	v_cndmask_b32_e32 v30, v30, v5, vcc
	v_cmp_eq_u32_e32 vcc, 4, v24
	v_cndmask_b32_e32 v30, v30, v6, vcc
	v_cmp_eq_u32_e32 vcc, 5, v24
	v_cndmask_b32_e32 v30, v30, v7, vcc
	v_cmp_eq_u32_e32 vcc, 6, v24
	v_cndmask_b32_e32 v30, v30, v8, vcc
	v_cmp_eq_u32_e32 vcc, 7, v24
	v_cndmask_b32_e32 v30, v30, v9, vcc
	v_cmp_eq_u32_e32 vcc, 8, v24
	v_cndmask_b32_e32 v30, v30, v10, vcc
	v_cmp_eq_u32_e32 vcc, 9, v24
	v_cndmask_b32_e32 v30, v30, v11, vcc
	v_cmp_eq_u32_e32 vcc, 10, v24
	v_cndmask_b32_e32 v30, v30, v12, vcc
	v_cmp_eq_u32_e32 vcc, 11, v24
	v_cndmask_b32_e32 v30, v30, v13, vcc
	v_cmp_eq_u32_e32 vcc, 12, v24
	v_cndmask_b32_e32 v30, v30, v14, vcc
	v_cmp_eq_u32_e32 vcc, 13, v24
	v_cndmask_b32_e32 v30, v30, v15, vcc
	v_cmp_eq_u32_e32 vcc, 14, v24
	v_cndmask_b32_e32 v30, v30, v16, vcc
	v_cmp_eq_u32_e32 vcc, 15, v24
	v_cndmask_b32_e32 v30, v30, v17, vcc
	v_cmp_eq_u32_e32 vcc, 16, v24
	v_cndmask_b32_e32 v30, v30, v18, vcc
	v_cmp_eq_u32_e32 vcc, 17, v24
	ds_read_b32 v29, v28
	s_waitcnt vmcnt(4)
	v_cndmask_b32_e32 v30, v30, v19, vcc
	v_cmp_eq_u32_e32 vcc, 18, v24
	s_waitcnt vmcnt(3)
	v_cndmask_b32_e32 v30, v30, v20, vcc
	v_cmp_eq_u32_e32 vcc, 19, v24
	;; [unrolled: 3-line block ×4, first 2 shown]
	s_waitcnt vmcnt(0)
	v_cndmask_b32_e32 v30, v30, v23, vcc
	v_add_u32_e32 v28, 4, v28
	s_waitcnt lgkmcnt(0)
	v_fmac_f32_e32 v27, v30, v29
	s_andn2_b64 exec, exec, s[12:13]
	s_cbranch_execnz .LBB21_349
; %bb.350:
	s_or_b64 exec, exec, s[12:13]
.LBB21_351:
	s_or_b64 exec, exec, s[10:11]
	v_mov_b32_e32 v6, 0
	ds_read_b32 v6, v6 offset:16
	s_waitcnt lgkmcnt(0)
	v_mul_f32_e32 v6, v27, v6
.LBB21_352:
	s_or_b64 exec, exec, s[8:9]
	v_cmp_gt_u32_e64 s[6:7], 5, v0
	s_waitcnt vmcnt(17)
	ds_write_b32 v100, v7
	s_waitcnt lgkmcnt(0)
	; wave barrier
	s_and_saveexec_b64 s[10:11], s[6:7]
	s_cbranch_execz .LBB21_362
; %bb.353:
	s_and_b64 vcc, exec, s[0:1]
	s_cbranch_vccnz .LBB21_355
; %bb.354:
	v_cmp_eq_u32_e32 vcc, 1, v0
	s_waitcnt vmcnt(5)
	v_cndmask_b32_e32 v24, v2, v3, vcc
	v_cmp_eq_u32_e32 vcc, 2, v0
	v_cndmask_b32_e32 v24, v24, v4, vcc
	v_cmp_eq_u32_e32 vcc, 3, v0
	;; [unrolled: 2-line block ×16, first 2 shown]
	s_waitcnt vmcnt(4)
	v_cndmask_b32_e32 v24, v24, v19, vcc
	v_cmp_eq_u32_e32 vcc, 18, v0
	ds_read_b32 v25, v100
	s_waitcnt vmcnt(3)
	v_cndmask_b32_e32 v24, v24, v20, vcc
	v_cmp_eq_u32_e32 vcc, 19, v0
	s_waitcnt vmcnt(2)
	v_cndmask_b32_e32 v24, v24, v21, vcc
	v_cmp_eq_u32_e32 vcc, 20, v0
	;; [unrolled: 3-line block ×3, first 2 shown]
	s_waitcnt vmcnt(0)
	v_cndmask_b32_e32 v24, v24, v23, vcc
	s_waitcnt lgkmcnt(0)
	v_mul_f32_e32 v27, v24, v25
	s_cbranch_execz .LBB21_356
	s_branch .LBB21_357
.LBB21_355:
                                        ; implicit-def: $vgpr27
.LBB21_356:
	ds_read_b32 v27, v100
.LBB21_357:
	v_cmp_ne_u32_e32 vcc, 4, v0
	s_and_saveexec_b64 s[12:13], vcc
	s_cbranch_execz .LBB21_361
; %bb.358:
	v_mov_b32_e32 v24, 0x64
	v_lshl_add_u32 v28, v0, 2, v24
	v_mov_b32_e32 v25, v1
	s_mov_b64 s[14:15], 0
	v_mov_b32_e32 v24, v0
.LBB21_359:                             ; =>This Inner Loop Header: Depth=1
	v_add_co_u32_e32 v24, vcc, 1, v24
	v_addc_co_u32_e32 v25, vcc, 0, v25, vcc
	v_cmp_eq_u32_e32 vcc, 1, v24
	s_waitcnt vmcnt(5)
	v_cndmask_b32_e32 v30, v2, v3, vcc
	v_cmp_lt_u32_e32 vcc, 3, v24
	v_cmp_eq_u32_e64 s[8:9], 2, v24
	v_cndmask_b32_e64 v30, v30, v4, s[8:9]
	s_or_b64 s[14:15], vcc, s[14:15]
	v_cmp_eq_u32_e32 vcc, 3, v24
	v_cndmask_b32_e32 v30, v30, v5, vcc
	v_cmp_eq_u32_e32 vcc, 4, v24
	v_cndmask_b32_e32 v30, v30, v6, vcc
	;; [unrolled: 2-line block ×14, first 2 shown]
	v_cmp_eq_u32_e32 vcc, 17, v24
	ds_read_b32 v29, v28
	s_waitcnt vmcnt(4)
	v_cndmask_b32_e32 v30, v30, v19, vcc
	v_cmp_eq_u32_e32 vcc, 18, v24
	s_waitcnt vmcnt(3)
	v_cndmask_b32_e32 v30, v30, v20, vcc
	v_cmp_eq_u32_e32 vcc, 19, v24
	;; [unrolled: 3-line block ×4, first 2 shown]
	s_waitcnt vmcnt(0)
	v_cndmask_b32_e32 v30, v30, v23, vcc
	v_add_u32_e32 v28, 4, v28
	s_waitcnt lgkmcnt(0)
	v_fmac_f32_e32 v27, v30, v29
	s_andn2_b64 exec, exec, s[14:15]
	s_cbranch_execnz .LBB21_359
; %bb.360:
	s_or_b64 exec, exec, s[14:15]
.LBB21_361:
	s_or_b64 exec, exec, s[12:13]
	v_mov_b32_e32 v7, 0
	ds_read_b32 v7, v7 offset:20
	s_waitcnt lgkmcnt(0)
	v_mul_f32_e32 v7, v27, v7
.LBB21_362:
	s_or_b64 exec, exec, s[10:11]
	v_cmp_gt_u32_e32 vcc, 6, v0
	s_waitcnt vmcnt(16)
	ds_write_b32 v100, v8
	s_waitcnt lgkmcnt(0)
	; wave barrier
	s_and_saveexec_b64 s[10:11], vcc
	s_cbranch_execz .LBB21_372
; %bb.363:
	s_and_b64 vcc, exec, s[0:1]
	s_cbranch_vccnz .LBB21_365
; %bb.364:
	v_cmp_eq_u32_e32 vcc, 1, v0
	s_waitcnt vmcnt(5)
	v_cndmask_b32_e32 v24, v2, v3, vcc
	v_cmp_eq_u32_e32 vcc, 2, v0
	v_cndmask_b32_e32 v24, v24, v4, vcc
	v_cmp_eq_u32_e32 vcc, 3, v0
	;; [unrolled: 2-line block ×16, first 2 shown]
	s_waitcnt vmcnt(4)
	v_cndmask_b32_e32 v24, v24, v19, vcc
	v_cmp_eq_u32_e32 vcc, 18, v0
	ds_read_b32 v25, v100
	s_waitcnt vmcnt(3)
	v_cndmask_b32_e32 v24, v24, v20, vcc
	v_cmp_eq_u32_e32 vcc, 19, v0
	s_waitcnt vmcnt(2)
	v_cndmask_b32_e32 v24, v24, v21, vcc
	v_cmp_eq_u32_e32 vcc, 20, v0
	;; [unrolled: 3-line block ×3, first 2 shown]
	s_waitcnt vmcnt(0)
	v_cndmask_b32_e32 v24, v24, v23, vcc
	s_waitcnt lgkmcnt(0)
	v_mul_f32_e32 v27, v24, v25
	s_cbranch_execz .LBB21_366
	s_branch .LBB21_367
.LBB21_365:
                                        ; implicit-def: $vgpr27
.LBB21_366:
	ds_read_b32 v27, v100
.LBB21_367:
	v_cmp_ne_u32_e32 vcc, 5, v0
	s_and_saveexec_b64 s[12:13], vcc
	s_cbranch_execz .LBB21_371
; %bb.368:
	v_mov_b32_e32 v24, 0x64
	v_lshl_add_u32 v28, v0, 2, v24
	v_mov_b32_e32 v25, v1
	s_mov_b64 s[14:15], 0
	v_mov_b32_e32 v24, v0
.LBB21_369:                             ; =>This Inner Loop Header: Depth=1
	v_add_co_u32_e32 v24, vcc, 1, v24
	v_addc_co_u32_e32 v25, vcc, 0, v25, vcc
	v_cmp_eq_u32_e32 vcc, 1, v24
	s_waitcnt vmcnt(5)
	v_cndmask_b32_e32 v30, v2, v3, vcc
	v_cmp_lt_u32_e32 vcc, 4, v24
	v_cmp_eq_u32_e64 s[8:9], 2, v24
	v_cndmask_b32_e64 v30, v30, v4, s[8:9]
	s_or_b64 s[14:15], vcc, s[14:15]
	v_cmp_eq_u32_e32 vcc, 3, v24
	v_cndmask_b32_e32 v30, v30, v5, vcc
	v_cmp_eq_u32_e32 vcc, 4, v24
	v_cndmask_b32_e32 v30, v30, v6, vcc
	;; [unrolled: 2-line block ×14, first 2 shown]
	v_cmp_eq_u32_e32 vcc, 17, v24
	ds_read_b32 v29, v28
	s_waitcnt vmcnt(4)
	v_cndmask_b32_e32 v30, v30, v19, vcc
	v_cmp_eq_u32_e32 vcc, 18, v24
	s_waitcnt vmcnt(3)
	v_cndmask_b32_e32 v30, v30, v20, vcc
	v_cmp_eq_u32_e32 vcc, 19, v24
	;; [unrolled: 3-line block ×4, first 2 shown]
	s_waitcnt vmcnt(0)
	v_cndmask_b32_e32 v30, v30, v23, vcc
	v_add_u32_e32 v28, 4, v28
	s_waitcnt lgkmcnt(0)
	v_fmac_f32_e32 v27, v30, v29
	s_andn2_b64 exec, exec, s[14:15]
	s_cbranch_execnz .LBB21_369
; %bb.370:
	s_or_b64 exec, exec, s[14:15]
.LBB21_371:
	s_or_b64 exec, exec, s[12:13]
	v_mov_b32_e32 v8, 0
	ds_read_b32 v8, v8 offset:24
	s_waitcnt lgkmcnt(0)
	v_mul_f32_e32 v8, v27, v8
.LBB21_372:
	s_or_b64 exec, exec, s[10:11]
	v_cmp_gt_u32_e64 s[8:9], 7, v0
	s_waitcnt vmcnt(15)
	ds_write_b32 v100, v9
	s_waitcnt lgkmcnt(0)
	; wave barrier
	s_and_saveexec_b64 s[12:13], s[8:9]
	s_cbranch_execz .LBB21_382
; %bb.373:
	s_and_b64 vcc, exec, s[0:1]
	s_cbranch_vccnz .LBB21_375
; %bb.374:
	v_cmp_eq_u32_e32 vcc, 1, v0
	s_waitcnt vmcnt(5)
	v_cndmask_b32_e32 v24, v2, v3, vcc
	v_cmp_eq_u32_e32 vcc, 2, v0
	v_cndmask_b32_e32 v24, v24, v4, vcc
	v_cmp_eq_u32_e32 vcc, 3, v0
	;; [unrolled: 2-line block ×16, first 2 shown]
	s_waitcnt vmcnt(4)
	v_cndmask_b32_e32 v24, v24, v19, vcc
	v_cmp_eq_u32_e32 vcc, 18, v0
	ds_read_b32 v25, v100
	s_waitcnt vmcnt(3)
	v_cndmask_b32_e32 v24, v24, v20, vcc
	v_cmp_eq_u32_e32 vcc, 19, v0
	s_waitcnt vmcnt(2)
	v_cndmask_b32_e32 v24, v24, v21, vcc
	v_cmp_eq_u32_e32 vcc, 20, v0
	;; [unrolled: 3-line block ×3, first 2 shown]
	s_waitcnt vmcnt(0)
	v_cndmask_b32_e32 v24, v24, v23, vcc
	s_waitcnt lgkmcnt(0)
	v_mul_f32_e32 v27, v24, v25
	s_cbranch_execz .LBB21_376
	s_branch .LBB21_377
.LBB21_375:
                                        ; implicit-def: $vgpr27
.LBB21_376:
	ds_read_b32 v27, v100
.LBB21_377:
	v_cmp_ne_u32_e32 vcc, 6, v0
	s_and_saveexec_b64 s[14:15], vcc
	s_cbranch_execz .LBB21_381
; %bb.378:
	v_mov_b32_e32 v24, 0x64
	v_lshl_add_u32 v28, v0, 2, v24
	v_mov_b32_e32 v25, v1
	s_mov_b64 s[16:17], 0
	v_mov_b32_e32 v24, v0
.LBB21_379:                             ; =>This Inner Loop Header: Depth=1
	v_add_co_u32_e32 v24, vcc, 1, v24
	v_addc_co_u32_e32 v25, vcc, 0, v25, vcc
	v_cmp_eq_u32_e32 vcc, 1, v24
	s_waitcnt vmcnt(5)
	v_cndmask_b32_e32 v30, v2, v3, vcc
	v_cmp_lt_u32_e32 vcc, 5, v24
	v_cmp_eq_u32_e64 s[10:11], 2, v24
	v_cndmask_b32_e64 v30, v30, v4, s[10:11]
	s_or_b64 s[16:17], vcc, s[16:17]
	v_cmp_eq_u32_e32 vcc, 3, v24
	v_cndmask_b32_e32 v30, v30, v5, vcc
	v_cmp_eq_u32_e32 vcc, 4, v24
	v_cndmask_b32_e32 v30, v30, v6, vcc
	;; [unrolled: 2-line block ×14, first 2 shown]
	v_cmp_eq_u32_e32 vcc, 17, v24
	ds_read_b32 v29, v28
	s_waitcnt vmcnt(4)
	v_cndmask_b32_e32 v30, v30, v19, vcc
	v_cmp_eq_u32_e32 vcc, 18, v24
	s_waitcnt vmcnt(3)
	v_cndmask_b32_e32 v30, v30, v20, vcc
	v_cmp_eq_u32_e32 vcc, 19, v24
	;; [unrolled: 3-line block ×4, first 2 shown]
	s_waitcnt vmcnt(0)
	v_cndmask_b32_e32 v30, v30, v23, vcc
	v_add_u32_e32 v28, 4, v28
	s_waitcnt lgkmcnt(0)
	v_fmac_f32_e32 v27, v30, v29
	s_andn2_b64 exec, exec, s[16:17]
	s_cbranch_execnz .LBB21_379
; %bb.380:
	s_or_b64 exec, exec, s[16:17]
.LBB21_381:
	s_or_b64 exec, exec, s[14:15]
	v_mov_b32_e32 v9, 0
	ds_read_b32 v9, v9 offset:28
	s_waitcnt lgkmcnt(0)
	v_mul_f32_e32 v9, v27, v9
.LBB21_382:
	s_or_b64 exec, exec, s[12:13]
	v_cmp_gt_u32_e32 vcc, 8, v0
	s_waitcnt vmcnt(14)
	ds_write_b32 v100, v10
	s_waitcnt lgkmcnt(0)
	; wave barrier
	s_and_saveexec_b64 s[12:13], vcc
	s_cbranch_execz .LBB21_392
; %bb.383:
	s_and_b64 vcc, exec, s[0:1]
	s_cbranch_vccnz .LBB21_385
; %bb.384:
	v_cmp_eq_u32_e32 vcc, 1, v0
	s_waitcnt vmcnt(5)
	v_cndmask_b32_e32 v24, v2, v3, vcc
	v_cmp_eq_u32_e32 vcc, 2, v0
	v_cndmask_b32_e32 v24, v24, v4, vcc
	v_cmp_eq_u32_e32 vcc, 3, v0
	;; [unrolled: 2-line block ×16, first 2 shown]
	s_waitcnt vmcnt(4)
	v_cndmask_b32_e32 v24, v24, v19, vcc
	v_cmp_eq_u32_e32 vcc, 18, v0
	ds_read_b32 v25, v100
	s_waitcnt vmcnt(3)
	v_cndmask_b32_e32 v24, v24, v20, vcc
	v_cmp_eq_u32_e32 vcc, 19, v0
	s_waitcnt vmcnt(2)
	v_cndmask_b32_e32 v24, v24, v21, vcc
	v_cmp_eq_u32_e32 vcc, 20, v0
	;; [unrolled: 3-line block ×3, first 2 shown]
	s_waitcnt vmcnt(0)
	v_cndmask_b32_e32 v24, v24, v23, vcc
	s_waitcnt lgkmcnt(0)
	v_mul_f32_e32 v27, v24, v25
	s_cbranch_execz .LBB21_386
	s_branch .LBB21_387
.LBB21_385:
                                        ; implicit-def: $vgpr27
.LBB21_386:
	ds_read_b32 v27, v100
.LBB21_387:
	v_cmp_ne_u32_e32 vcc, 7, v0
	s_and_saveexec_b64 s[14:15], vcc
	s_cbranch_execz .LBB21_391
; %bb.388:
	v_mov_b32_e32 v24, 0x64
	v_lshl_add_u32 v28, v0, 2, v24
	v_mov_b32_e32 v25, v1
	s_mov_b64 s[16:17], 0
	v_mov_b32_e32 v24, v0
.LBB21_389:                             ; =>This Inner Loop Header: Depth=1
	v_add_co_u32_e32 v24, vcc, 1, v24
	v_addc_co_u32_e32 v25, vcc, 0, v25, vcc
	v_cmp_eq_u32_e32 vcc, 1, v24
	s_waitcnt vmcnt(5)
	v_cndmask_b32_e32 v30, v2, v3, vcc
	v_cmp_lt_u32_e32 vcc, 6, v24
	v_cmp_eq_u32_e64 s[10:11], 2, v24
	v_cndmask_b32_e64 v30, v30, v4, s[10:11]
	s_or_b64 s[16:17], vcc, s[16:17]
	v_cmp_eq_u32_e32 vcc, 3, v24
	v_cndmask_b32_e32 v30, v30, v5, vcc
	v_cmp_eq_u32_e32 vcc, 4, v24
	v_cndmask_b32_e32 v30, v30, v6, vcc
	;; [unrolled: 2-line block ×14, first 2 shown]
	v_cmp_eq_u32_e32 vcc, 17, v24
	ds_read_b32 v29, v28
	s_waitcnt vmcnt(4)
	v_cndmask_b32_e32 v30, v30, v19, vcc
	v_cmp_eq_u32_e32 vcc, 18, v24
	s_waitcnt vmcnt(3)
	v_cndmask_b32_e32 v30, v30, v20, vcc
	v_cmp_eq_u32_e32 vcc, 19, v24
	;; [unrolled: 3-line block ×4, first 2 shown]
	s_waitcnt vmcnt(0)
	v_cndmask_b32_e32 v30, v30, v23, vcc
	v_add_u32_e32 v28, 4, v28
	s_waitcnt lgkmcnt(0)
	v_fmac_f32_e32 v27, v30, v29
	s_andn2_b64 exec, exec, s[16:17]
	s_cbranch_execnz .LBB21_389
; %bb.390:
	s_or_b64 exec, exec, s[16:17]
.LBB21_391:
	s_or_b64 exec, exec, s[14:15]
	v_mov_b32_e32 v10, 0
	ds_read_b32 v10, v10 offset:32
	s_waitcnt lgkmcnt(0)
	v_mul_f32_e32 v10, v27, v10
.LBB21_392:
	s_or_b64 exec, exec, s[12:13]
	v_cmp_gt_u32_e32 vcc, 9, v0
	s_waitcnt vmcnt(13)
	ds_write_b32 v100, v11
	s_waitcnt lgkmcnt(0)
	; wave barrier
	s_and_saveexec_b64 s[10:11], vcc
	s_cbranch_execz .LBB21_414
; %bb.393:
	s_and_b64 vcc, exec, s[0:1]
	s_cbranch_vccnz .LBB21_395
; %bb.394:
	v_cmp_eq_u32_e32 vcc, 1, v0
	s_waitcnt vmcnt(5)
	v_cndmask_b32_e32 v24, v2, v3, vcc
	v_cmp_eq_u32_e32 vcc, 2, v0
	v_cndmask_b32_e32 v24, v24, v4, vcc
	v_cmp_eq_u32_e32 vcc, 3, v0
	;; [unrolled: 2-line block ×16, first 2 shown]
	s_waitcnt vmcnt(4)
	v_cndmask_b32_e32 v24, v24, v19, vcc
	v_cmp_eq_u32_e32 vcc, 18, v0
	ds_read_b32 v25, v100
	s_waitcnt vmcnt(3)
	v_cndmask_b32_e32 v24, v24, v20, vcc
	v_cmp_eq_u32_e32 vcc, 19, v0
	s_waitcnt vmcnt(2)
	v_cndmask_b32_e32 v24, v24, v21, vcc
	v_cmp_eq_u32_e32 vcc, 20, v0
	;; [unrolled: 3-line block ×3, first 2 shown]
	s_waitcnt vmcnt(0)
	v_cndmask_b32_e32 v24, v24, v23, vcc
	s_waitcnt lgkmcnt(0)
	v_mul_f32_e32 v24, v24, v25
	s_cbranch_execz .LBB21_396
	s_branch .LBB21_397
.LBB21_395:
                                        ; implicit-def: $vgpr24
.LBB21_396:
	ds_read_b32 v24, v100
.LBB21_397:
	v_cmp_ne_u32_e32 vcc, 8, v0
	s_and_saveexec_b64 s[12:13], vcc
	s_cbranch_execz .LBB21_413
; %bb.398:
	v_cmp_eq_u32_e32 vcc, 1, v26
	s_waitcnt vmcnt(5)
	v_cndmask_b32_e32 v25, v2, v3, vcc
	v_cmp_eq_u32_e32 vcc, 2, v26
	v_cndmask_b32_e32 v25, v25, v4, vcc
	v_cmp_eq_u32_e32 vcc, 3, v26
	;; [unrolled: 2-line block ×16, first 2 shown]
	s_waitcnt vmcnt(4)
	v_cndmask_b32_e32 v25, v25, v19, vcc
	v_cmp_eq_u32_e32 vcc, 18, v26
	ds_read_b32 v27, v100 offset:4
	s_waitcnt vmcnt(3)
	v_cndmask_b32_e32 v25, v25, v20, vcc
	v_cmp_eq_u32_e32 vcc, 19, v26
	s_waitcnt vmcnt(2)
	v_cndmask_b32_e32 v25, v25, v21, vcc
	v_cmp_eq_u32_e32 vcc, 20, v26
	s_waitcnt vmcnt(1)
	v_cndmask_b32_e32 v25, v25, v22, vcc
	v_cmp_eq_u32_e32 vcc, 21, v26
	s_waitcnt vmcnt(0)
	v_cndmask_b32_e32 v25, v25, v23, vcc
	s_waitcnt lgkmcnt(0)
	v_fmac_f32_e32 v24, v25, v27
	s_and_saveexec_b64 s[14:15], s[8:9]
	s_cbranch_execz .LBB21_412
; %bb.399:
	v_add_u32_e32 v25, 2, v0
	v_cmp_eq_u32_e32 vcc, 1, v25
	v_cndmask_b32_e32 v26, v2, v3, vcc
	v_cmp_eq_u32_e32 vcc, 2, v25
	v_cndmask_b32_e32 v26, v26, v4, vcc
	;; [unrolled: 2-line block ×17, first 2 shown]
	v_cmp_eq_u32_e32 vcc, 18, v25
	ds_read_b32 v27, v100 offset:8
	v_cndmask_b32_e32 v26, v26, v20, vcc
	v_cmp_eq_u32_e32 vcc, 19, v25
	v_cndmask_b32_e32 v26, v26, v21, vcc
	v_cmp_eq_u32_e32 vcc, 20, v25
	;; [unrolled: 2-line block ×3, first 2 shown]
	v_cndmask_b32_e32 v25, v26, v23, vcc
	s_waitcnt lgkmcnt(0)
	v_fmac_f32_e32 v24, v25, v27
	v_cmp_ne_u32_e32 vcc, 6, v0
	s_and_saveexec_b64 s[8:9], vcc
	s_cbranch_execz .LBB21_411
; %bb.400:
	v_add_u32_e32 v25, 3, v0
	v_cmp_eq_u32_e32 vcc, 1, v25
	v_cndmask_b32_e32 v26, v2, v3, vcc
	v_cmp_eq_u32_e32 vcc, 2, v25
	v_cndmask_b32_e32 v26, v26, v4, vcc
	;; [unrolled: 2-line block ×17, first 2 shown]
	v_cmp_eq_u32_e32 vcc, 18, v25
	ds_read_b32 v27, v100 offset:12
	v_cndmask_b32_e32 v26, v26, v20, vcc
	v_cmp_eq_u32_e32 vcc, 19, v25
	v_cndmask_b32_e32 v26, v26, v21, vcc
	v_cmp_eq_u32_e32 vcc, 20, v25
	;; [unrolled: 2-line block ×3, first 2 shown]
	v_cndmask_b32_e32 v25, v26, v23, vcc
	s_waitcnt lgkmcnt(0)
	v_fmac_f32_e32 v24, v25, v27
	s_and_saveexec_b64 s[16:17], s[6:7]
	s_cbranch_execz .LBB21_410
; %bb.401:
	v_add_u32_e32 v25, 4, v0
	v_cmp_eq_u32_e32 vcc, 1, v25
	v_cndmask_b32_e32 v26, v2, v3, vcc
	v_cmp_eq_u32_e32 vcc, 2, v25
	v_cndmask_b32_e32 v26, v26, v4, vcc
	;; [unrolled: 2-line block ×17, first 2 shown]
	v_cmp_eq_u32_e32 vcc, 18, v25
	ds_read_b32 v27, v100 offset:16
	v_cndmask_b32_e32 v26, v26, v20, vcc
	v_cmp_eq_u32_e32 vcc, 19, v25
	v_cndmask_b32_e32 v26, v26, v21, vcc
	v_cmp_eq_u32_e32 vcc, 20, v25
	;; [unrolled: 2-line block ×3, first 2 shown]
	v_cndmask_b32_e32 v25, v26, v23, vcc
	s_waitcnt lgkmcnt(0)
	v_fmac_f32_e32 v24, v25, v27
	v_cmp_ne_u32_e32 vcc, 4, v0
	s_and_saveexec_b64 s[6:7], vcc
	s_cbranch_execz .LBB21_409
; %bb.402:
	v_add_u32_e32 v25, 5, v0
	v_cmp_eq_u32_e32 vcc, 1, v25
	v_cndmask_b32_e32 v26, v2, v3, vcc
	v_cmp_eq_u32_e32 vcc, 2, v25
	v_cndmask_b32_e32 v26, v26, v4, vcc
	;; [unrolled: 2-line block ×17, first 2 shown]
	v_cmp_eq_u32_e32 vcc, 18, v25
	ds_read_b32 v27, v100 offset:20
	v_cndmask_b32_e32 v26, v26, v20, vcc
	v_cmp_eq_u32_e32 vcc, 19, v25
	v_cndmask_b32_e32 v26, v26, v21, vcc
	v_cmp_eq_u32_e32 vcc, 20, v25
	;; [unrolled: 2-line block ×3, first 2 shown]
	v_cndmask_b32_e32 v25, v26, v23, vcc
	s_waitcnt lgkmcnt(0)
	v_fmac_f32_e32 v24, v25, v27
	s_and_saveexec_b64 s[18:19], s[4:5]
	s_cbranch_execz .LBB21_408
; %bb.403:
	v_add_u32_e32 v25, 6, v0
	v_cmp_eq_u32_e32 vcc, 1, v25
	v_cndmask_b32_e32 v26, v2, v3, vcc
	v_cmp_eq_u32_e32 vcc, 2, v25
	v_cndmask_b32_e32 v26, v26, v4, vcc
	;; [unrolled: 2-line block ×17, first 2 shown]
	v_cmp_eq_u32_e32 vcc, 18, v25
	ds_read_b32 v27, v100 offset:24
	v_cndmask_b32_e32 v26, v26, v20, vcc
	v_cmp_eq_u32_e32 vcc, 19, v25
	v_cndmask_b32_e32 v26, v26, v21, vcc
	v_cmp_eq_u32_e32 vcc, 20, v25
	;; [unrolled: 2-line block ×3, first 2 shown]
	v_cndmask_b32_e32 v25, v26, v23, vcc
	s_waitcnt lgkmcnt(0)
	v_fmac_f32_e32 v24, v25, v27
	v_cmp_ne_u32_e32 vcc, 2, v0
	s_and_saveexec_b64 s[4:5], vcc
	s_cbranch_execz .LBB21_407
; %bb.404:
	v_add_u32_e32 v25, 7, v0
	v_cmp_eq_u32_e32 vcc, 1, v25
	v_cndmask_b32_e32 v26, v2, v3, vcc
	v_cmp_eq_u32_e32 vcc, 2, v25
	v_cndmask_b32_e32 v26, v26, v4, vcc
	;; [unrolled: 2-line block ×17, first 2 shown]
	v_cmp_eq_u32_e32 vcc, 18, v25
	ds_read_b32 v26, v100 offset:28
	v_cndmask_b32_e32 v11, v11, v20, vcc
	v_cmp_eq_u32_e32 vcc, 19, v25
	v_cndmask_b32_e32 v11, v11, v21, vcc
	v_cmp_eq_u32_e32 vcc, 20, v25
	;; [unrolled: 2-line block ×3, first 2 shown]
	v_cndmask_b32_e32 v11, v11, v23, vcc
	s_waitcnt lgkmcnt(0)
	v_fmac_f32_e32 v24, v11, v26
	s_and_saveexec_b64 s[20:21], s[2:3]
	s_cbranch_execz .LBB21_406
; %bb.405:
	ds_read_b32 v11, v100 offset:32
	s_waitcnt lgkmcnt(0)
	v_fmac_f32_e32 v24, v10, v11
.LBB21_406:
	s_or_b64 exec, exec, s[20:21]
.LBB21_407:
	s_or_b64 exec, exec, s[4:5]
.LBB21_408:
	s_or_b64 exec, exec, s[18:19]
.LBB21_409:
	s_or_b64 exec, exec, s[6:7]
.LBB21_410:
	s_or_b64 exec, exec, s[16:17]
.LBB21_411:
	s_or_b64 exec, exec, s[8:9]
.LBB21_412:
	s_or_b64 exec, exec, s[14:15]
.LBB21_413:
	s_or_b64 exec, exec, s[12:13]
	v_mov_b32_e32 v11, 0
	ds_read_b32 v11, v11 offset:36
	s_waitcnt lgkmcnt(0)
	v_mul_f32_e32 v11, v24, v11
.LBB21_414:
	s_or_b64 exec, exec, s[10:11]
	v_cmp_gt_u32_e32 vcc, 10, v0
	s_waitcnt vmcnt(12)
	ds_write_b32 v100, v12
	s_waitcnt lgkmcnt(0)
	; wave barrier
	s_and_saveexec_b64 s[4:5], vcc
	s_cbranch_execz .LBB21_424
; %bb.415:
	s_and_b64 vcc, exec, s[0:1]
	s_cbranch_vccnz .LBB21_417
; %bb.416:
	v_cmp_eq_u32_e32 vcc, 1, v0
	s_waitcnt vmcnt(5)
	v_cndmask_b32_e32 v24, v2, v3, vcc
	v_cmp_eq_u32_e32 vcc, 2, v0
	v_cndmask_b32_e32 v24, v24, v4, vcc
	v_cmp_eq_u32_e32 vcc, 3, v0
	v_cndmask_b32_e32 v24, v24, v5, vcc
	v_cmp_eq_u32_e32 vcc, 4, v0
	v_cndmask_b32_e32 v24, v24, v6, vcc
	v_cmp_eq_u32_e32 vcc, 5, v0
	v_cndmask_b32_e32 v24, v24, v7, vcc
	v_cmp_eq_u32_e32 vcc, 6, v0
	v_cndmask_b32_e32 v24, v24, v8, vcc
	v_cmp_eq_u32_e32 vcc, 7, v0
	v_cndmask_b32_e32 v24, v24, v9, vcc
	v_cmp_eq_u32_e32 vcc, 8, v0
	v_cndmask_b32_e32 v24, v24, v10, vcc
	v_cmp_eq_u32_e32 vcc, 9, v0
	v_cndmask_b32_e32 v24, v24, v11, vcc
	v_cmp_eq_u32_e32 vcc, 10, v0
	v_cndmask_b32_e32 v24, v24, v12, vcc
	v_cmp_eq_u32_e32 vcc, 11, v0
	v_cndmask_b32_e32 v24, v24, v13, vcc
	v_cmp_eq_u32_e32 vcc, 12, v0
	v_cndmask_b32_e32 v24, v24, v14, vcc
	v_cmp_eq_u32_e32 vcc, 13, v0
	v_cndmask_b32_e32 v24, v24, v15, vcc
	v_cmp_eq_u32_e32 vcc, 14, v0
	v_cndmask_b32_e32 v24, v24, v16, vcc
	v_cmp_eq_u32_e32 vcc, 15, v0
	v_cndmask_b32_e32 v24, v24, v17, vcc
	v_cmp_eq_u32_e32 vcc, 16, v0
	v_cndmask_b32_e32 v24, v24, v18, vcc
	v_cmp_eq_u32_e32 vcc, 17, v0
	s_waitcnt vmcnt(4)
	v_cndmask_b32_e32 v24, v24, v19, vcc
	v_cmp_eq_u32_e32 vcc, 18, v0
	ds_read_b32 v25, v100
	s_waitcnt vmcnt(3)
	v_cndmask_b32_e32 v24, v24, v20, vcc
	v_cmp_eq_u32_e32 vcc, 19, v0
	s_waitcnt vmcnt(2)
	v_cndmask_b32_e32 v24, v24, v21, vcc
	v_cmp_eq_u32_e32 vcc, 20, v0
	;; [unrolled: 3-line block ×3, first 2 shown]
	s_waitcnt vmcnt(0)
	v_cndmask_b32_e32 v24, v24, v23, vcc
	s_waitcnt lgkmcnt(0)
	v_mul_f32_e32 v26, v24, v25
	s_cbranch_execz .LBB21_418
	s_branch .LBB21_419
.LBB21_417:
                                        ; implicit-def: $vgpr26
.LBB21_418:
	ds_read_b32 v26, v100
.LBB21_419:
	v_cmp_ne_u32_e32 vcc, 9, v0
	s_and_saveexec_b64 s[6:7], vcc
	s_cbranch_execz .LBB21_423
; %bb.420:
	v_mov_b32_e32 v24, 0x64
	v_lshl_add_u32 v27, v0, 2, v24
	v_mov_b32_e32 v25, v1
	s_mov_b64 s[8:9], 0
	v_mov_b32_e32 v24, v0
.LBB21_421:                             ; =>This Inner Loop Header: Depth=1
	v_add_co_u32_e32 v24, vcc, 1, v24
	v_addc_co_u32_e32 v25, vcc, 0, v25, vcc
	v_cmp_eq_u32_e32 vcc, 1, v24
	s_waitcnt vmcnt(5)
	v_cndmask_b32_e32 v29, v2, v3, vcc
	v_cmp_lt_u32_e32 vcc, 8, v24
	v_cmp_eq_u32_e64 s[2:3], 2, v24
	v_cndmask_b32_e64 v29, v29, v4, s[2:3]
	s_or_b64 s[8:9], vcc, s[8:9]
	v_cmp_eq_u32_e32 vcc, 3, v24
	v_cndmask_b32_e32 v29, v29, v5, vcc
	v_cmp_eq_u32_e32 vcc, 4, v24
	v_cndmask_b32_e32 v29, v29, v6, vcc
	;; [unrolled: 2-line block ×14, first 2 shown]
	v_cmp_eq_u32_e32 vcc, 17, v24
	ds_read_b32 v28, v27
	s_waitcnt vmcnt(4)
	v_cndmask_b32_e32 v29, v29, v19, vcc
	v_cmp_eq_u32_e32 vcc, 18, v24
	s_waitcnt vmcnt(3)
	v_cndmask_b32_e32 v29, v29, v20, vcc
	v_cmp_eq_u32_e32 vcc, 19, v24
	;; [unrolled: 3-line block ×4, first 2 shown]
	s_waitcnt vmcnt(0)
	v_cndmask_b32_e32 v29, v29, v23, vcc
	v_add_u32_e32 v27, 4, v27
	s_waitcnt lgkmcnt(0)
	v_fmac_f32_e32 v26, v29, v28
	s_andn2_b64 exec, exec, s[8:9]
	s_cbranch_execnz .LBB21_421
; %bb.422:
	s_or_b64 exec, exec, s[8:9]
.LBB21_423:
	s_or_b64 exec, exec, s[6:7]
	v_mov_b32_e32 v12, 0
	ds_read_b32 v12, v12 offset:40
	s_waitcnt lgkmcnt(0)
	v_mul_f32_e32 v12, v26, v12
.LBB21_424:
	s_or_b64 exec, exec, s[4:5]
	v_cmp_gt_u32_e32 vcc, 11, v0
	s_waitcnt vmcnt(11)
	ds_write_b32 v100, v13
	s_waitcnt lgkmcnt(0)
	; wave barrier
	s_and_saveexec_b64 s[4:5], vcc
	s_cbranch_execz .LBB21_434
; %bb.425:
	s_and_b64 vcc, exec, s[0:1]
	s_cbranch_vccnz .LBB21_427
; %bb.426:
	v_cmp_eq_u32_e32 vcc, 1, v0
	s_waitcnt vmcnt(5)
	v_cndmask_b32_e32 v24, v2, v3, vcc
	v_cmp_eq_u32_e32 vcc, 2, v0
	v_cndmask_b32_e32 v24, v24, v4, vcc
	v_cmp_eq_u32_e32 vcc, 3, v0
	;; [unrolled: 2-line block ×16, first 2 shown]
	s_waitcnt vmcnt(4)
	v_cndmask_b32_e32 v24, v24, v19, vcc
	v_cmp_eq_u32_e32 vcc, 18, v0
	ds_read_b32 v25, v100
	s_waitcnt vmcnt(3)
	v_cndmask_b32_e32 v24, v24, v20, vcc
	v_cmp_eq_u32_e32 vcc, 19, v0
	s_waitcnt vmcnt(2)
	v_cndmask_b32_e32 v24, v24, v21, vcc
	v_cmp_eq_u32_e32 vcc, 20, v0
	;; [unrolled: 3-line block ×3, first 2 shown]
	s_waitcnt vmcnt(0)
	v_cndmask_b32_e32 v24, v24, v23, vcc
	s_waitcnt lgkmcnt(0)
	v_mul_f32_e32 v26, v24, v25
	s_cbranch_execz .LBB21_428
	s_branch .LBB21_429
.LBB21_427:
                                        ; implicit-def: $vgpr26
.LBB21_428:
	ds_read_b32 v26, v100
.LBB21_429:
	v_cmp_ne_u32_e32 vcc, 10, v0
	s_and_saveexec_b64 s[6:7], vcc
	s_cbranch_execz .LBB21_433
; %bb.430:
	v_mov_b32_e32 v24, 0x64
	v_lshl_add_u32 v27, v0, 2, v24
	v_mov_b32_e32 v25, v1
	s_mov_b64 s[8:9], 0
	v_mov_b32_e32 v24, v0
.LBB21_431:                             ; =>This Inner Loop Header: Depth=1
	v_add_co_u32_e32 v24, vcc, 1, v24
	v_addc_co_u32_e32 v25, vcc, 0, v25, vcc
	v_cmp_eq_u32_e32 vcc, 1, v24
	s_waitcnt vmcnt(5)
	v_cndmask_b32_e32 v29, v2, v3, vcc
	v_cmp_lt_u32_e32 vcc, 9, v24
	v_cmp_eq_u32_e64 s[2:3], 2, v24
	v_cndmask_b32_e64 v29, v29, v4, s[2:3]
	s_or_b64 s[8:9], vcc, s[8:9]
	v_cmp_eq_u32_e32 vcc, 3, v24
	v_cndmask_b32_e32 v29, v29, v5, vcc
	v_cmp_eq_u32_e32 vcc, 4, v24
	v_cndmask_b32_e32 v29, v29, v6, vcc
	;; [unrolled: 2-line block ×14, first 2 shown]
	v_cmp_eq_u32_e32 vcc, 17, v24
	ds_read_b32 v28, v27
	s_waitcnt vmcnt(4)
	v_cndmask_b32_e32 v29, v29, v19, vcc
	v_cmp_eq_u32_e32 vcc, 18, v24
	s_waitcnt vmcnt(3)
	v_cndmask_b32_e32 v29, v29, v20, vcc
	v_cmp_eq_u32_e32 vcc, 19, v24
	;; [unrolled: 3-line block ×4, first 2 shown]
	s_waitcnt vmcnt(0)
	v_cndmask_b32_e32 v29, v29, v23, vcc
	v_add_u32_e32 v27, 4, v27
	s_waitcnt lgkmcnt(0)
	v_fmac_f32_e32 v26, v29, v28
	s_andn2_b64 exec, exec, s[8:9]
	s_cbranch_execnz .LBB21_431
; %bb.432:
	s_or_b64 exec, exec, s[8:9]
.LBB21_433:
	s_or_b64 exec, exec, s[6:7]
	v_mov_b32_e32 v13, 0
	ds_read_b32 v13, v13 offset:44
	s_waitcnt lgkmcnt(0)
	v_mul_f32_e32 v13, v26, v13
.LBB21_434:
	s_or_b64 exec, exec, s[4:5]
	v_cmp_gt_u32_e32 vcc, 12, v0
	s_waitcnt vmcnt(10)
	ds_write_b32 v100, v14
	s_waitcnt lgkmcnt(0)
	; wave barrier
	s_and_saveexec_b64 s[4:5], vcc
	s_cbranch_execz .LBB21_444
; %bb.435:
	s_and_b64 vcc, exec, s[0:1]
	s_cbranch_vccnz .LBB21_437
; %bb.436:
	v_cmp_eq_u32_e32 vcc, 1, v0
	s_waitcnt vmcnt(5)
	v_cndmask_b32_e32 v24, v2, v3, vcc
	v_cmp_eq_u32_e32 vcc, 2, v0
	v_cndmask_b32_e32 v24, v24, v4, vcc
	v_cmp_eq_u32_e32 vcc, 3, v0
	;; [unrolled: 2-line block ×16, first 2 shown]
	s_waitcnt vmcnt(4)
	v_cndmask_b32_e32 v24, v24, v19, vcc
	v_cmp_eq_u32_e32 vcc, 18, v0
	ds_read_b32 v25, v100
	s_waitcnt vmcnt(3)
	v_cndmask_b32_e32 v24, v24, v20, vcc
	v_cmp_eq_u32_e32 vcc, 19, v0
	s_waitcnt vmcnt(2)
	v_cndmask_b32_e32 v24, v24, v21, vcc
	v_cmp_eq_u32_e32 vcc, 20, v0
	;; [unrolled: 3-line block ×3, first 2 shown]
	s_waitcnt vmcnt(0)
	v_cndmask_b32_e32 v24, v24, v23, vcc
	s_waitcnt lgkmcnt(0)
	v_mul_f32_e32 v26, v24, v25
	s_cbranch_execz .LBB21_438
	s_branch .LBB21_439
.LBB21_437:
                                        ; implicit-def: $vgpr26
.LBB21_438:
	ds_read_b32 v26, v100
.LBB21_439:
	v_cmp_ne_u32_e32 vcc, 11, v0
	s_and_saveexec_b64 s[6:7], vcc
	s_cbranch_execz .LBB21_443
; %bb.440:
	v_mov_b32_e32 v24, 0x64
	v_lshl_add_u32 v27, v0, 2, v24
	v_mov_b32_e32 v25, v1
	s_mov_b64 s[8:9], 0
	v_mov_b32_e32 v24, v0
.LBB21_441:                             ; =>This Inner Loop Header: Depth=1
	v_add_co_u32_e32 v24, vcc, 1, v24
	v_addc_co_u32_e32 v25, vcc, 0, v25, vcc
	v_cmp_eq_u32_e32 vcc, 1, v24
	s_waitcnt vmcnt(5)
	v_cndmask_b32_e32 v29, v2, v3, vcc
	v_cmp_lt_u32_e32 vcc, 10, v24
	v_cmp_eq_u32_e64 s[2:3], 2, v24
	v_cndmask_b32_e64 v29, v29, v4, s[2:3]
	s_or_b64 s[8:9], vcc, s[8:9]
	v_cmp_eq_u32_e32 vcc, 3, v24
	v_cndmask_b32_e32 v29, v29, v5, vcc
	v_cmp_eq_u32_e32 vcc, 4, v24
	v_cndmask_b32_e32 v29, v29, v6, vcc
	;; [unrolled: 2-line block ×14, first 2 shown]
	v_cmp_eq_u32_e32 vcc, 17, v24
	ds_read_b32 v28, v27
	s_waitcnt vmcnt(4)
	v_cndmask_b32_e32 v29, v29, v19, vcc
	v_cmp_eq_u32_e32 vcc, 18, v24
	s_waitcnt vmcnt(3)
	v_cndmask_b32_e32 v29, v29, v20, vcc
	v_cmp_eq_u32_e32 vcc, 19, v24
	;; [unrolled: 3-line block ×4, first 2 shown]
	s_waitcnt vmcnt(0)
	v_cndmask_b32_e32 v29, v29, v23, vcc
	v_add_u32_e32 v27, 4, v27
	s_waitcnt lgkmcnt(0)
	v_fmac_f32_e32 v26, v29, v28
	s_andn2_b64 exec, exec, s[8:9]
	s_cbranch_execnz .LBB21_441
; %bb.442:
	s_or_b64 exec, exec, s[8:9]
.LBB21_443:
	s_or_b64 exec, exec, s[6:7]
	v_mov_b32_e32 v14, 0
	ds_read_b32 v14, v14 offset:48
	s_waitcnt lgkmcnt(0)
	v_mul_f32_e32 v14, v26, v14
.LBB21_444:
	s_or_b64 exec, exec, s[4:5]
	v_cmp_gt_u32_e32 vcc, 13, v0
	s_waitcnt vmcnt(9)
	ds_write_b32 v100, v15
	s_waitcnt lgkmcnt(0)
	; wave barrier
	s_and_saveexec_b64 s[4:5], vcc
	s_cbranch_execz .LBB21_454
; %bb.445:
	s_and_b64 vcc, exec, s[0:1]
	s_cbranch_vccnz .LBB21_447
; %bb.446:
	v_cmp_eq_u32_e32 vcc, 1, v0
	s_waitcnt vmcnt(5)
	v_cndmask_b32_e32 v24, v2, v3, vcc
	v_cmp_eq_u32_e32 vcc, 2, v0
	v_cndmask_b32_e32 v24, v24, v4, vcc
	v_cmp_eq_u32_e32 vcc, 3, v0
	;; [unrolled: 2-line block ×16, first 2 shown]
	s_waitcnt vmcnt(4)
	v_cndmask_b32_e32 v24, v24, v19, vcc
	v_cmp_eq_u32_e32 vcc, 18, v0
	ds_read_b32 v25, v100
	s_waitcnt vmcnt(3)
	v_cndmask_b32_e32 v24, v24, v20, vcc
	v_cmp_eq_u32_e32 vcc, 19, v0
	s_waitcnt vmcnt(2)
	v_cndmask_b32_e32 v24, v24, v21, vcc
	v_cmp_eq_u32_e32 vcc, 20, v0
	;; [unrolled: 3-line block ×3, first 2 shown]
	s_waitcnt vmcnt(0)
	v_cndmask_b32_e32 v24, v24, v23, vcc
	s_waitcnt lgkmcnt(0)
	v_mul_f32_e32 v26, v24, v25
	s_cbranch_execz .LBB21_448
	s_branch .LBB21_449
.LBB21_447:
                                        ; implicit-def: $vgpr26
.LBB21_448:
	ds_read_b32 v26, v100
.LBB21_449:
	v_cmp_ne_u32_e32 vcc, 12, v0
	s_and_saveexec_b64 s[6:7], vcc
	s_cbranch_execz .LBB21_453
; %bb.450:
	v_mov_b32_e32 v24, 0x64
	v_lshl_add_u32 v27, v0, 2, v24
	v_mov_b32_e32 v25, v1
	s_mov_b64 s[8:9], 0
	v_mov_b32_e32 v24, v0
.LBB21_451:                             ; =>This Inner Loop Header: Depth=1
	v_add_co_u32_e32 v24, vcc, 1, v24
	v_addc_co_u32_e32 v25, vcc, 0, v25, vcc
	v_cmp_eq_u32_e32 vcc, 1, v24
	s_waitcnt vmcnt(5)
	v_cndmask_b32_e32 v29, v2, v3, vcc
	v_cmp_lt_u32_e32 vcc, 11, v24
	v_cmp_eq_u32_e64 s[2:3], 2, v24
	v_cndmask_b32_e64 v29, v29, v4, s[2:3]
	s_or_b64 s[8:9], vcc, s[8:9]
	v_cmp_eq_u32_e32 vcc, 3, v24
	v_cndmask_b32_e32 v29, v29, v5, vcc
	v_cmp_eq_u32_e32 vcc, 4, v24
	v_cndmask_b32_e32 v29, v29, v6, vcc
	;; [unrolled: 2-line block ×14, first 2 shown]
	v_cmp_eq_u32_e32 vcc, 17, v24
	ds_read_b32 v28, v27
	s_waitcnt vmcnt(4)
	v_cndmask_b32_e32 v29, v29, v19, vcc
	v_cmp_eq_u32_e32 vcc, 18, v24
	s_waitcnt vmcnt(3)
	v_cndmask_b32_e32 v29, v29, v20, vcc
	v_cmp_eq_u32_e32 vcc, 19, v24
	;; [unrolled: 3-line block ×4, first 2 shown]
	s_waitcnt vmcnt(0)
	v_cndmask_b32_e32 v29, v29, v23, vcc
	v_add_u32_e32 v27, 4, v27
	s_waitcnt lgkmcnt(0)
	v_fmac_f32_e32 v26, v29, v28
	s_andn2_b64 exec, exec, s[8:9]
	s_cbranch_execnz .LBB21_451
; %bb.452:
	s_or_b64 exec, exec, s[8:9]
.LBB21_453:
	s_or_b64 exec, exec, s[6:7]
	v_mov_b32_e32 v15, 0
	ds_read_b32 v15, v15 offset:52
	s_waitcnt lgkmcnt(0)
	v_mul_f32_e32 v15, v26, v15
.LBB21_454:
	s_or_b64 exec, exec, s[4:5]
	v_cmp_gt_u32_e32 vcc, 14, v0
	s_waitcnt vmcnt(8)
	ds_write_b32 v100, v16
	s_waitcnt lgkmcnt(0)
	; wave barrier
	s_and_saveexec_b64 s[4:5], vcc
	s_cbranch_execz .LBB21_464
; %bb.455:
	s_and_b64 vcc, exec, s[0:1]
	s_cbranch_vccnz .LBB21_457
; %bb.456:
	v_cmp_eq_u32_e32 vcc, 1, v0
	s_waitcnt vmcnt(5)
	v_cndmask_b32_e32 v24, v2, v3, vcc
	v_cmp_eq_u32_e32 vcc, 2, v0
	v_cndmask_b32_e32 v24, v24, v4, vcc
	v_cmp_eq_u32_e32 vcc, 3, v0
	v_cndmask_b32_e32 v24, v24, v5, vcc
	v_cmp_eq_u32_e32 vcc, 4, v0
	v_cndmask_b32_e32 v24, v24, v6, vcc
	v_cmp_eq_u32_e32 vcc, 5, v0
	v_cndmask_b32_e32 v24, v24, v7, vcc
	v_cmp_eq_u32_e32 vcc, 6, v0
	v_cndmask_b32_e32 v24, v24, v8, vcc
	v_cmp_eq_u32_e32 vcc, 7, v0
	v_cndmask_b32_e32 v24, v24, v9, vcc
	v_cmp_eq_u32_e32 vcc, 8, v0
	v_cndmask_b32_e32 v24, v24, v10, vcc
	v_cmp_eq_u32_e32 vcc, 9, v0
	v_cndmask_b32_e32 v24, v24, v11, vcc
	v_cmp_eq_u32_e32 vcc, 10, v0
	v_cndmask_b32_e32 v24, v24, v12, vcc
	v_cmp_eq_u32_e32 vcc, 11, v0
	v_cndmask_b32_e32 v24, v24, v13, vcc
	v_cmp_eq_u32_e32 vcc, 12, v0
	v_cndmask_b32_e32 v24, v24, v14, vcc
	v_cmp_eq_u32_e32 vcc, 13, v0
	v_cndmask_b32_e32 v24, v24, v15, vcc
	v_cmp_eq_u32_e32 vcc, 14, v0
	v_cndmask_b32_e32 v24, v24, v16, vcc
	v_cmp_eq_u32_e32 vcc, 15, v0
	v_cndmask_b32_e32 v24, v24, v17, vcc
	v_cmp_eq_u32_e32 vcc, 16, v0
	v_cndmask_b32_e32 v24, v24, v18, vcc
	v_cmp_eq_u32_e32 vcc, 17, v0
	s_waitcnt vmcnt(4)
	v_cndmask_b32_e32 v24, v24, v19, vcc
	v_cmp_eq_u32_e32 vcc, 18, v0
	ds_read_b32 v25, v100
	s_waitcnt vmcnt(3)
	v_cndmask_b32_e32 v24, v24, v20, vcc
	v_cmp_eq_u32_e32 vcc, 19, v0
	s_waitcnt vmcnt(2)
	v_cndmask_b32_e32 v24, v24, v21, vcc
	v_cmp_eq_u32_e32 vcc, 20, v0
	;; [unrolled: 3-line block ×3, first 2 shown]
	s_waitcnt vmcnt(0)
	v_cndmask_b32_e32 v24, v24, v23, vcc
	s_waitcnt lgkmcnt(0)
	v_mul_f32_e32 v26, v24, v25
	s_cbranch_execz .LBB21_458
	s_branch .LBB21_459
.LBB21_457:
                                        ; implicit-def: $vgpr26
.LBB21_458:
	ds_read_b32 v26, v100
.LBB21_459:
	v_cmp_ne_u32_e32 vcc, 13, v0
	s_and_saveexec_b64 s[6:7], vcc
	s_cbranch_execz .LBB21_463
; %bb.460:
	v_mov_b32_e32 v24, 0x64
	v_lshl_add_u32 v27, v0, 2, v24
	v_mov_b32_e32 v25, v1
	s_mov_b64 s[8:9], 0
	v_mov_b32_e32 v24, v0
.LBB21_461:                             ; =>This Inner Loop Header: Depth=1
	v_add_co_u32_e32 v24, vcc, 1, v24
	v_addc_co_u32_e32 v25, vcc, 0, v25, vcc
	v_cmp_eq_u32_e32 vcc, 1, v24
	s_waitcnt vmcnt(5)
	v_cndmask_b32_e32 v29, v2, v3, vcc
	v_cmp_lt_u32_e32 vcc, 12, v24
	v_cmp_eq_u32_e64 s[2:3], 2, v24
	v_cndmask_b32_e64 v29, v29, v4, s[2:3]
	s_or_b64 s[8:9], vcc, s[8:9]
	v_cmp_eq_u32_e32 vcc, 3, v24
	v_cndmask_b32_e32 v29, v29, v5, vcc
	v_cmp_eq_u32_e32 vcc, 4, v24
	v_cndmask_b32_e32 v29, v29, v6, vcc
	;; [unrolled: 2-line block ×14, first 2 shown]
	v_cmp_eq_u32_e32 vcc, 17, v24
	ds_read_b32 v28, v27
	s_waitcnt vmcnt(4)
	v_cndmask_b32_e32 v29, v29, v19, vcc
	v_cmp_eq_u32_e32 vcc, 18, v24
	s_waitcnt vmcnt(3)
	v_cndmask_b32_e32 v29, v29, v20, vcc
	v_cmp_eq_u32_e32 vcc, 19, v24
	;; [unrolled: 3-line block ×4, first 2 shown]
	s_waitcnt vmcnt(0)
	v_cndmask_b32_e32 v29, v29, v23, vcc
	v_add_u32_e32 v27, 4, v27
	s_waitcnt lgkmcnt(0)
	v_fmac_f32_e32 v26, v29, v28
	s_andn2_b64 exec, exec, s[8:9]
	s_cbranch_execnz .LBB21_461
; %bb.462:
	s_or_b64 exec, exec, s[8:9]
.LBB21_463:
	s_or_b64 exec, exec, s[6:7]
	v_mov_b32_e32 v16, 0
	ds_read_b32 v16, v16 offset:56
	s_waitcnt lgkmcnt(0)
	v_mul_f32_e32 v16, v26, v16
.LBB21_464:
	s_or_b64 exec, exec, s[4:5]
	v_cmp_gt_u32_e32 vcc, 15, v0
	s_waitcnt vmcnt(7)
	ds_write_b32 v100, v17
	s_waitcnt lgkmcnt(0)
	; wave barrier
	s_and_saveexec_b64 s[4:5], vcc
	s_cbranch_execz .LBB21_474
; %bb.465:
	s_and_b64 vcc, exec, s[0:1]
	s_cbranch_vccnz .LBB21_467
; %bb.466:
	v_cmp_eq_u32_e32 vcc, 1, v0
	s_waitcnt vmcnt(5)
	v_cndmask_b32_e32 v24, v2, v3, vcc
	v_cmp_eq_u32_e32 vcc, 2, v0
	v_cndmask_b32_e32 v24, v24, v4, vcc
	v_cmp_eq_u32_e32 vcc, 3, v0
	;; [unrolled: 2-line block ×16, first 2 shown]
	s_waitcnt vmcnt(4)
	v_cndmask_b32_e32 v24, v24, v19, vcc
	v_cmp_eq_u32_e32 vcc, 18, v0
	ds_read_b32 v25, v100
	s_waitcnt vmcnt(3)
	v_cndmask_b32_e32 v24, v24, v20, vcc
	v_cmp_eq_u32_e32 vcc, 19, v0
	s_waitcnt vmcnt(2)
	v_cndmask_b32_e32 v24, v24, v21, vcc
	v_cmp_eq_u32_e32 vcc, 20, v0
	;; [unrolled: 3-line block ×3, first 2 shown]
	s_waitcnt vmcnt(0)
	v_cndmask_b32_e32 v24, v24, v23, vcc
	s_waitcnt lgkmcnt(0)
	v_mul_f32_e32 v26, v24, v25
	s_cbranch_execz .LBB21_468
	s_branch .LBB21_469
.LBB21_467:
                                        ; implicit-def: $vgpr26
.LBB21_468:
	ds_read_b32 v26, v100
.LBB21_469:
	v_cmp_ne_u32_e32 vcc, 14, v0
	s_and_saveexec_b64 s[6:7], vcc
	s_cbranch_execz .LBB21_473
; %bb.470:
	v_mov_b32_e32 v24, 0x64
	v_lshl_add_u32 v27, v0, 2, v24
	v_mov_b32_e32 v25, v1
	s_mov_b64 s[8:9], 0
	v_mov_b32_e32 v24, v0
.LBB21_471:                             ; =>This Inner Loop Header: Depth=1
	v_add_co_u32_e32 v24, vcc, 1, v24
	v_addc_co_u32_e32 v25, vcc, 0, v25, vcc
	v_cmp_eq_u32_e32 vcc, 1, v24
	s_waitcnt vmcnt(5)
	v_cndmask_b32_e32 v29, v2, v3, vcc
	v_cmp_lt_u32_e32 vcc, 13, v24
	v_cmp_eq_u32_e64 s[2:3], 2, v24
	v_cndmask_b32_e64 v29, v29, v4, s[2:3]
	s_or_b64 s[8:9], vcc, s[8:9]
	v_cmp_eq_u32_e32 vcc, 3, v24
	v_cndmask_b32_e32 v29, v29, v5, vcc
	v_cmp_eq_u32_e32 vcc, 4, v24
	v_cndmask_b32_e32 v29, v29, v6, vcc
	;; [unrolled: 2-line block ×14, first 2 shown]
	v_cmp_eq_u32_e32 vcc, 17, v24
	ds_read_b32 v28, v27
	s_waitcnt vmcnt(4)
	v_cndmask_b32_e32 v29, v29, v19, vcc
	v_cmp_eq_u32_e32 vcc, 18, v24
	s_waitcnt vmcnt(3)
	v_cndmask_b32_e32 v29, v29, v20, vcc
	v_cmp_eq_u32_e32 vcc, 19, v24
	;; [unrolled: 3-line block ×4, first 2 shown]
	s_waitcnt vmcnt(0)
	v_cndmask_b32_e32 v29, v29, v23, vcc
	v_add_u32_e32 v27, 4, v27
	s_waitcnt lgkmcnt(0)
	v_fmac_f32_e32 v26, v29, v28
	s_andn2_b64 exec, exec, s[8:9]
	s_cbranch_execnz .LBB21_471
; %bb.472:
	s_or_b64 exec, exec, s[8:9]
.LBB21_473:
	s_or_b64 exec, exec, s[6:7]
	v_mov_b32_e32 v17, 0
	ds_read_b32 v17, v17 offset:60
	s_waitcnt lgkmcnt(0)
	v_mul_f32_e32 v17, v26, v17
.LBB21_474:
	s_or_b64 exec, exec, s[4:5]
	v_cmp_gt_u32_e32 vcc, 16, v0
	s_waitcnt vmcnt(6)
	ds_write_b32 v100, v18
	s_waitcnt lgkmcnt(0)
	; wave barrier
	s_and_saveexec_b64 s[4:5], vcc
	s_cbranch_execz .LBB21_484
; %bb.475:
	s_and_b64 vcc, exec, s[0:1]
	s_cbranch_vccnz .LBB21_477
; %bb.476:
	v_cmp_eq_u32_e32 vcc, 1, v0
	s_waitcnt vmcnt(5)
	v_cndmask_b32_e32 v24, v2, v3, vcc
	v_cmp_eq_u32_e32 vcc, 2, v0
	v_cndmask_b32_e32 v24, v24, v4, vcc
	v_cmp_eq_u32_e32 vcc, 3, v0
	;; [unrolled: 2-line block ×16, first 2 shown]
	s_waitcnt vmcnt(4)
	v_cndmask_b32_e32 v24, v24, v19, vcc
	v_cmp_eq_u32_e32 vcc, 18, v0
	ds_read_b32 v25, v100
	s_waitcnt vmcnt(3)
	v_cndmask_b32_e32 v24, v24, v20, vcc
	v_cmp_eq_u32_e32 vcc, 19, v0
	s_waitcnt vmcnt(2)
	v_cndmask_b32_e32 v24, v24, v21, vcc
	v_cmp_eq_u32_e32 vcc, 20, v0
	s_waitcnt vmcnt(1)
	v_cndmask_b32_e32 v24, v24, v22, vcc
	v_cmp_eq_u32_e32 vcc, 21, v0
	s_waitcnt vmcnt(0)
	v_cndmask_b32_e32 v24, v24, v23, vcc
	s_waitcnt lgkmcnt(0)
	v_mul_f32_e32 v26, v24, v25
	s_cbranch_execz .LBB21_478
	s_branch .LBB21_479
.LBB21_477:
                                        ; implicit-def: $vgpr26
.LBB21_478:
	ds_read_b32 v26, v100
.LBB21_479:
	v_cmp_ne_u32_e32 vcc, 15, v0
	s_and_saveexec_b64 s[6:7], vcc
	s_cbranch_execz .LBB21_483
; %bb.480:
	v_mov_b32_e32 v24, 0x64
	v_lshl_add_u32 v27, v0, 2, v24
	v_mov_b32_e32 v25, v1
	s_mov_b64 s[8:9], 0
	v_mov_b32_e32 v24, v0
.LBB21_481:                             ; =>This Inner Loop Header: Depth=1
	v_add_co_u32_e32 v24, vcc, 1, v24
	v_addc_co_u32_e32 v25, vcc, 0, v25, vcc
	v_cmp_eq_u32_e32 vcc, 1, v24
	s_waitcnt vmcnt(5)
	v_cndmask_b32_e32 v29, v2, v3, vcc
	v_cmp_lt_u32_e32 vcc, 14, v24
	v_cmp_eq_u32_e64 s[2:3], 2, v24
	v_cndmask_b32_e64 v29, v29, v4, s[2:3]
	s_or_b64 s[8:9], vcc, s[8:9]
	v_cmp_eq_u32_e32 vcc, 3, v24
	v_cndmask_b32_e32 v29, v29, v5, vcc
	v_cmp_eq_u32_e32 vcc, 4, v24
	v_cndmask_b32_e32 v29, v29, v6, vcc
	;; [unrolled: 2-line block ×14, first 2 shown]
	v_cmp_eq_u32_e32 vcc, 17, v24
	ds_read_b32 v28, v27
	s_waitcnt vmcnt(4)
	v_cndmask_b32_e32 v29, v29, v19, vcc
	v_cmp_eq_u32_e32 vcc, 18, v24
	s_waitcnt vmcnt(3)
	v_cndmask_b32_e32 v29, v29, v20, vcc
	v_cmp_eq_u32_e32 vcc, 19, v24
	;; [unrolled: 3-line block ×4, first 2 shown]
	s_waitcnt vmcnt(0)
	v_cndmask_b32_e32 v29, v29, v23, vcc
	v_add_u32_e32 v27, 4, v27
	s_waitcnt lgkmcnt(0)
	v_fmac_f32_e32 v26, v29, v28
	s_andn2_b64 exec, exec, s[8:9]
	s_cbranch_execnz .LBB21_481
; %bb.482:
	s_or_b64 exec, exec, s[8:9]
.LBB21_483:
	s_or_b64 exec, exec, s[6:7]
	v_mov_b32_e32 v18, 0
	ds_read_b32 v18, v18 offset:64
	s_waitcnt lgkmcnt(0)
	v_mul_f32_e32 v18, v26, v18
.LBB21_484:
	s_or_b64 exec, exec, s[4:5]
	v_cmp_gt_u32_e32 vcc, 17, v0
	s_waitcnt vmcnt(4)
	ds_write_b32 v100, v19
	s_waitcnt lgkmcnt(0)
	; wave barrier
	s_and_saveexec_b64 s[4:5], vcc
	s_cbranch_execz .LBB21_494
; %bb.485:
	s_and_b64 vcc, exec, s[0:1]
	s_cbranch_vccnz .LBB21_487
; %bb.486:
	v_cmp_eq_u32_e32 vcc, 1, v0
	v_cndmask_b32_e32 v24, v2, v3, vcc
	v_cmp_eq_u32_e32 vcc, 2, v0
	v_cndmask_b32_e32 v24, v24, v4, vcc
	;; [unrolled: 2-line block ×17, first 2 shown]
	v_cmp_eq_u32_e32 vcc, 18, v0
	ds_read_b32 v25, v100
	s_waitcnt vmcnt(3)
	v_cndmask_b32_e32 v24, v24, v20, vcc
	v_cmp_eq_u32_e32 vcc, 19, v0
	s_waitcnt vmcnt(2)
	v_cndmask_b32_e32 v24, v24, v21, vcc
	v_cmp_eq_u32_e32 vcc, 20, v0
	;; [unrolled: 3-line block ×3, first 2 shown]
	s_waitcnt vmcnt(0)
	v_cndmask_b32_e32 v24, v24, v23, vcc
	s_waitcnt lgkmcnt(0)
	v_mul_f32_e32 v26, v24, v25
	s_cbranch_execz .LBB21_488
	s_branch .LBB21_489
.LBB21_487:
                                        ; implicit-def: $vgpr26
.LBB21_488:
	ds_read_b32 v26, v100
.LBB21_489:
	v_cmp_ne_u32_e32 vcc, 16, v0
	s_and_saveexec_b64 s[6:7], vcc
	s_cbranch_execz .LBB21_493
; %bb.490:
	v_mov_b32_e32 v24, 0x64
	v_lshl_add_u32 v27, v0, 2, v24
	v_mov_b32_e32 v25, v1
	s_mov_b64 s[8:9], 0
	v_mov_b32_e32 v24, v0
.LBB21_491:                             ; =>This Inner Loop Header: Depth=1
	v_add_co_u32_e32 v24, vcc, 1, v24
	v_addc_co_u32_e32 v25, vcc, 0, v25, vcc
	v_cmp_eq_u32_e32 vcc, 1, v24
	v_cndmask_b32_e32 v29, v2, v3, vcc
	v_cmp_lt_u32_e32 vcc, 15, v24
	v_cmp_eq_u32_e64 s[2:3], 2, v24
	v_cndmask_b32_e64 v29, v29, v4, s[2:3]
	s_or_b64 s[8:9], vcc, s[8:9]
	v_cmp_eq_u32_e32 vcc, 3, v24
	v_cndmask_b32_e32 v29, v29, v5, vcc
	v_cmp_eq_u32_e32 vcc, 4, v24
	v_cndmask_b32_e32 v29, v29, v6, vcc
	;; [unrolled: 2-line block ×14, first 2 shown]
	v_cmp_eq_u32_e32 vcc, 17, v24
	ds_read_b32 v28, v27
	v_cndmask_b32_e32 v29, v29, v19, vcc
	v_cmp_eq_u32_e32 vcc, 18, v24
	s_waitcnt vmcnt(3)
	v_cndmask_b32_e32 v29, v29, v20, vcc
	v_cmp_eq_u32_e32 vcc, 19, v24
	s_waitcnt vmcnt(2)
	;; [unrolled: 3-line block ×4, first 2 shown]
	v_cndmask_b32_e32 v29, v29, v23, vcc
	v_add_u32_e32 v27, 4, v27
	s_waitcnt lgkmcnt(0)
	v_fmac_f32_e32 v26, v29, v28
	s_andn2_b64 exec, exec, s[8:9]
	s_cbranch_execnz .LBB21_491
; %bb.492:
	s_or_b64 exec, exec, s[8:9]
.LBB21_493:
	s_or_b64 exec, exec, s[6:7]
	v_mov_b32_e32 v19, 0
	ds_read_b32 v19, v19 offset:68
	s_waitcnt lgkmcnt(0)
	v_mul_f32_e32 v19, v26, v19
.LBB21_494:
	s_or_b64 exec, exec, s[4:5]
	v_cmp_gt_u32_e32 vcc, 18, v0
	s_waitcnt vmcnt(3)
	ds_write_b32 v100, v20
	s_waitcnt lgkmcnt(0)
	; wave barrier
	s_and_saveexec_b64 s[4:5], vcc
	s_cbranch_execz .LBB21_504
; %bb.495:
	s_and_b64 vcc, exec, s[0:1]
	s_cbranch_vccnz .LBB21_497
; %bb.496:
	v_cmp_eq_u32_e32 vcc, 1, v0
	v_cndmask_b32_e32 v24, v2, v3, vcc
	v_cmp_eq_u32_e32 vcc, 2, v0
	v_cndmask_b32_e32 v24, v24, v4, vcc
	;; [unrolled: 2-line block ×17, first 2 shown]
	v_cmp_eq_u32_e32 vcc, 18, v0
	ds_read_b32 v25, v100
	v_cndmask_b32_e32 v24, v24, v20, vcc
	v_cmp_eq_u32_e32 vcc, 19, v0
	s_waitcnt vmcnt(2)
	v_cndmask_b32_e32 v24, v24, v21, vcc
	v_cmp_eq_u32_e32 vcc, 20, v0
	s_waitcnt vmcnt(1)
	;; [unrolled: 3-line block ×3, first 2 shown]
	v_cndmask_b32_e32 v24, v24, v23, vcc
	s_waitcnt lgkmcnt(0)
	v_mul_f32_e32 v26, v24, v25
	s_cbranch_execz .LBB21_498
	s_branch .LBB21_499
.LBB21_497:
                                        ; implicit-def: $vgpr26
.LBB21_498:
	ds_read_b32 v26, v100
.LBB21_499:
	v_cmp_ne_u32_e32 vcc, 17, v0
	s_and_saveexec_b64 s[6:7], vcc
	s_cbranch_execz .LBB21_503
; %bb.500:
	v_mov_b32_e32 v24, 0x64
	v_lshl_add_u32 v27, v0, 2, v24
	v_mov_b32_e32 v25, v1
	s_mov_b64 s[8:9], 0
	v_mov_b32_e32 v24, v0
.LBB21_501:                             ; =>This Inner Loop Header: Depth=1
	v_add_co_u32_e32 v24, vcc, 1, v24
	v_addc_co_u32_e32 v25, vcc, 0, v25, vcc
	v_cmp_eq_u32_e32 vcc, 1, v24
	v_cndmask_b32_e32 v29, v2, v3, vcc
	v_cmp_lt_u32_e32 vcc, 16, v24
	v_cmp_eq_u32_e64 s[2:3], 2, v24
	v_cndmask_b32_e64 v29, v29, v4, s[2:3]
	s_or_b64 s[8:9], vcc, s[8:9]
	v_cmp_eq_u32_e32 vcc, 3, v24
	v_cndmask_b32_e32 v29, v29, v5, vcc
	v_cmp_eq_u32_e32 vcc, 4, v24
	v_cndmask_b32_e32 v29, v29, v6, vcc
	;; [unrolled: 2-line block ×14, first 2 shown]
	v_cmp_eq_u32_e32 vcc, 17, v24
	ds_read_b32 v28, v27
	v_cndmask_b32_e32 v29, v29, v19, vcc
	v_cmp_eq_u32_e32 vcc, 18, v24
	v_cndmask_b32_e32 v29, v29, v20, vcc
	v_cmp_eq_u32_e32 vcc, 19, v24
	s_waitcnt vmcnt(2)
	v_cndmask_b32_e32 v29, v29, v21, vcc
	v_cmp_eq_u32_e32 vcc, 20, v24
	s_waitcnt vmcnt(1)
	;; [unrolled: 3-line block ×3, first 2 shown]
	v_cndmask_b32_e32 v29, v29, v23, vcc
	v_add_u32_e32 v27, 4, v27
	s_waitcnt lgkmcnt(0)
	v_fmac_f32_e32 v26, v29, v28
	s_andn2_b64 exec, exec, s[8:9]
	s_cbranch_execnz .LBB21_501
; %bb.502:
	s_or_b64 exec, exec, s[8:9]
.LBB21_503:
	s_or_b64 exec, exec, s[6:7]
	v_mov_b32_e32 v20, 0
	ds_read_b32 v20, v20 offset:72
	s_waitcnt lgkmcnt(0)
	v_mul_f32_e32 v20, v26, v20
.LBB21_504:
	s_or_b64 exec, exec, s[4:5]
	v_cmp_gt_u32_e32 vcc, 19, v0
	s_waitcnt vmcnt(2)
	ds_write_b32 v100, v21
	s_waitcnt lgkmcnt(0)
	; wave barrier
	s_and_saveexec_b64 s[4:5], vcc
	s_cbranch_execz .LBB21_514
; %bb.505:
	s_and_b64 vcc, exec, s[0:1]
	s_cbranch_vccnz .LBB21_507
; %bb.506:
	v_cmp_eq_u32_e32 vcc, 1, v0
	v_cndmask_b32_e32 v24, v2, v3, vcc
	v_cmp_eq_u32_e32 vcc, 2, v0
	v_cndmask_b32_e32 v24, v24, v4, vcc
	;; [unrolled: 2-line block ×17, first 2 shown]
	v_cmp_eq_u32_e32 vcc, 18, v0
	ds_read_b32 v25, v100
	v_cndmask_b32_e32 v24, v24, v20, vcc
	v_cmp_eq_u32_e32 vcc, 19, v0
	v_cndmask_b32_e32 v24, v24, v21, vcc
	v_cmp_eq_u32_e32 vcc, 20, v0
	s_waitcnt vmcnt(1)
	v_cndmask_b32_e32 v24, v24, v22, vcc
	v_cmp_eq_u32_e32 vcc, 21, v0
	s_waitcnt vmcnt(0)
	v_cndmask_b32_e32 v24, v24, v23, vcc
	s_waitcnt lgkmcnt(0)
	v_mul_f32_e32 v26, v24, v25
	s_cbranch_execz .LBB21_508
	s_branch .LBB21_509
.LBB21_507:
                                        ; implicit-def: $vgpr26
.LBB21_508:
	ds_read_b32 v26, v100
.LBB21_509:
	v_cmp_ne_u32_e32 vcc, 18, v0
	s_and_saveexec_b64 s[6:7], vcc
	s_cbranch_execz .LBB21_513
; %bb.510:
	v_mov_b32_e32 v24, 0x64
	v_lshl_add_u32 v27, v0, 2, v24
	v_mov_b32_e32 v25, v1
	s_mov_b64 s[8:9], 0
	v_mov_b32_e32 v24, v0
.LBB21_511:                             ; =>This Inner Loop Header: Depth=1
	v_add_co_u32_e32 v24, vcc, 1, v24
	v_addc_co_u32_e32 v25, vcc, 0, v25, vcc
	v_cmp_eq_u32_e32 vcc, 1, v24
	v_cndmask_b32_e32 v29, v2, v3, vcc
	v_cmp_lt_u32_e32 vcc, 17, v24
	v_cmp_eq_u32_e64 s[2:3], 2, v24
	v_cndmask_b32_e64 v29, v29, v4, s[2:3]
	s_or_b64 s[8:9], vcc, s[8:9]
	v_cmp_eq_u32_e32 vcc, 3, v24
	v_cndmask_b32_e32 v29, v29, v5, vcc
	v_cmp_eq_u32_e32 vcc, 4, v24
	v_cndmask_b32_e32 v29, v29, v6, vcc
	;; [unrolled: 2-line block ×14, first 2 shown]
	v_cmp_eq_u32_e32 vcc, 17, v24
	ds_read_b32 v28, v27
	v_cndmask_b32_e32 v29, v29, v19, vcc
	v_cmp_eq_u32_e32 vcc, 18, v24
	v_cndmask_b32_e32 v29, v29, v20, vcc
	v_cmp_eq_u32_e32 vcc, 19, v24
	v_cndmask_b32_e32 v29, v29, v21, vcc
	v_cmp_eq_u32_e32 vcc, 20, v24
	s_waitcnt vmcnt(1)
	v_cndmask_b32_e32 v29, v29, v22, vcc
	v_cmp_eq_u32_e32 vcc, 21, v24
	s_waitcnt vmcnt(0)
	v_cndmask_b32_e32 v29, v29, v23, vcc
	v_add_u32_e32 v27, 4, v27
	s_waitcnt lgkmcnt(0)
	v_fmac_f32_e32 v26, v29, v28
	s_andn2_b64 exec, exec, s[8:9]
	s_cbranch_execnz .LBB21_511
; %bb.512:
	s_or_b64 exec, exec, s[8:9]
.LBB21_513:
	s_or_b64 exec, exec, s[6:7]
	v_mov_b32_e32 v21, 0
	ds_read_b32 v21, v21 offset:76
	s_waitcnt lgkmcnt(0)
	v_mul_f32_e32 v21, v26, v21
.LBB21_514:
	s_or_b64 exec, exec, s[4:5]
	v_cmp_gt_u32_e64 s[2:3], 20, v0
	s_waitcnt vmcnt(1)
	ds_write_b32 v100, v22
	s_waitcnt lgkmcnt(0)
	; wave barrier
	s_and_saveexec_b64 s[6:7], s[2:3]
	s_cbranch_execz .LBB21_524
; %bb.515:
	s_and_b64 vcc, exec, s[0:1]
	s_cbranch_vccnz .LBB21_517
; %bb.516:
	v_cmp_eq_u32_e32 vcc, 1, v0
	v_cndmask_b32_e32 v24, v2, v3, vcc
	v_cmp_eq_u32_e32 vcc, 2, v0
	v_cndmask_b32_e32 v24, v24, v4, vcc
	v_cmp_eq_u32_e32 vcc, 3, v0
	v_cndmask_b32_e32 v24, v24, v5, vcc
	v_cmp_eq_u32_e32 vcc, 4, v0
	v_cndmask_b32_e32 v24, v24, v6, vcc
	v_cmp_eq_u32_e32 vcc, 5, v0
	v_cndmask_b32_e32 v24, v24, v7, vcc
	v_cmp_eq_u32_e32 vcc, 6, v0
	v_cndmask_b32_e32 v24, v24, v8, vcc
	v_cmp_eq_u32_e32 vcc, 7, v0
	v_cndmask_b32_e32 v24, v24, v9, vcc
	v_cmp_eq_u32_e32 vcc, 8, v0
	v_cndmask_b32_e32 v24, v24, v10, vcc
	v_cmp_eq_u32_e32 vcc, 9, v0
	v_cndmask_b32_e32 v24, v24, v11, vcc
	v_cmp_eq_u32_e32 vcc, 10, v0
	v_cndmask_b32_e32 v24, v24, v12, vcc
	v_cmp_eq_u32_e32 vcc, 11, v0
	v_cndmask_b32_e32 v24, v24, v13, vcc
	v_cmp_eq_u32_e32 vcc, 12, v0
	v_cndmask_b32_e32 v24, v24, v14, vcc
	v_cmp_eq_u32_e32 vcc, 13, v0
	v_cndmask_b32_e32 v24, v24, v15, vcc
	v_cmp_eq_u32_e32 vcc, 14, v0
	v_cndmask_b32_e32 v24, v24, v16, vcc
	v_cmp_eq_u32_e32 vcc, 15, v0
	v_cndmask_b32_e32 v24, v24, v17, vcc
	v_cmp_eq_u32_e32 vcc, 16, v0
	v_cndmask_b32_e32 v24, v24, v18, vcc
	v_cmp_eq_u32_e32 vcc, 17, v0
	v_cndmask_b32_e32 v24, v24, v19, vcc
	v_cmp_eq_u32_e32 vcc, 18, v0
	ds_read_b32 v25, v100
	v_cndmask_b32_e32 v24, v24, v20, vcc
	v_cmp_eq_u32_e32 vcc, 19, v0
	v_cndmask_b32_e32 v24, v24, v21, vcc
	v_cmp_eq_u32_e32 vcc, 20, v0
	v_cndmask_b32_e32 v24, v24, v22, vcc
	v_cmp_eq_u32_e32 vcc, 21, v0
	s_waitcnt vmcnt(0)
	v_cndmask_b32_e32 v24, v24, v23, vcc
	s_waitcnt lgkmcnt(0)
	v_mul_f32_e32 v26, v24, v25
	s_cbranch_execz .LBB21_518
	s_branch .LBB21_519
.LBB21_517:
                                        ; implicit-def: $vgpr26
.LBB21_518:
	ds_read_b32 v26, v100
.LBB21_519:
	v_cmp_ne_u32_e32 vcc, 19, v0
	s_and_saveexec_b64 s[8:9], vcc
	s_cbranch_execz .LBB21_523
; %bb.520:
	v_mov_b32_e32 v24, 0x64
	v_lshl_add_u32 v27, v0, 2, v24
	v_mov_b32_e32 v25, v1
	s_mov_b64 s[10:11], 0
	v_mov_b32_e32 v24, v0
.LBB21_521:                             ; =>This Inner Loop Header: Depth=1
	v_add_co_u32_e32 v24, vcc, 1, v24
	v_addc_co_u32_e32 v25, vcc, 0, v25, vcc
	v_cmp_eq_u32_e32 vcc, 1, v24
	v_cndmask_b32_e32 v29, v2, v3, vcc
	v_cmp_lt_u32_e32 vcc, 18, v24
	v_cmp_eq_u32_e64 s[4:5], 2, v24
	v_cndmask_b32_e64 v29, v29, v4, s[4:5]
	s_or_b64 s[10:11], vcc, s[10:11]
	v_cmp_eq_u32_e32 vcc, 3, v24
	v_cndmask_b32_e32 v29, v29, v5, vcc
	v_cmp_eq_u32_e32 vcc, 4, v24
	v_cndmask_b32_e32 v29, v29, v6, vcc
	;; [unrolled: 2-line block ×14, first 2 shown]
	v_cmp_eq_u32_e32 vcc, 17, v24
	ds_read_b32 v28, v27
	v_cndmask_b32_e32 v29, v29, v19, vcc
	v_cmp_eq_u32_e32 vcc, 18, v24
	v_cndmask_b32_e32 v29, v29, v20, vcc
	v_cmp_eq_u32_e32 vcc, 19, v24
	;; [unrolled: 2-line block ×4, first 2 shown]
	s_waitcnt vmcnt(0)
	v_cndmask_b32_e32 v29, v29, v23, vcc
	v_add_u32_e32 v27, 4, v27
	s_waitcnt lgkmcnt(0)
	v_fmac_f32_e32 v26, v29, v28
	s_andn2_b64 exec, exec, s[10:11]
	s_cbranch_execnz .LBB21_521
; %bb.522:
	s_or_b64 exec, exec, s[10:11]
.LBB21_523:
	s_or_b64 exec, exec, s[8:9]
	v_mov_b32_e32 v22, 0
	ds_read_b32 v22, v22 offset:80
	s_waitcnt lgkmcnt(0)
	v_mul_f32_e32 v22, v26, v22
.LBB21_524:
	s_or_b64 exec, exec, s[6:7]
	v_cmp_ne_u32_e32 vcc, 21, v0
	s_waitcnt vmcnt(0)
	ds_write_b32 v100, v23
	s_waitcnt lgkmcnt(0)
	; wave barrier
	s_and_saveexec_b64 s[4:5], vcc
	s_cbranch_execz .LBB21_534
; %bb.525:
	s_and_b64 vcc, exec, s[0:1]
	s_cbranch_vccnz .LBB21_527
; %bb.526:
	v_cmp_eq_u32_e32 vcc, 1, v0
	v_cndmask_b32_e32 v24, v2, v3, vcc
	v_cmp_eq_u32_e32 vcc, 2, v0
	v_cndmask_b32_e32 v24, v24, v4, vcc
	v_cmp_eq_u32_e32 vcc, 3, v0
	v_cndmask_b32_e32 v24, v24, v5, vcc
	v_cmp_eq_u32_e32 vcc, 4, v0
	v_cndmask_b32_e32 v24, v24, v6, vcc
	v_cmp_eq_u32_e32 vcc, 5, v0
	v_cndmask_b32_e32 v24, v24, v7, vcc
	v_cmp_eq_u32_e32 vcc, 6, v0
	v_cndmask_b32_e32 v24, v24, v8, vcc
	v_cmp_eq_u32_e32 vcc, 7, v0
	v_cndmask_b32_e32 v24, v24, v9, vcc
	v_cmp_eq_u32_e32 vcc, 8, v0
	v_cndmask_b32_e32 v24, v24, v10, vcc
	v_cmp_eq_u32_e32 vcc, 9, v0
	v_cndmask_b32_e32 v24, v24, v11, vcc
	v_cmp_eq_u32_e32 vcc, 10, v0
	v_cndmask_b32_e32 v24, v24, v12, vcc
	v_cmp_eq_u32_e32 vcc, 11, v0
	v_cndmask_b32_e32 v24, v24, v13, vcc
	v_cmp_eq_u32_e32 vcc, 12, v0
	v_cndmask_b32_e32 v24, v24, v14, vcc
	v_cmp_eq_u32_e32 vcc, 13, v0
	v_cndmask_b32_e32 v24, v24, v15, vcc
	v_cmp_eq_u32_e32 vcc, 14, v0
	v_cndmask_b32_e32 v24, v24, v16, vcc
	v_cmp_eq_u32_e32 vcc, 15, v0
	v_cndmask_b32_e32 v24, v24, v17, vcc
	v_cmp_eq_u32_e32 vcc, 16, v0
	v_cndmask_b32_e32 v24, v24, v18, vcc
	v_cmp_eq_u32_e32 vcc, 17, v0
	v_cndmask_b32_e32 v24, v24, v19, vcc
	v_cmp_eq_u32_e32 vcc, 18, v0
	ds_read_b32 v25, v100
	v_cndmask_b32_e32 v24, v24, v20, vcc
	v_cmp_eq_u32_e32 vcc, 19, v0
	v_cndmask_b32_e32 v24, v24, v21, vcc
	v_cmp_eq_u32_e32 vcc, 20, v0
	v_cndmask_b32_e32 v24, v24, v22, vcc
	v_cmp_eq_u32_e32 vcc, 21, v0
	v_cndmask_b32_e32 v24, v24, v23, vcc
	s_waitcnt lgkmcnt(0)
	v_mul_f32_e32 v24, v24, v25
	s_cbranch_execz .LBB21_528
	s_branch .LBB21_529
.LBB21_527:
                                        ; implicit-def: $vgpr24
.LBB21_528:
	ds_read_b32 v24, v100
.LBB21_529:
	s_and_saveexec_b64 s[6:7], s[2:3]
	s_cbranch_execz .LBB21_533
; %bb.530:
	v_mov_b32_e32 v25, 0x64
	v_lshl_add_u32 v25, v0, 2, v25
	s_mov_b64 s[2:3], 0
.LBB21_531:                             ; =>This Inner Loop Header: Depth=1
	v_add_co_u32_e32 v0, vcc, 1, v0
	v_addc_co_u32_e32 v1, vcc, 0, v1, vcc
	v_cmp_eq_u32_e32 vcc, 1, v0
	v_cndmask_b32_e32 v27, v2, v3, vcc
	v_cmp_lt_u32_e32 vcc, 19, v0
	v_cmp_eq_u32_e64 s[0:1], 2, v0
	v_cndmask_b32_e64 v27, v27, v4, s[0:1]
	s_or_b64 s[2:3], vcc, s[2:3]
	v_cmp_eq_u32_e32 vcc, 3, v0
	v_cndmask_b32_e32 v27, v27, v5, vcc
	v_cmp_eq_u32_e32 vcc, 4, v0
	v_cndmask_b32_e32 v27, v27, v6, vcc
	;; [unrolled: 2-line block ×14, first 2 shown]
	v_cmp_eq_u32_e32 vcc, 17, v0
	ds_read_b32 v26, v25
	v_cndmask_b32_e32 v27, v27, v19, vcc
	v_cmp_eq_u32_e32 vcc, 18, v0
	v_cndmask_b32_e32 v27, v27, v20, vcc
	v_cmp_eq_u32_e32 vcc, 19, v0
	;; [unrolled: 2-line block ×4, first 2 shown]
	v_cndmask_b32_e32 v27, v27, v23, vcc
	v_add_u32_e32 v25, 4, v25
	s_waitcnt lgkmcnt(0)
	v_fmac_f32_e32 v24, v27, v26
	s_andn2_b64 exec, exec, s[2:3]
	s_cbranch_execnz .LBB21_531
; %bb.532:
	s_or_b64 exec, exec, s[2:3]
.LBB21_533:
	s_or_b64 exec, exec, s[6:7]
	v_mov_b32_e32 v0, 0
	ds_read_b32 v0, v0 offset:84
	s_waitcnt lgkmcnt(0)
	v_mul_f32_e32 v23, v24, v0
.LBB21_534:
	s_or_b64 exec, exec, s[4:5]
	v_mov_b32_e32 v55, v33
	v_mov_b32_e32 v54, v32
	;; [unrolled: 1-line block ×32, first 2 shown]
.LBB21_535:
	global_store_dword v[96:97], v24, off
	global_store_dword v[98:99], v25, off
	;; [unrolled: 1-line block ×22, first 2 shown]
.LBB21_536:
	s_endpgm
	.section	.rodata,"a",@progbits
	.p2align	6, 0x0
	.amdhsa_kernel _ZN9rocsolver6v33100L18trti2_kernel_smallILi22EfPfEEv13rocblas_fill_17rocblas_diagonal_T1_iil
		.amdhsa_group_segment_fixed_size 184
		.amdhsa_private_segment_fixed_size 0
		.amdhsa_kernarg_size 32
		.amdhsa_user_sgpr_count 6
		.amdhsa_user_sgpr_private_segment_buffer 1
		.amdhsa_user_sgpr_dispatch_ptr 0
		.amdhsa_user_sgpr_queue_ptr 0
		.amdhsa_user_sgpr_kernarg_segment_ptr 1
		.amdhsa_user_sgpr_dispatch_id 0
		.amdhsa_user_sgpr_flat_scratch_init 0
		.amdhsa_user_sgpr_private_segment_size 0
		.amdhsa_uses_dynamic_stack 0
		.amdhsa_system_sgpr_private_segment_wavefront_offset 0
		.amdhsa_system_sgpr_workgroup_id_x 1
		.amdhsa_system_sgpr_workgroup_id_y 0
		.amdhsa_system_sgpr_workgroup_id_z 0
		.amdhsa_system_sgpr_workgroup_info 0
		.amdhsa_system_vgpr_workitem_id 0
		.amdhsa_next_free_vgpr 118
		.amdhsa_next_free_sgpr 56
		.amdhsa_reserve_vcc 1
		.amdhsa_reserve_flat_scratch 0
		.amdhsa_float_round_mode_32 0
		.amdhsa_float_round_mode_16_64 0
		.amdhsa_float_denorm_mode_32 3
		.amdhsa_float_denorm_mode_16_64 3
		.amdhsa_dx10_clamp 1
		.amdhsa_ieee_mode 1
		.amdhsa_fp16_overflow 0
		.amdhsa_exception_fp_ieee_invalid_op 0
		.amdhsa_exception_fp_denorm_src 0
		.amdhsa_exception_fp_ieee_div_zero 0
		.amdhsa_exception_fp_ieee_overflow 0
		.amdhsa_exception_fp_ieee_underflow 0
		.amdhsa_exception_fp_ieee_inexact 0
		.amdhsa_exception_int_div_zero 0
	.end_amdhsa_kernel
	.section	.text._ZN9rocsolver6v33100L18trti2_kernel_smallILi22EfPfEEv13rocblas_fill_17rocblas_diagonal_T1_iil,"axG",@progbits,_ZN9rocsolver6v33100L18trti2_kernel_smallILi22EfPfEEv13rocblas_fill_17rocblas_diagonal_T1_iil,comdat
.Lfunc_end21:
	.size	_ZN9rocsolver6v33100L18trti2_kernel_smallILi22EfPfEEv13rocblas_fill_17rocblas_diagonal_T1_iil, .Lfunc_end21-_ZN9rocsolver6v33100L18trti2_kernel_smallILi22EfPfEEv13rocblas_fill_17rocblas_diagonal_T1_iil
                                        ; -- End function
	.set _ZN9rocsolver6v33100L18trti2_kernel_smallILi22EfPfEEv13rocblas_fill_17rocblas_diagonal_T1_iil.num_vgpr, 118
	.set _ZN9rocsolver6v33100L18trti2_kernel_smallILi22EfPfEEv13rocblas_fill_17rocblas_diagonal_T1_iil.num_agpr, 0
	.set _ZN9rocsolver6v33100L18trti2_kernel_smallILi22EfPfEEv13rocblas_fill_17rocblas_diagonal_T1_iil.numbered_sgpr, 56
	.set _ZN9rocsolver6v33100L18trti2_kernel_smallILi22EfPfEEv13rocblas_fill_17rocblas_diagonal_T1_iil.num_named_barrier, 0
	.set _ZN9rocsolver6v33100L18trti2_kernel_smallILi22EfPfEEv13rocblas_fill_17rocblas_diagonal_T1_iil.private_seg_size, 0
	.set _ZN9rocsolver6v33100L18trti2_kernel_smallILi22EfPfEEv13rocblas_fill_17rocblas_diagonal_T1_iil.uses_vcc, 1
	.set _ZN9rocsolver6v33100L18trti2_kernel_smallILi22EfPfEEv13rocblas_fill_17rocblas_diagonal_T1_iil.uses_flat_scratch, 0
	.set _ZN9rocsolver6v33100L18trti2_kernel_smallILi22EfPfEEv13rocblas_fill_17rocblas_diagonal_T1_iil.has_dyn_sized_stack, 0
	.set _ZN9rocsolver6v33100L18trti2_kernel_smallILi22EfPfEEv13rocblas_fill_17rocblas_diagonal_T1_iil.has_recursion, 0
	.set _ZN9rocsolver6v33100L18trti2_kernel_smallILi22EfPfEEv13rocblas_fill_17rocblas_diagonal_T1_iil.has_indirect_call, 0
	.section	.AMDGPU.csdata,"",@progbits
; Kernel info:
; codeLenInByte = 31028
; TotalNumSgprs: 60
; NumVgprs: 118
; ScratchSize: 0
; MemoryBound: 0
; FloatMode: 240
; IeeeMode: 1
; LDSByteSize: 184 bytes/workgroup (compile time only)
; SGPRBlocks: 7
; VGPRBlocks: 29
; NumSGPRsForWavesPerEU: 60
; NumVGPRsForWavesPerEU: 118
; Occupancy: 2
; WaveLimiterHint : 0
; COMPUTE_PGM_RSRC2:SCRATCH_EN: 0
; COMPUTE_PGM_RSRC2:USER_SGPR: 6
; COMPUTE_PGM_RSRC2:TRAP_HANDLER: 0
; COMPUTE_PGM_RSRC2:TGID_X_EN: 1
; COMPUTE_PGM_RSRC2:TGID_Y_EN: 0
; COMPUTE_PGM_RSRC2:TGID_Z_EN: 0
; COMPUTE_PGM_RSRC2:TIDIG_COMP_CNT: 0
	.section	.text._ZN9rocsolver6v33100L18trti2_kernel_smallILi23EfPfEEv13rocblas_fill_17rocblas_diagonal_T1_iil,"axG",@progbits,_ZN9rocsolver6v33100L18trti2_kernel_smallILi23EfPfEEv13rocblas_fill_17rocblas_diagonal_T1_iil,comdat
	.globl	_ZN9rocsolver6v33100L18trti2_kernel_smallILi23EfPfEEv13rocblas_fill_17rocblas_diagonal_T1_iil ; -- Begin function _ZN9rocsolver6v33100L18trti2_kernel_smallILi23EfPfEEv13rocblas_fill_17rocblas_diagonal_T1_iil
	.p2align	8
	.type	_ZN9rocsolver6v33100L18trti2_kernel_smallILi23EfPfEEv13rocblas_fill_17rocblas_diagonal_T1_iil,@function
_ZN9rocsolver6v33100L18trti2_kernel_smallILi23EfPfEEv13rocblas_fill_17rocblas_diagonal_T1_iil: ; @_ZN9rocsolver6v33100L18trti2_kernel_smallILi23EfPfEEv13rocblas_fill_17rocblas_diagonal_T1_iil
; %bb.0:
	v_cmp_gt_u32_e32 vcc, 23, v0
	s_and_saveexec_b64 s[0:1], vcc
	s_cbranch_execz .LBB22_562
; %bb.1:
	s_load_dwordx8 s[48:55], s[4:5], 0x0
	s_ashr_i32 s2, s6, 31
	v_lshlrev_b32_e32 v25, 2, v0
	v_mov_b32_e32 v26, -1.0
	s_waitcnt lgkmcnt(0)
	s_mul_hi_u32 s3, s54, s6
	s_mul_i32 s2, s54, s2
	s_add_i32 s2, s3, s2
	s_mul_i32 s3, s55, s6
	s_add_i32 s3, s2, s3
	s_mul_i32 s2, s54, s6
	s_ashr_i32 s1, s52, 31
	s_lshl_b64 s[2:3], s[2:3], 2
	s_mov_b32 s0, s52
	s_add_u32 s2, s50, s2
	s_addc_u32 s3, s51, s3
	s_lshl_b64 s[0:1], s[0:1], 2
	s_add_u32 s0, s2, s0
	s_addc_u32 s1, s3, s1
	s_add_i32 s2, s53, s53
	v_add_u32_e32 v1, s2, v0
	v_ashrrev_i32_e32 v2, 31, v1
	v_lshlrev_b64 v[2:3], 2, v[1:2]
	v_add_u32_e32 v1, s53, v1
	v_mov_b32_e32 v4, s1
	v_add_co_u32_e32 v57, vcc, s0, v2
	v_ashrrev_i32_e32 v2, 31, v1
	v_addc_co_u32_e32 v58, vcc, v4, v3, vcc
	v_lshlrev_b64 v[2:3], 2, v[1:2]
	v_add_u32_e32 v1, s53, v1
	v_add_co_u32_e32 v59, vcc, s0, v2
	v_ashrrev_i32_e32 v2, 31, v1
	v_addc_co_u32_e32 v60, vcc, v4, v3, vcc
	v_lshlrev_b64 v[2:3], 2, v[1:2]
	v_add_u32_e32 v1, s53, v1
	v_add_co_u32_e32 v61, vcc, s0, v2
	v_ashrrev_i32_e32 v2, 31, v1
	v_addc_co_u32_e32 v62, vcc, v4, v3, vcc
	v_lshlrev_b64 v[2:3], 2, v[1:2]
	v_add_u32_e32 v1, s53, v1
	v_add_co_u32_e32 v63, vcc, s0, v2
	v_ashrrev_i32_e32 v2, 31, v1
	v_addc_co_u32_e32 v64, vcc, v4, v3, vcc
	v_lshlrev_b64 v[2:3], 2, v[1:2]
	v_add_u32_e32 v1, s53, v1
	v_add_co_u32_e32 v65, vcc, s0, v2
	v_ashrrev_i32_e32 v2, 31, v1
	v_addc_co_u32_e32 v66, vcc, v4, v3, vcc
	v_lshlrev_b64 v[2:3], 2, v[1:2]
	v_add_u32_e32 v1, s53, v1
	v_add_co_u32_e32 v67, vcc, s0, v2
	v_ashrrev_i32_e32 v2, 31, v1
	v_addc_co_u32_e32 v68, vcc, v4, v3, vcc
	v_lshlrev_b64 v[2:3], 2, v[1:2]
	v_add_u32_e32 v1, s53, v1
	v_add_co_u32_e32 v69, vcc, s0, v2
	v_ashrrev_i32_e32 v2, 31, v1
	v_addc_co_u32_e32 v70, vcc, v4, v3, vcc
	v_lshlrev_b64 v[2:3], 2, v[1:2]
	v_add_u32_e32 v1, s53, v1
	v_add_co_u32_e32 v71, vcc, s0, v2
	v_ashrrev_i32_e32 v2, 31, v1
	v_addc_co_u32_e32 v72, vcc, v4, v3, vcc
	v_lshlrev_b64 v[2:3], 2, v[1:2]
	v_add_u32_e32 v1, s53, v1
	v_add_co_u32_e32 v73, vcc, s0, v2
	v_ashrrev_i32_e32 v2, 31, v1
	v_addc_co_u32_e32 v74, vcc, v4, v3, vcc
	v_lshlrev_b64 v[2:3], 2, v[1:2]
	v_add_u32_e32 v1, s53, v1
	v_add_co_u32_e32 v75, vcc, s0, v2
	v_ashrrev_i32_e32 v2, 31, v1
	v_addc_co_u32_e32 v76, vcc, v4, v3, vcc
	v_lshlrev_b64 v[2:3], 2, v[1:2]
	v_add_u32_e32 v1, s53, v1
	v_add_co_u32_e32 v77, vcc, s0, v2
	v_ashrrev_i32_e32 v2, 31, v1
	v_addc_co_u32_e32 v78, vcc, v4, v3, vcc
	v_lshlrev_b64 v[2:3], 2, v[1:2]
	v_add_u32_e32 v1, s53, v1
	v_add_co_u32_e32 v79, vcc, s0, v2
	v_ashrrev_i32_e32 v2, 31, v1
	v_addc_co_u32_e32 v80, vcc, v4, v3, vcc
	v_lshlrev_b64 v[2:3], 2, v[1:2]
	v_add_u32_e32 v1, s53, v1
	v_add_co_u32_e32 v81, vcc, s0, v2
	v_ashrrev_i32_e32 v2, 31, v1
	v_addc_co_u32_e32 v82, vcc, v4, v3, vcc
	v_lshlrev_b64 v[2:3], 2, v[1:2]
	v_add_u32_e32 v1, s53, v1
	v_add_co_u32_e32 v83, vcc, s0, v2
	v_ashrrev_i32_e32 v2, 31, v1
	v_addc_co_u32_e32 v84, vcc, v4, v3, vcc
	v_lshlrev_b64 v[2:3], 2, v[1:2]
	v_add_u32_e32 v1, s53, v1
	v_add_co_u32_e32 v85, vcc, s0, v2
	v_ashrrev_i32_e32 v2, 31, v1
	v_addc_co_u32_e32 v86, vcc, v4, v3, vcc
	v_lshlrev_b64 v[2:3], 2, v[1:2]
	v_add_u32_e32 v1, s53, v1
	v_add_co_u32_e32 v87, vcc, s0, v2
	v_ashrrev_i32_e32 v2, 31, v1
	v_addc_co_u32_e32 v88, vcc, v4, v3, vcc
	v_lshlrev_b64 v[2:3], 2, v[1:2]
	v_add_u32_e32 v1, s53, v1
	v_add_co_u32_e32 v89, vcc, s0, v2
	v_ashrrev_i32_e32 v2, 31, v1
	v_addc_co_u32_e32 v90, vcc, v4, v3, vcc
	v_lshlrev_b64 v[2:3], 2, v[1:2]
	v_add_u32_e32 v1, s53, v1
	v_add_co_u32_e32 v91, vcc, s0, v2
	v_ashrrev_i32_e32 v2, 31, v1
	v_addc_co_u32_e32 v92, vcc, v4, v3, vcc
	v_lshlrev_b64 v[2:3], 2, v[1:2]
	v_add_u32_e32 v1, s53, v1
	v_add_co_u32_e32 v93, vcc, s0, v2
	v_ashrrev_i32_e32 v2, 31, v1
	v_addc_co_u32_e32 v94, vcc, v4, v3, vcc
	v_lshlrev_b64 v[2:3], 2, v[1:2]
	v_add_u32_e32 v1, s53, v1
	v_add_co_u32_e32 v95, vcc, s0, v2
	v_ashrrev_i32_e32 v2, 31, v1
	v_lshlrev_b64 v[1:2], 2, v[1:2]
	v_addc_co_u32_e32 v96, vcc, v4, v3, vcc
	v_mov_b32_e32 v3, s1
	v_add_co_u32_e32 v97, vcc, s0, v1
	v_addc_co_u32_e32 v98, vcc, v3, v2, vcc
	v_mov_b32_e32 v1, s1
	v_add_co_u32_e32 v99, vcc, s0, v25
	s_ashr_i32 s3, s53, 31
	s_mov_b32 s2, s53
	v_addc_co_u32_e32 v100, vcc, 0, v1, vcc
	s_lshl_b64 s[2:3], s[2:3], 2
	v_mov_b32_e32 v1, s3
	v_add_co_u32_e32 v101, vcc, s2, v99
	v_addc_co_u32_e32 v102, vcc, v100, v1, vcc
	global_load_dword v3, v[101:102], off
	global_load_dword v4, v[57:58], off
	;; [unrolled: 1-line block ×16, first 2 shown]
	global_load_dword v2, v25, s[0:1]
	global_load_dword v19, v[87:88], off
	global_load_dword v20, v[89:90], off
	;; [unrolled: 1-line block ×6, first 2 shown]
	s_cmpk_lg_i32 s49, 0x84
	v_mov_b32_e32 v1, 0
	s_cselect_b64 s[50:51], -1, 0
	s_cmpk_eq_i32 s49, 0x84
	v_cmp_eq_u32_e64 s[0:1], 0, v0
	s_cbranch_scc1 .LBB22_3
; %bb.2:
	v_cmp_eq_u32_e64 s[2:3], 1, v0
	s_waitcnt vmcnt(6)
	v_cndmask_b32_e64 v26, v2, v3, s[2:3]
	v_cmp_eq_u32_e64 s[4:5], 2, v0
	v_cndmask_b32_e64 v26, v26, v4, s[4:5]
	v_cmp_eq_u32_e64 s[6:7], 3, v0
	;; [unrolled: 2-line block ×16, first 2 shown]
	s_waitcnt vmcnt(5)
	v_cndmask_b32_e64 v26, v26, v19, s[36:37]
	v_cmp_eq_u32_e64 s[38:39], 18, v0
	s_waitcnt vmcnt(4)
	v_cndmask_b32_e64 v26, v26, v20, s[38:39]
	v_cmp_eq_u32_e64 s[40:41], 19, v0
	;; [unrolled: 3-line block ×5, first 2 shown]
	s_waitcnt vmcnt(0)
	v_cndmask_b32_e64 v26, v26, v24, s[46:47]
	v_div_scale_f32 v27, s[52:53], v26, v26, 1.0
	v_div_scale_f32 v28, vcc, 1.0, v26, 1.0
	v_rcp_f32_e32 v29, v27
	v_fma_f32 v30, -v27, v29, 1.0
	v_fmac_f32_e32 v29, v30, v29
	v_mul_f32_e32 v30, v28, v29
	v_fma_f32 v31, -v27, v30, v28
	v_fmac_f32_e32 v30, v31, v29
	v_fma_f32 v27, -v27, v30, v28
	v_div_fmas_f32 v27, v27, v29, v30
	v_div_fixup_f32 v26, v27, v26, 1.0
	v_cndmask_b32_e64 v24, v24, v26, s[46:47]
	v_cndmask_b32_e64 v23, v23, v26, s[44:45]
	;; [unrolled: 1-line block ×23, first 2 shown]
	v_xor_b32_e32 v26, 0x80000000, v26
.LBB22_3:
	s_cmpk_eq_i32 s48, 0x79
	v_add_u32_e32 v103, 0x60, v25
	ds_write_b32 v25, v26
	s_cbranch_scc1 .LBB22_7
; %bb.4:
	s_waitcnt vmcnt(0)
	v_mov_b32_e32 v56, v33
	v_mov_b32_e32 v55, v32
	;; [unrolled: 1-line block ×32, first 2 shown]
	v_cmp_eq_u32_e64 s[0:1], 22, v0
	ds_write_b32 v103, v23
	s_waitcnt lgkmcnt(0)
	; wave barrier
	s_and_saveexec_b64 s[2:3], s[0:1]
	s_cbranch_execz .LBB22_11
; %bb.5:
	s_and_b64 vcc, exec, s[50:51]
	s_cbranch_vccz .LBB22_8
; %bb.6:
	v_cmp_eq_u32_e32 vcc, 1, v0
	v_cndmask_b32_e32 v25, v2, v3, vcc
	v_cmp_eq_u32_e32 vcc, 2, v0
	v_cndmask_b32_e32 v25, v25, v4, vcc
	v_cmp_eq_u32_e32 vcc, 3, v0
	v_cndmask_b32_e32 v25, v25, v5, vcc
	v_cmp_eq_u32_e32 vcc, 4, v0
	v_cndmask_b32_e32 v25, v25, v6, vcc
	v_cmp_eq_u32_e32 vcc, 5, v0
	v_cndmask_b32_e32 v25, v25, v7, vcc
	v_cmp_eq_u32_e32 vcc, 6, v0
	v_cndmask_b32_e32 v25, v25, v8, vcc
	v_cmp_eq_u32_e32 vcc, 7, v0
	v_cndmask_b32_e32 v25, v25, v9, vcc
	v_cmp_eq_u32_e32 vcc, 8, v0
	v_cndmask_b32_e32 v25, v25, v10, vcc
	v_cmp_eq_u32_e32 vcc, 9, v0
	v_cndmask_b32_e32 v25, v25, v11, vcc
	v_cmp_eq_u32_e32 vcc, 10, v0
	v_cndmask_b32_e32 v25, v25, v12, vcc
	v_cmp_eq_u32_e32 vcc, 11, v0
	v_cndmask_b32_e32 v25, v25, v13, vcc
	v_cmp_eq_u32_e32 vcc, 12, v0
	v_cndmask_b32_e32 v25, v25, v14, vcc
	v_cmp_eq_u32_e32 vcc, 13, v0
	v_cndmask_b32_e32 v25, v25, v15, vcc
	v_cmp_eq_u32_e32 vcc, 14, v0
	v_cndmask_b32_e32 v25, v25, v16, vcc
	v_cmp_eq_u32_e32 vcc, 15, v0
	v_cndmask_b32_e32 v25, v25, v17, vcc
	v_cmp_eq_u32_e32 vcc, 16, v0
	v_cndmask_b32_e32 v25, v25, v18, vcc
	v_cmp_eq_u32_e32 vcc, 17, v0
	v_cndmask_b32_e32 v25, v25, v19, vcc
	v_cmp_eq_u32_e32 vcc, 18, v0
	v_cndmask_b32_e32 v25, v25, v20, vcc
	v_cmp_eq_u32_e32 vcc, 19, v0
	ds_read_b32 v26, v103
	v_cndmask_b32_e32 v25, v25, v21, vcc
	v_cmp_eq_u32_e32 vcc, 20, v0
	v_cndmask_b32_e32 v25, v25, v22, vcc
	v_cmp_eq_u32_e32 vcc, 21, v0
	;; [unrolled: 2-line block ×3, first 2 shown]
	v_cndmask_b32_e32 v25, v25, v24, vcc
	s_waitcnt lgkmcnt(0)
	v_mul_f32_e32 v29, v25, v26
	s_cbranch_execz .LBB22_9
	s_branch .LBB22_10
.LBB22_7:
                                        ; implicit-def: $vgpr25_vgpr26_vgpr27_vgpr28_vgpr29_vgpr30_vgpr31_vgpr32_vgpr33_vgpr34_vgpr35_vgpr36_vgpr37_vgpr38_vgpr39_vgpr40_vgpr41_vgpr42_vgpr43_vgpr44_vgpr45_vgpr46_vgpr47_vgpr48_vgpr49_vgpr50_vgpr51_vgpr52_vgpr53_vgpr54_vgpr55_vgpr56
	s_cbranch_execnz .LBB22_338
	s_branch .LBB22_561
.LBB22_8:
                                        ; implicit-def: $vgpr29
.LBB22_9:
	ds_read_b32 v29, v103
.LBB22_10:
	v_mov_b32_e32 v25, 0
	ds_read_b32 v30, v25 offset:84
	v_mov_b32_e32 v25, v2
	v_mov_b32_e32 v26, v3
	;; [unrolled: 1-line block ×4, first 2 shown]
	s_waitcnt lgkmcnt(0)
	v_mul_f32_e32 v46, v29, v30
	v_mov_b32_e32 v29, v6
	v_mov_b32_e32 v30, v7
	;; [unrolled: 1-line block ×18, first 2 shown]
.LBB22_11:
	s_or_b64 exec, exec, s[2:3]
	v_cmp_lt_u32_e64 s[2:3], 20, v0
	ds_write_b32 v103, v45
	s_waitcnt lgkmcnt(0)
	; wave barrier
	s_and_saveexec_b64 s[4:5], s[2:3]
	s_cbranch_execz .LBB22_17
; %bb.12:
	s_andn2_b64 vcc, exec, s[50:51]
	s_cbranch_vccnz .LBB22_14
; %bb.13:
	v_cmp_eq_u32_e32 vcc, 1, v0
	v_cndmask_b32_e32 v48, v25, v26, vcc
	v_cmp_eq_u32_e32 vcc, 2, v0
	v_cndmask_b32_e32 v48, v48, v27, vcc
	;; [unrolled: 2-line block ×20, first 2 shown]
	ds_read_b32 v48, v103
	v_cmp_eq_u32_e32 vcc, 21, v0
	v_cndmask_b32_e32 v45, v45, v46, vcc
	v_cmp_eq_u32_e32 vcc, 22, v0
	v_cndmask_b32_e32 v45, v45, v47, vcc
	s_waitcnt lgkmcnt(0)
	v_mul_f32_e32 v45, v45, v48
	s_cbranch_execz .LBB22_15
	s_branch .LBB22_16
.LBB22_14:
                                        ; implicit-def: $vgpr45
.LBB22_15:
	ds_read_b32 v45, v103
.LBB22_16:
	v_mov_b32_e32 v48, 0
	ds_read2_b32 v[48:49], v48 offset0:20 offset1:45
	s_waitcnt lgkmcnt(0)
	v_fma_f32 v49, v46, v49, v45
	v_cndmask_b32_e64 v45, v45, v49, s[0:1]
	v_mul_f32_e32 v45, v45, v48
.LBB22_17:
	s_or_b64 exec, exec, s[4:5]
	v_cmp_lt_u32_e64 s[0:1], 19, v0
	ds_write_b32 v103, v44
	s_waitcnt lgkmcnt(0)
	; wave barrier
	s_and_saveexec_b64 s[4:5], s[0:1]
	s_cbranch_execz .LBB22_33
; %bb.18:
	s_andn2_b64 vcc, exec, s[50:51]
	s_cbranch_vccnz .LBB22_20
; %bb.19:
	v_cmp_eq_u32_e32 vcc, 1, v0
	v_cndmask_b32_e32 v104, v25, v26, vcc
	v_cmp_eq_u32_e32 vcc, 2, v0
	v_cndmask_b32_e32 v104, v104, v27, vcc
	;; [unrolled: 2-line block ×18, first 2 shown]
	v_cmp_eq_u32_e32 vcc, 19, v0
	ds_read_b32 v105, v103
	v_cndmask_b32_e32 v104, v104, v44, vcc
	v_cmp_eq_u32_e32 vcc, 20, v0
	v_cndmask_b32_e32 v104, v104, v45, vcc
	v_cmp_eq_u32_e32 vcc, 21, v0
	;; [unrolled: 2-line block ×3, first 2 shown]
	v_cndmask_b32_e32 v104, v104, v47, vcc
	s_waitcnt lgkmcnt(0)
	v_mul_f32_e32 v104, v104, v105
	s_cbranch_execz .LBB22_21
	s_branch .LBB22_22
.LBB22_20:
                                        ; implicit-def: $vgpr104
.LBB22_21:
	ds_read_b32 v104, v103
.LBB22_22:
	s_and_saveexec_b64 s[6:7], s[2:3]
	s_cbranch_execz .LBB22_32
; %bb.23:
	v_subrev_u32_e32 v107, 21, v0
	v_mov_b32_e32 v105, 20
	v_subrev_u32_e32 v106, 20, v0
	v_cmp_lt_u32_e32 vcc, 6, v107
	s_and_saveexec_b64 s[2:3], vcc
	s_cbranch_execz .LBB22_27
; %bb.24:
	v_and_b32_e32 v105, -8, v106
	v_sub_u32_e32 v107, 0, v105
	s_mov_b64 s[8:9], 27
	s_movk_i32 s12, 0xb0
	s_mov_b64 s[10:11], 0
.LBB22_25:                              ; =>This Inner Loop Header: Depth=1
	s_add_i32 s13, s8, -7
	v_mov_b32_e32 v112, s12
	s_set_gpr_idx_on s13, gpr_idx(SRC0)
	v_mov_b32_e32 v105, v25
	s_set_gpr_idx_off
	ds_read_b128 v[108:111], v112
	ds_read_b128 v[112:115], v112 offset:16
	s_add_i32 s13, s8, -6
	s_waitcnt lgkmcnt(1)
	v_fmac_f32_e32 v104, v105, v108
	s_set_gpr_idx_on s13, gpr_idx(SRC0)
	v_mov_b32_e32 v105, v25
	s_set_gpr_idx_off
	s_add_i32 s13, s8, -5
	v_fmac_f32_e32 v104, v105, v109
	s_set_gpr_idx_on s13, gpr_idx(SRC0)
	v_mov_b32_e32 v105, v25
	s_set_gpr_idx_off
	s_add_i32 s13, s8, -4
	;; [unrolled: 5-line block ×4, first 2 shown]
	s_waitcnt lgkmcnt(0)
	v_fmac_f32_e32 v104, v105, v112
	s_set_gpr_idx_on s13, gpr_idx(SRC0)
	v_mov_b32_e32 v105, v25
	s_set_gpr_idx_off
	s_add_i32 s13, s8, -1
	v_fmac_f32_e32 v104, v105, v113
	s_set_gpr_idx_on s13, gpr_idx(SRC0)
	v_mov_b32_e32 v105, v25
	s_set_gpr_idx_off
	v_fmac_f32_e32 v104, v105, v114
	s_set_gpr_idx_on s8, gpr_idx(SRC0)
	v_mov_b32_e32 v105, v25
	s_set_gpr_idx_off
	s_add_u32 s8, s8, 8
	v_fmac_f32_e32 v104, v105, v115
	v_add_u32_e32 v105, s8, v107
	s_addc_u32 s9, s9, 0
	s_add_i32 s12, s12, 32
	v_cmp_eq_u32_e32 vcc, 27, v105
	s_add_i32 s13, s8, -7
	s_or_b64 s[10:11], vcc, s[10:11]
	v_mov_b32_e32 v105, s13
	s_andn2_b64 exec, exec, s[10:11]
	s_cbranch_execnz .LBB22_25
; %bb.26:
	s_or_b64 exec, exec, s[10:11]
.LBB22_27:
	s_or_b64 exec, exec, s[2:3]
	v_and_b32_e32 v48, 7, v106
	v_cmp_ne_u32_e32 vcc, 0, v48
	s_and_saveexec_b64 s[8:9], vcc
	s_cbranch_execz .LBB22_31
; %bb.28:
	v_mov_b32_e32 v49, 0x60
	v_lshl_add_u32 v49, v105, 2, v49
	v_mov_b32_e32 v50, 0
	s_mov_b64 s[10:11], 0
.LBB22_29:                              ; =>This Inner Loop Header: Depth=1
	v_cmp_eq_u32_e32 vcc, 1, v105
	v_cndmask_b32_e32 v51, v25, v26, vcc
	v_add_u32_e32 v48, -1, v48
	v_cmp_eq_u32_e32 vcc, 2, v105
	v_cndmask_b32_e32 v51, v51, v27, vcc
	v_cmp_eq_u32_e32 vcc, 0, v48
	v_cmp_eq_u32_e64 s[2:3], 3, v105
	v_cndmask_b32_e64 v51, v51, v28, s[2:3]
	s_or_b64 s[10:11], vcc, s[10:11]
	v_cmp_eq_u32_e32 vcc, 4, v105
	v_cndmask_b32_e32 v51, v51, v29, vcc
	v_cmp_eq_u32_e32 vcc, 5, v105
	v_cndmask_b32_e32 v51, v51, v30, vcc
	;; [unrolled: 2-line block ×14, first 2 shown]
	v_cmp_eq_u32_e32 vcc, 18, v105
	ds_read_b32 v52, v49
	v_cndmask_b32_e32 v51, v51, v43, vcc
	v_cmp_eq_u32_e32 vcc, 19, v105
	v_cndmask_b32_e32 v51, v51, v44, vcc
	v_cmp_eq_u32_e32 vcc, 20, v105
	;; [unrolled: 2-line block ×4, first 2 shown]
	v_add_co_u32_e64 v105, s[2:3], 1, v105
	v_cndmask_b32_e32 v51, v51, v47, vcc
	v_add_u32_e32 v49, 4, v49
	v_addc_co_u32_e64 v50, s[2:3], 0, v50, s[2:3]
	s_waitcnt lgkmcnt(0)
	v_fmac_f32_e32 v104, v51, v52
	s_andn2_b64 exec, exec, s[10:11]
	s_cbranch_execnz .LBB22_29
; %bb.30:
	s_or_b64 exec, exec, s[10:11]
.LBB22_31:
	s_or_b64 exec, exec, s[8:9]
.LBB22_32:
	s_or_b64 exec, exec, s[6:7]
	v_mov_b32_e32 v44, 0
	ds_read_b32 v44, v44 offset:76
	s_waitcnt lgkmcnt(0)
	v_mul_f32_e32 v44, v104, v44
.LBB22_33:
	s_or_b64 exec, exec, s[4:5]
	v_cmp_lt_u32_e64 s[2:3], 18, v0
	ds_write_b32 v103, v43
	s_waitcnt lgkmcnt(0)
	; wave barrier
	s_and_saveexec_b64 s[4:5], s[2:3]
	s_cbranch_execz .LBB22_49
; %bb.34:
	s_andn2_b64 vcc, exec, s[50:51]
	s_cbranch_vccnz .LBB22_36
; %bb.35:
	v_cmp_eq_u32_e32 vcc, 1, v0
	v_cndmask_b32_e32 v104, v25, v26, vcc
	v_cmp_eq_u32_e32 vcc, 2, v0
	v_cndmask_b32_e32 v104, v104, v27, vcc
	;; [unrolled: 2-line block ×18, first 2 shown]
	v_cmp_eq_u32_e32 vcc, 19, v0
	ds_read_b32 v105, v103
	v_cndmask_b32_e32 v104, v104, v44, vcc
	v_cmp_eq_u32_e32 vcc, 20, v0
	v_cndmask_b32_e32 v104, v104, v45, vcc
	v_cmp_eq_u32_e32 vcc, 21, v0
	;; [unrolled: 2-line block ×3, first 2 shown]
	v_cndmask_b32_e32 v104, v104, v47, vcc
	s_waitcnt lgkmcnt(0)
	v_mul_f32_e32 v104, v104, v105
	s_cbranch_execz .LBB22_37
	s_branch .LBB22_38
.LBB22_36:
                                        ; implicit-def: $vgpr104
.LBB22_37:
	ds_read_b32 v104, v103
.LBB22_38:
	s_and_saveexec_b64 s[6:7], s[0:1]
	s_cbranch_execz .LBB22_48
; %bb.39:
	v_subrev_u32_e32 v107, 20, v0
	v_mov_b32_e32 v105, 19
	v_subrev_u32_e32 v106, 19, v0
	v_cmp_lt_u32_e32 vcc, 6, v107
	s_and_saveexec_b64 s[0:1], vcc
	s_cbranch_execz .LBB22_43
; %bb.40:
	v_and_b32_e32 v105, -8, v106
	v_sub_u32_e32 v107, 0, v105
	s_mov_b64 s[8:9], 26
	s_movk_i32 s12, 0xac
	s_mov_b64 s[10:11], 0
.LBB22_41:                              ; =>This Inner Loop Header: Depth=1
	s_add_i32 s13, s8, -7
	v_mov_b32_e32 v105, s12
	s_add_i32 s14, s8, -6
	s_set_gpr_idx_on s13, gpr_idx(SRC0)
	v_mov_b32_e32 v114, v25
	s_set_gpr_idx_off
	ds_read2_b32 v[108:109], v105 offset1:1
	s_add_i32 s15, s8, -5
	s_set_gpr_idx_on s14, gpr_idx(SRC0)
	v_mov_b32_e32 v115, v25
	s_set_gpr_idx_off
	s_add_i32 s16, s8, -4
	s_set_gpr_idx_on s15, gpr_idx(SRC0)
	v_mov_b32_e32 v116, v25
	s_set_gpr_idx_off
	ds_read2_b32 v[110:111], v105 offset0:2 offset1:3
	s_add_i32 s17, s8, -3
	s_set_gpr_idx_on s16, gpr_idx(SRC0)
	v_mov_b32_e32 v117, v25
	s_set_gpr_idx_off
	s_add_i32 s18, s8, -2
	s_set_gpr_idx_on s17, gpr_idx(SRC0)
	v_mov_b32_e32 v118, v25
	s_set_gpr_idx_off
	ds_read2_b32 v[112:113], v105 offset0:4 offset1:5
	s_add_i32 s19, s8, -1
	s_waitcnt lgkmcnt(2)
	v_fmac_f32_e32 v104, v114, v108
	s_set_gpr_idx_on s18, gpr_idx(SRC0)
	v_mov_b32_e32 v114, v25
	s_set_gpr_idx_off
	v_fmac_f32_e32 v104, v115, v109
	s_set_gpr_idx_on s19, gpr_idx(SRC0)
	v_mov_b32_e32 v115, v25
	s_set_gpr_idx_off
	ds_read2_b32 v[108:109], v105 offset0:6 offset1:7
	s_waitcnt lgkmcnt(2)
	v_fmac_f32_e32 v104, v116, v110
	s_set_gpr_idx_on s8, gpr_idx(SRC0)
	v_mov_b32_e32 v110, v25
	s_set_gpr_idx_off
	v_fmac_f32_e32 v104, v117, v111
	s_add_u32 s8, s8, 8
	s_waitcnt lgkmcnt(1)
	v_fmac_f32_e32 v104, v118, v112
	v_add_u32_e32 v105, s8, v107
	v_fmac_f32_e32 v104, v114, v113
	s_addc_u32 s9, s9, 0
	s_add_i32 s12, s12, 32
	s_add_i32 s13, s8, -7
	v_cmp_eq_u32_e32 vcc, 26, v105
	s_waitcnt lgkmcnt(0)
	v_fmac_f32_e32 v104, v115, v108
	v_mov_b32_e32 v105, s13
	s_or_b64 s[10:11], vcc, s[10:11]
	v_fmac_f32_e32 v104, v110, v109
	s_andn2_b64 exec, exec, s[10:11]
	s_cbranch_execnz .LBB22_41
; %bb.42:
	s_or_b64 exec, exec, s[10:11]
.LBB22_43:
	s_or_b64 exec, exec, s[0:1]
	v_and_b32_e32 v48, 7, v106
	v_cmp_ne_u32_e32 vcc, 0, v48
	s_and_saveexec_b64 s[8:9], vcc
	s_cbranch_execz .LBB22_47
; %bb.44:
	v_mov_b32_e32 v49, 0x60
	v_lshl_add_u32 v49, v105, 2, v49
	v_mov_b32_e32 v50, 0
	s_mov_b64 s[10:11], 0
.LBB22_45:                              ; =>This Inner Loop Header: Depth=1
	v_cmp_eq_u32_e32 vcc, 1, v105
	v_cndmask_b32_e32 v51, v25, v26, vcc
	v_add_u32_e32 v48, -1, v48
	v_cmp_eq_u32_e32 vcc, 2, v105
	v_cndmask_b32_e32 v51, v51, v27, vcc
	v_cmp_eq_u32_e32 vcc, 0, v48
	v_cmp_eq_u32_e64 s[0:1], 3, v105
	v_cndmask_b32_e64 v51, v51, v28, s[0:1]
	s_or_b64 s[10:11], vcc, s[10:11]
	v_cmp_eq_u32_e32 vcc, 4, v105
	v_cndmask_b32_e32 v51, v51, v29, vcc
	v_cmp_eq_u32_e32 vcc, 5, v105
	v_cndmask_b32_e32 v51, v51, v30, vcc
	;; [unrolled: 2-line block ×14, first 2 shown]
	v_cmp_eq_u32_e32 vcc, 18, v105
	ds_read_b32 v52, v49
	v_cndmask_b32_e32 v51, v51, v43, vcc
	v_cmp_eq_u32_e32 vcc, 19, v105
	v_cndmask_b32_e32 v51, v51, v44, vcc
	v_cmp_eq_u32_e32 vcc, 20, v105
	;; [unrolled: 2-line block ×4, first 2 shown]
	v_add_co_u32_e64 v105, s[0:1], 1, v105
	v_cndmask_b32_e32 v51, v51, v47, vcc
	v_add_u32_e32 v49, 4, v49
	v_addc_co_u32_e64 v50, s[0:1], 0, v50, s[0:1]
	s_waitcnt lgkmcnt(0)
	v_fmac_f32_e32 v104, v51, v52
	s_andn2_b64 exec, exec, s[10:11]
	s_cbranch_execnz .LBB22_45
; %bb.46:
	s_or_b64 exec, exec, s[10:11]
.LBB22_47:
	s_or_b64 exec, exec, s[8:9]
.LBB22_48:
	s_or_b64 exec, exec, s[6:7]
	v_mov_b32_e32 v43, 0
	ds_read_b32 v43, v43 offset:72
	s_waitcnt lgkmcnt(0)
	v_mul_f32_e32 v43, v104, v43
.LBB22_49:
	s_or_b64 exec, exec, s[4:5]
	v_cmp_lt_u32_e64 s[0:1], 17, v0
	ds_write_b32 v103, v42
	s_waitcnt lgkmcnt(0)
	; wave barrier
	s_and_saveexec_b64 s[4:5], s[0:1]
	s_cbranch_execz .LBB22_65
; %bb.50:
	s_andn2_b64 vcc, exec, s[50:51]
	s_cbranch_vccnz .LBB22_52
; %bb.51:
	v_cmp_eq_u32_e32 vcc, 1, v0
	v_cndmask_b32_e32 v104, v25, v26, vcc
	v_cmp_eq_u32_e32 vcc, 2, v0
	v_cndmask_b32_e32 v104, v104, v27, vcc
	;; [unrolled: 2-line block ×18, first 2 shown]
	v_cmp_eq_u32_e32 vcc, 19, v0
	ds_read_b32 v105, v103
	v_cndmask_b32_e32 v104, v104, v44, vcc
	v_cmp_eq_u32_e32 vcc, 20, v0
	v_cndmask_b32_e32 v104, v104, v45, vcc
	v_cmp_eq_u32_e32 vcc, 21, v0
	;; [unrolled: 2-line block ×3, first 2 shown]
	v_cndmask_b32_e32 v104, v104, v47, vcc
	s_waitcnt lgkmcnt(0)
	v_mul_f32_e32 v104, v104, v105
	s_cbranch_execz .LBB22_53
	s_branch .LBB22_54
.LBB22_52:
                                        ; implicit-def: $vgpr104
.LBB22_53:
	ds_read_b32 v104, v103
.LBB22_54:
	s_and_saveexec_b64 s[6:7], s[2:3]
	s_cbranch_execz .LBB22_64
; %bb.55:
	v_subrev_u32_e32 v107, 19, v0
	v_mov_b32_e32 v105, 18
	v_subrev_u32_e32 v106, 18, v0
	v_cmp_lt_u32_e32 vcc, 6, v107
	s_and_saveexec_b64 s[2:3], vcc
	s_cbranch_execz .LBB22_59
; %bb.56:
	v_and_b32_e32 v105, -8, v106
	v_sub_u32_e32 v107, 0, v105
	s_mov_b64 s[8:9], 25
	s_movk_i32 s12, 0xa8
	s_mov_b64 s[10:11], 0
.LBB22_57:                              ; =>This Inner Loop Header: Depth=1
	s_add_i32 s13, s8, -7
	v_mov_b32_e32 v112, s12
	s_set_gpr_idx_on s13, gpr_idx(SRC0)
	v_mov_b32_e32 v105, v25
	s_set_gpr_idx_off
	ds_read2_b64 v[108:111], v112 offset1:1
	s_add_i32 s13, s8, -6
	s_waitcnt lgkmcnt(0)
	v_fmac_f32_e32 v104, v105, v108
	s_set_gpr_idx_on s13, gpr_idx(SRC0)
	v_mov_b32_e32 v105, v25
	s_set_gpr_idx_off
	s_add_i32 s13, s8, -5
	v_fmac_f32_e32 v104, v105, v109
	s_set_gpr_idx_on s13, gpr_idx(SRC0)
	v_mov_b32_e32 v105, v25
	s_set_gpr_idx_off
	s_add_i32 s13, s8, -4
	;; [unrolled: 5-line block ×3, first 2 shown]
	v_fmac_f32_e32 v104, v105, v111
	s_set_gpr_idx_on s13, gpr_idx(SRC0)
	v_mov_b32_e32 v105, v25
	s_set_gpr_idx_off
	ds_read2_b64 v[108:111], v112 offset0:2 offset1:3
	s_add_i32 s13, s8, -2
	s_waitcnt lgkmcnt(0)
	v_fmac_f32_e32 v104, v105, v108
	s_set_gpr_idx_on s13, gpr_idx(SRC0)
	v_mov_b32_e32 v105, v25
	s_set_gpr_idx_off
	s_add_i32 s13, s8, -1
	v_fmac_f32_e32 v104, v105, v109
	s_set_gpr_idx_on s13, gpr_idx(SRC0)
	v_mov_b32_e32 v105, v25
	s_set_gpr_idx_off
	v_fmac_f32_e32 v104, v105, v110
	s_set_gpr_idx_on s8, gpr_idx(SRC0)
	v_mov_b32_e32 v105, v25
	s_set_gpr_idx_off
	s_add_u32 s8, s8, 8
	v_fmac_f32_e32 v104, v105, v111
	v_add_u32_e32 v105, s8, v107
	s_addc_u32 s9, s9, 0
	s_add_i32 s12, s12, 32
	v_cmp_eq_u32_e32 vcc, 25, v105
	s_add_i32 s13, s8, -7
	s_or_b64 s[10:11], vcc, s[10:11]
	v_mov_b32_e32 v105, s13
	s_andn2_b64 exec, exec, s[10:11]
	s_cbranch_execnz .LBB22_57
; %bb.58:
	s_or_b64 exec, exec, s[10:11]
.LBB22_59:
	s_or_b64 exec, exec, s[2:3]
	v_and_b32_e32 v48, 7, v106
	v_cmp_ne_u32_e32 vcc, 0, v48
	s_and_saveexec_b64 s[8:9], vcc
	s_cbranch_execz .LBB22_63
; %bb.60:
	v_mov_b32_e32 v49, 0x60
	v_lshl_add_u32 v49, v105, 2, v49
	v_mov_b32_e32 v50, 0
	s_mov_b64 s[10:11], 0
.LBB22_61:                              ; =>This Inner Loop Header: Depth=1
	v_cmp_eq_u32_e32 vcc, 1, v105
	v_cndmask_b32_e32 v51, v25, v26, vcc
	v_add_u32_e32 v48, -1, v48
	v_cmp_eq_u32_e32 vcc, 2, v105
	v_cndmask_b32_e32 v51, v51, v27, vcc
	v_cmp_eq_u32_e32 vcc, 0, v48
	v_cmp_eq_u32_e64 s[2:3], 3, v105
	v_cndmask_b32_e64 v51, v51, v28, s[2:3]
	s_or_b64 s[10:11], vcc, s[10:11]
	v_cmp_eq_u32_e32 vcc, 4, v105
	v_cndmask_b32_e32 v51, v51, v29, vcc
	v_cmp_eq_u32_e32 vcc, 5, v105
	v_cndmask_b32_e32 v51, v51, v30, vcc
	;; [unrolled: 2-line block ×14, first 2 shown]
	v_cmp_eq_u32_e32 vcc, 18, v105
	ds_read_b32 v52, v49
	v_cndmask_b32_e32 v51, v51, v43, vcc
	v_cmp_eq_u32_e32 vcc, 19, v105
	v_cndmask_b32_e32 v51, v51, v44, vcc
	v_cmp_eq_u32_e32 vcc, 20, v105
	v_cndmask_b32_e32 v51, v51, v45, vcc
	v_cmp_eq_u32_e32 vcc, 21, v105
	v_cndmask_b32_e32 v51, v51, v46, vcc
	v_cmp_eq_u32_e32 vcc, 22, v105
	v_add_co_u32_e64 v105, s[2:3], 1, v105
	v_cndmask_b32_e32 v51, v51, v47, vcc
	v_add_u32_e32 v49, 4, v49
	v_addc_co_u32_e64 v50, s[2:3], 0, v50, s[2:3]
	s_waitcnt lgkmcnt(0)
	v_fmac_f32_e32 v104, v51, v52
	s_andn2_b64 exec, exec, s[10:11]
	s_cbranch_execnz .LBB22_61
; %bb.62:
	s_or_b64 exec, exec, s[10:11]
.LBB22_63:
	s_or_b64 exec, exec, s[8:9]
.LBB22_64:
	s_or_b64 exec, exec, s[6:7]
	v_mov_b32_e32 v42, 0
	ds_read_b32 v42, v42 offset:68
	s_waitcnt lgkmcnt(0)
	v_mul_f32_e32 v42, v104, v42
.LBB22_65:
	s_or_b64 exec, exec, s[4:5]
	v_cmp_lt_u32_e64 s[2:3], 16, v0
	ds_write_b32 v103, v41
	s_waitcnt lgkmcnt(0)
	; wave barrier
	s_and_saveexec_b64 s[4:5], s[2:3]
	s_cbranch_execz .LBB22_81
; %bb.66:
	s_andn2_b64 vcc, exec, s[50:51]
	s_cbranch_vccnz .LBB22_68
; %bb.67:
	v_cmp_eq_u32_e32 vcc, 1, v0
	v_cndmask_b32_e32 v104, v25, v26, vcc
	v_cmp_eq_u32_e32 vcc, 2, v0
	v_cndmask_b32_e32 v104, v104, v27, vcc
	;; [unrolled: 2-line block ×18, first 2 shown]
	v_cmp_eq_u32_e32 vcc, 19, v0
	ds_read_b32 v105, v103
	v_cndmask_b32_e32 v104, v104, v44, vcc
	v_cmp_eq_u32_e32 vcc, 20, v0
	v_cndmask_b32_e32 v104, v104, v45, vcc
	v_cmp_eq_u32_e32 vcc, 21, v0
	v_cndmask_b32_e32 v104, v104, v46, vcc
	v_cmp_eq_u32_e32 vcc, 22, v0
	v_cndmask_b32_e32 v104, v104, v47, vcc
	s_waitcnt lgkmcnt(0)
	v_mul_f32_e32 v104, v104, v105
	s_cbranch_execz .LBB22_69
	s_branch .LBB22_70
.LBB22_68:
                                        ; implicit-def: $vgpr104
.LBB22_69:
	ds_read_b32 v104, v103
.LBB22_70:
	s_and_saveexec_b64 s[6:7], s[0:1]
	s_cbranch_execz .LBB22_80
; %bb.71:
	v_subrev_u32_e32 v107, 18, v0
	v_mov_b32_e32 v105, 17
	v_subrev_u32_e32 v106, 17, v0
	v_cmp_lt_u32_e32 vcc, 6, v107
	s_and_saveexec_b64 s[0:1], vcc
	s_cbranch_execz .LBB22_75
; %bb.72:
	v_and_b32_e32 v105, -8, v106
	v_sub_u32_e32 v107, 0, v105
	s_mov_b64 s[8:9], 24
	s_movk_i32 s12, 0xa4
	s_mov_b64 s[10:11], 0
.LBB22_73:                              ; =>This Inner Loop Header: Depth=1
	s_add_i32 s13, s8, -7
	v_mov_b32_e32 v105, s12
	s_add_i32 s14, s8, -6
	s_set_gpr_idx_on s13, gpr_idx(SRC0)
	v_mov_b32_e32 v114, v25
	s_set_gpr_idx_off
	ds_read2_b32 v[108:109], v105 offset1:1
	s_add_i32 s15, s8, -5
	s_set_gpr_idx_on s14, gpr_idx(SRC0)
	v_mov_b32_e32 v115, v25
	s_set_gpr_idx_off
	s_add_i32 s16, s8, -4
	s_set_gpr_idx_on s15, gpr_idx(SRC0)
	v_mov_b32_e32 v116, v25
	s_set_gpr_idx_off
	ds_read2_b32 v[110:111], v105 offset0:2 offset1:3
	s_add_i32 s17, s8, -3
	s_set_gpr_idx_on s16, gpr_idx(SRC0)
	v_mov_b32_e32 v117, v25
	s_set_gpr_idx_off
	s_add_i32 s18, s8, -2
	s_set_gpr_idx_on s17, gpr_idx(SRC0)
	v_mov_b32_e32 v118, v25
	s_set_gpr_idx_off
	ds_read2_b32 v[112:113], v105 offset0:4 offset1:5
	s_add_i32 s19, s8, -1
	s_waitcnt lgkmcnt(2)
	v_fmac_f32_e32 v104, v114, v108
	s_set_gpr_idx_on s18, gpr_idx(SRC0)
	v_mov_b32_e32 v114, v25
	s_set_gpr_idx_off
	v_fmac_f32_e32 v104, v115, v109
	s_set_gpr_idx_on s19, gpr_idx(SRC0)
	v_mov_b32_e32 v115, v25
	s_set_gpr_idx_off
	ds_read2_b32 v[108:109], v105 offset0:6 offset1:7
	s_waitcnt lgkmcnt(2)
	v_fmac_f32_e32 v104, v116, v110
	s_set_gpr_idx_on s8, gpr_idx(SRC0)
	v_mov_b32_e32 v110, v25
	s_set_gpr_idx_off
	v_fmac_f32_e32 v104, v117, v111
	s_add_u32 s8, s8, 8
	s_waitcnt lgkmcnt(1)
	v_fmac_f32_e32 v104, v118, v112
	v_add_u32_e32 v105, s8, v107
	v_fmac_f32_e32 v104, v114, v113
	s_addc_u32 s9, s9, 0
	s_add_i32 s12, s12, 32
	s_add_i32 s13, s8, -7
	v_cmp_eq_u32_e32 vcc, 24, v105
	s_waitcnt lgkmcnt(0)
	v_fmac_f32_e32 v104, v115, v108
	v_mov_b32_e32 v105, s13
	s_or_b64 s[10:11], vcc, s[10:11]
	v_fmac_f32_e32 v104, v110, v109
	s_andn2_b64 exec, exec, s[10:11]
	s_cbranch_execnz .LBB22_73
; %bb.74:
	s_or_b64 exec, exec, s[10:11]
.LBB22_75:
	s_or_b64 exec, exec, s[0:1]
	v_and_b32_e32 v48, 7, v106
	v_cmp_ne_u32_e32 vcc, 0, v48
	s_and_saveexec_b64 s[8:9], vcc
	s_cbranch_execz .LBB22_79
; %bb.76:
	v_mov_b32_e32 v49, 0x60
	v_lshl_add_u32 v49, v105, 2, v49
	v_mov_b32_e32 v50, 0
	s_mov_b64 s[10:11], 0
.LBB22_77:                              ; =>This Inner Loop Header: Depth=1
	v_cmp_eq_u32_e32 vcc, 1, v105
	v_cndmask_b32_e32 v51, v25, v26, vcc
	v_add_u32_e32 v48, -1, v48
	v_cmp_eq_u32_e32 vcc, 2, v105
	v_cndmask_b32_e32 v51, v51, v27, vcc
	v_cmp_eq_u32_e32 vcc, 0, v48
	v_cmp_eq_u32_e64 s[0:1], 3, v105
	v_cndmask_b32_e64 v51, v51, v28, s[0:1]
	s_or_b64 s[10:11], vcc, s[10:11]
	v_cmp_eq_u32_e32 vcc, 4, v105
	v_cndmask_b32_e32 v51, v51, v29, vcc
	v_cmp_eq_u32_e32 vcc, 5, v105
	v_cndmask_b32_e32 v51, v51, v30, vcc
	;; [unrolled: 2-line block ×14, first 2 shown]
	v_cmp_eq_u32_e32 vcc, 18, v105
	ds_read_b32 v52, v49
	v_cndmask_b32_e32 v51, v51, v43, vcc
	v_cmp_eq_u32_e32 vcc, 19, v105
	v_cndmask_b32_e32 v51, v51, v44, vcc
	v_cmp_eq_u32_e32 vcc, 20, v105
	;; [unrolled: 2-line block ×4, first 2 shown]
	v_add_co_u32_e64 v105, s[0:1], 1, v105
	v_cndmask_b32_e32 v51, v51, v47, vcc
	v_add_u32_e32 v49, 4, v49
	v_addc_co_u32_e64 v50, s[0:1], 0, v50, s[0:1]
	s_waitcnt lgkmcnt(0)
	v_fmac_f32_e32 v104, v51, v52
	s_andn2_b64 exec, exec, s[10:11]
	s_cbranch_execnz .LBB22_77
; %bb.78:
	s_or_b64 exec, exec, s[10:11]
.LBB22_79:
	s_or_b64 exec, exec, s[8:9]
.LBB22_80:
	s_or_b64 exec, exec, s[6:7]
	v_mov_b32_e32 v41, 0
	ds_read_b32 v41, v41 offset:64
	s_waitcnt lgkmcnt(0)
	v_mul_f32_e32 v41, v104, v41
.LBB22_81:
	s_or_b64 exec, exec, s[4:5]
	v_cmp_lt_u32_e64 s[0:1], 15, v0
	ds_write_b32 v103, v40
	s_waitcnt lgkmcnt(0)
	; wave barrier
	s_and_saveexec_b64 s[4:5], s[0:1]
	s_cbranch_execz .LBB22_97
; %bb.82:
	s_andn2_b64 vcc, exec, s[50:51]
	s_cbranch_vccnz .LBB22_84
; %bb.83:
	v_cmp_eq_u32_e32 vcc, 1, v0
	v_cndmask_b32_e32 v104, v25, v26, vcc
	v_cmp_eq_u32_e32 vcc, 2, v0
	v_cndmask_b32_e32 v104, v104, v27, vcc
	;; [unrolled: 2-line block ×18, first 2 shown]
	v_cmp_eq_u32_e32 vcc, 19, v0
	ds_read_b32 v105, v103
	v_cndmask_b32_e32 v104, v104, v44, vcc
	v_cmp_eq_u32_e32 vcc, 20, v0
	v_cndmask_b32_e32 v104, v104, v45, vcc
	v_cmp_eq_u32_e32 vcc, 21, v0
	;; [unrolled: 2-line block ×3, first 2 shown]
	v_cndmask_b32_e32 v104, v104, v47, vcc
	s_waitcnt lgkmcnt(0)
	v_mul_f32_e32 v104, v104, v105
	s_cbranch_execz .LBB22_85
	s_branch .LBB22_86
.LBB22_84:
                                        ; implicit-def: $vgpr104
.LBB22_85:
	ds_read_b32 v104, v103
.LBB22_86:
	s_and_saveexec_b64 s[6:7], s[2:3]
	s_cbranch_execz .LBB22_96
; %bb.87:
	v_subrev_u32_e32 v105, 17, v0
	v_cmp_lt_u32_e32 vcc, 6, v105
	v_mov_b32_e32 v105, 16
	s_and_saveexec_b64 s[2:3], vcc
	s_cbranch_execz .LBB22_91
; %bb.88:
	v_and_b32_e32 v105, 24, v0
	v_sub_u32_e32 v106, 0, v105
	s_mov_b64 s[8:9], 23
	s_movk_i32 s12, 0xa0
	s_mov_b64 s[10:11], 0
.LBB22_89:                              ; =>This Inner Loop Header: Depth=1
	s_add_i32 s13, s8, -7
	v_mov_b32_e32 v105, s12
	s_add_i32 s14, s8, -6
	s_set_gpr_idx_on s13, gpr_idx(SRC0)
	v_mov_b32_e32 v115, v25
	s_set_gpr_idx_off
	s_add_i32 s15, s8, -5
	ds_read_b128 v[107:110], v105
	ds_read_b128 v[111:114], v105 offset:16
	s_set_gpr_idx_on s14, gpr_idx(SRC0)
	v_mov_b32_e32 v105, v25
	s_set_gpr_idx_off
	s_add_i32 s16, s8, -4
	s_set_gpr_idx_on s15, gpr_idx(SRC0)
	v_mov_b32_e32 v116, v25
	s_set_gpr_idx_off
	s_add_i32 s17, s8, -3
	s_set_gpr_idx_on s16, gpr_idx(SRC0)
	v_mov_b32_e32 v117, v25
	s_set_gpr_idx_off
	s_add_i32 s18, s8, -2
	s_set_gpr_idx_on s17, gpr_idx(SRC0)
	v_mov_b32_e32 v118, v25
	s_set_gpr_idx_off
	s_add_i32 s19, s8, -1
	s_waitcnt lgkmcnt(1)
	v_fmac_f32_e32 v104, v115, v107
	s_set_gpr_idx_on s18, gpr_idx(SRC0)
	v_mov_b32_e32 v107, v25
	s_set_gpr_idx_off
	v_fmac_f32_e32 v104, v105, v108
	s_set_gpr_idx_on s19, gpr_idx(SRC0)
	v_mov_b32_e32 v108, v25
	s_set_gpr_idx_off
	;; [unrolled: 4-line block ×3, first 2 shown]
	v_fmac_f32_e32 v104, v117, v110
	s_add_u32 s8, s8, 8
	s_waitcnt lgkmcnt(0)
	v_fmac_f32_e32 v104, v118, v111
	v_add_u32_e32 v105, s8, v106
	v_fmac_f32_e32 v104, v107, v112
	s_addc_u32 s9, s9, 0
	s_add_i32 s12, s12, 32
	s_add_i32 s13, s8, -7
	v_cmp_eq_u32_e32 vcc, 7, v105
	v_fmac_f32_e32 v104, v108, v113
	v_mov_b32_e32 v105, s13
	s_or_b64 s[10:11], vcc, s[10:11]
	v_fmac_f32_e32 v104, v109, v114
	s_andn2_b64 exec, exec, s[10:11]
	s_cbranch_execnz .LBB22_89
; %bb.90:
	s_or_b64 exec, exec, s[10:11]
.LBB22_91:
	s_or_b64 exec, exec, s[2:3]
	v_and_b32_e32 v48, 7, v0
	v_cmp_ne_u32_e32 vcc, 0, v48
	s_and_saveexec_b64 s[8:9], vcc
	s_cbranch_execz .LBB22_95
; %bb.92:
	v_mov_b32_e32 v49, 0x60
	v_lshl_add_u32 v49, v105, 2, v49
	v_mov_b32_e32 v50, 0
	s_mov_b64 s[10:11], 0
.LBB22_93:                              ; =>This Inner Loop Header: Depth=1
	v_cmp_eq_u32_e32 vcc, 1, v105
	v_cndmask_b32_e32 v51, v25, v26, vcc
	v_add_u32_e32 v48, -1, v48
	v_cmp_eq_u32_e32 vcc, 2, v105
	v_cndmask_b32_e32 v51, v51, v27, vcc
	v_cmp_eq_u32_e32 vcc, 0, v48
	v_cmp_eq_u32_e64 s[2:3], 3, v105
	v_cndmask_b32_e64 v51, v51, v28, s[2:3]
	s_or_b64 s[10:11], vcc, s[10:11]
	v_cmp_eq_u32_e32 vcc, 4, v105
	v_cndmask_b32_e32 v51, v51, v29, vcc
	v_cmp_eq_u32_e32 vcc, 5, v105
	v_cndmask_b32_e32 v51, v51, v30, vcc
	;; [unrolled: 2-line block ×14, first 2 shown]
	v_cmp_eq_u32_e32 vcc, 18, v105
	ds_read_b32 v52, v49
	v_cndmask_b32_e32 v51, v51, v43, vcc
	v_cmp_eq_u32_e32 vcc, 19, v105
	v_cndmask_b32_e32 v51, v51, v44, vcc
	v_cmp_eq_u32_e32 vcc, 20, v105
	;; [unrolled: 2-line block ×4, first 2 shown]
	v_add_co_u32_e64 v105, s[2:3], 1, v105
	v_cndmask_b32_e32 v51, v51, v47, vcc
	v_add_u32_e32 v49, 4, v49
	v_addc_co_u32_e64 v50, s[2:3], 0, v50, s[2:3]
	s_waitcnt lgkmcnt(0)
	v_fmac_f32_e32 v104, v51, v52
	s_andn2_b64 exec, exec, s[10:11]
	s_cbranch_execnz .LBB22_93
; %bb.94:
	s_or_b64 exec, exec, s[10:11]
.LBB22_95:
	s_or_b64 exec, exec, s[8:9]
.LBB22_96:
	s_or_b64 exec, exec, s[6:7]
	v_mov_b32_e32 v40, 0
	ds_read_b32 v40, v40 offset:60
	s_waitcnt lgkmcnt(0)
	v_mul_f32_e32 v40, v104, v40
.LBB22_97:
	s_or_b64 exec, exec, s[4:5]
	v_cmp_lt_u32_e64 s[2:3], 14, v0
	ds_write_b32 v103, v39
	s_waitcnt lgkmcnt(0)
	; wave barrier
	s_and_saveexec_b64 s[4:5], s[2:3]
	s_cbranch_execz .LBB22_113
; %bb.98:
	s_andn2_b64 vcc, exec, s[50:51]
	s_cbranch_vccnz .LBB22_100
; %bb.99:
	v_cmp_eq_u32_e32 vcc, 1, v0
	v_cndmask_b32_e32 v104, v25, v26, vcc
	v_cmp_eq_u32_e32 vcc, 2, v0
	v_cndmask_b32_e32 v104, v104, v27, vcc
	;; [unrolled: 2-line block ×18, first 2 shown]
	v_cmp_eq_u32_e32 vcc, 19, v0
	ds_read_b32 v105, v103
	v_cndmask_b32_e32 v104, v104, v44, vcc
	v_cmp_eq_u32_e32 vcc, 20, v0
	v_cndmask_b32_e32 v104, v104, v45, vcc
	v_cmp_eq_u32_e32 vcc, 21, v0
	;; [unrolled: 2-line block ×3, first 2 shown]
	v_cndmask_b32_e32 v104, v104, v47, vcc
	s_waitcnt lgkmcnt(0)
	v_mul_f32_e32 v104, v104, v105
	s_cbranch_execz .LBB22_101
	s_branch .LBB22_102
.LBB22_100:
                                        ; implicit-def: $vgpr104
.LBB22_101:
	ds_read_b32 v104, v103
.LBB22_102:
	s_and_saveexec_b64 s[6:7], s[0:1]
	s_cbranch_execz .LBB22_112
; %bb.103:
	v_add_u32_e32 v105, -16, v0
	v_add_u32_e32 v106, -15, v0
	v_cmp_lt_u32_e32 vcc, 6, v105
	v_mov_b32_e32 v105, 15
	s_and_saveexec_b64 s[0:1], vcc
	s_cbranch_execz .LBB22_107
; %bb.104:
	v_and_b32_e32 v105, -8, v106
	v_sub_u32_e32 v107, 0, v105
	s_mov_b64 s[8:9], 22
	s_movk_i32 s12, 0x9c
	s_mov_b64 s[10:11], 0
.LBB22_105:                             ; =>This Inner Loop Header: Depth=1
	s_add_i32 s13, s8, -7
	v_mov_b32_e32 v105, s12
	s_add_i32 s14, s8, -6
	s_set_gpr_idx_on s13, gpr_idx(SRC0)
	v_mov_b32_e32 v114, v25
	s_set_gpr_idx_off
	ds_read2_b32 v[108:109], v105 offset1:1
	s_add_i32 s15, s8, -5
	s_set_gpr_idx_on s14, gpr_idx(SRC0)
	v_mov_b32_e32 v115, v25
	s_set_gpr_idx_off
	s_add_i32 s16, s8, -4
	s_set_gpr_idx_on s15, gpr_idx(SRC0)
	v_mov_b32_e32 v116, v25
	s_set_gpr_idx_off
	ds_read2_b32 v[110:111], v105 offset0:2 offset1:3
	s_add_i32 s17, s8, -3
	s_set_gpr_idx_on s16, gpr_idx(SRC0)
	v_mov_b32_e32 v117, v25
	s_set_gpr_idx_off
	s_add_i32 s18, s8, -2
	s_set_gpr_idx_on s17, gpr_idx(SRC0)
	v_mov_b32_e32 v118, v25
	s_set_gpr_idx_off
	ds_read2_b32 v[112:113], v105 offset0:4 offset1:5
	s_add_i32 s19, s8, -1
	s_waitcnt lgkmcnt(2)
	v_fmac_f32_e32 v104, v114, v108
	s_set_gpr_idx_on s18, gpr_idx(SRC0)
	v_mov_b32_e32 v114, v25
	s_set_gpr_idx_off
	v_fmac_f32_e32 v104, v115, v109
	s_set_gpr_idx_on s19, gpr_idx(SRC0)
	v_mov_b32_e32 v115, v25
	s_set_gpr_idx_off
	ds_read2_b32 v[108:109], v105 offset0:6 offset1:7
	s_waitcnt lgkmcnt(2)
	v_fmac_f32_e32 v104, v116, v110
	s_set_gpr_idx_on s8, gpr_idx(SRC0)
	v_mov_b32_e32 v110, v25
	s_set_gpr_idx_off
	v_fmac_f32_e32 v104, v117, v111
	s_add_u32 s8, s8, 8
	s_waitcnt lgkmcnt(1)
	v_fmac_f32_e32 v104, v118, v112
	v_add_u32_e32 v105, s8, v107
	v_fmac_f32_e32 v104, v114, v113
	s_addc_u32 s9, s9, 0
	s_add_i32 s12, s12, 32
	s_add_i32 s13, s8, -7
	v_cmp_eq_u32_e32 vcc, 22, v105
	s_waitcnt lgkmcnt(0)
	v_fmac_f32_e32 v104, v115, v108
	v_mov_b32_e32 v105, s13
	s_or_b64 s[10:11], vcc, s[10:11]
	v_fmac_f32_e32 v104, v110, v109
	s_andn2_b64 exec, exec, s[10:11]
	s_cbranch_execnz .LBB22_105
; %bb.106:
	s_or_b64 exec, exec, s[10:11]
.LBB22_107:
	s_or_b64 exec, exec, s[0:1]
	v_and_b32_e32 v48, 7, v106
	v_cmp_ne_u32_e32 vcc, 0, v48
	s_and_saveexec_b64 s[8:9], vcc
	s_cbranch_execz .LBB22_111
; %bb.108:
	v_mov_b32_e32 v49, 0x60
	v_lshl_add_u32 v49, v105, 2, v49
	v_mov_b32_e32 v50, 0
	s_mov_b64 s[10:11], 0
.LBB22_109:                             ; =>This Inner Loop Header: Depth=1
	v_cmp_eq_u32_e32 vcc, 1, v105
	v_cndmask_b32_e32 v51, v25, v26, vcc
	v_add_u32_e32 v48, -1, v48
	v_cmp_eq_u32_e32 vcc, 2, v105
	v_cndmask_b32_e32 v51, v51, v27, vcc
	v_cmp_eq_u32_e32 vcc, 0, v48
	v_cmp_eq_u32_e64 s[0:1], 3, v105
	v_cndmask_b32_e64 v51, v51, v28, s[0:1]
	s_or_b64 s[10:11], vcc, s[10:11]
	v_cmp_eq_u32_e32 vcc, 4, v105
	v_cndmask_b32_e32 v51, v51, v29, vcc
	v_cmp_eq_u32_e32 vcc, 5, v105
	v_cndmask_b32_e32 v51, v51, v30, vcc
	;; [unrolled: 2-line block ×14, first 2 shown]
	v_cmp_eq_u32_e32 vcc, 18, v105
	ds_read_b32 v52, v49
	v_cndmask_b32_e32 v51, v51, v43, vcc
	v_cmp_eq_u32_e32 vcc, 19, v105
	v_cndmask_b32_e32 v51, v51, v44, vcc
	v_cmp_eq_u32_e32 vcc, 20, v105
	v_cndmask_b32_e32 v51, v51, v45, vcc
	v_cmp_eq_u32_e32 vcc, 21, v105
	v_cndmask_b32_e32 v51, v51, v46, vcc
	v_cmp_eq_u32_e32 vcc, 22, v105
	v_add_co_u32_e64 v105, s[0:1], 1, v105
	v_cndmask_b32_e32 v51, v51, v47, vcc
	v_add_u32_e32 v49, 4, v49
	v_addc_co_u32_e64 v50, s[0:1], 0, v50, s[0:1]
	s_waitcnt lgkmcnt(0)
	v_fmac_f32_e32 v104, v51, v52
	s_andn2_b64 exec, exec, s[10:11]
	s_cbranch_execnz .LBB22_109
; %bb.110:
	s_or_b64 exec, exec, s[10:11]
.LBB22_111:
	s_or_b64 exec, exec, s[8:9]
.LBB22_112:
	s_or_b64 exec, exec, s[6:7]
	v_mov_b32_e32 v39, 0
	ds_read_b32 v39, v39 offset:56
	s_waitcnt lgkmcnt(0)
	v_mul_f32_e32 v39, v104, v39
.LBB22_113:
	s_or_b64 exec, exec, s[4:5]
	v_cmp_lt_u32_e64 s[0:1], 13, v0
	ds_write_b32 v103, v38
	s_waitcnt lgkmcnt(0)
	; wave barrier
	s_and_saveexec_b64 s[4:5], s[0:1]
	s_cbranch_execz .LBB22_129
; %bb.114:
	s_andn2_b64 vcc, exec, s[50:51]
	s_cbranch_vccnz .LBB22_116
; %bb.115:
	v_cmp_eq_u32_e32 vcc, 1, v0
	v_cndmask_b32_e32 v104, v25, v26, vcc
	v_cmp_eq_u32_e32 vcc, 2, v0
	v_cndmask_b32_e32 v104, v104, v27, vcc
	;; [unrolled: 2-line block ×18, first 2 shown]
	v_cmp_eq_u32_e32 vcc, 19, v0
	ds_read_b32 v105, v103
	v_cndmask_b32_e32 v104, v104, v44, vcc
	v_cmp_eq_u32_e32 vcc, 20, v0
	v_cndmask_b32_e32 v104, v104, v45, vcc
	v_cmp_eq_u32_e32 vcc, 21, v0
	;; [unrolled: 2-line block ×3, first 2 shown]
	v_cndmask_b32_e32 v104, v104, v47, vcc
	s_waitcnt lgkmcnt(0)
	v_mul_f32_e32 v104, v104, v105
	s_cbranch_execz .LBB22_117
	s_branch .LBB22_118
.LBB22_116:
                                        ; implicit-def: $vgpr104
.LBB22_117:
	ds_read_b32 v104, v103
.LBB22_118:
	s_and_saveexec_b64 s[6:7], s[2:3]
	s_cbranch_execz .LBB22_128
; %bb.119:
	v_add_u32_e32 v105, -15, v0
	v_add_u32_e32 v106, -14, v0
	v_cmp_lt_u32_e32 vcc, 6, v105
	v_mov_b32_e32 v105, 14
	s_and_saveexec_b64 s[2:3], vcc
	s_cbranch_execz .LBB22_123
; %bb.120:
	v_and_b32_e32 v105, -8, v106
	v_sub_u32_e32 v107, 0, v105
	s_mov_b64 s[8:9], 21
	s_movk_i32 s12, 0x98
	s_mov_b64 s[10:11], 0
.LBB22_121:                             ; =>This Inner Loop Header: Depth=1
	s_add_i32 s13, s8, -7
	v_mov_b32_e32 v112, s12
	s_set_gpr_idx_on s13, gpr_idx(SRC0)
	v_mov_b32_e32 v105, v25
	s_set_gpr_idx_off
	ds_read2_b64 v[108:111], v112 offset1:1
	s_add_i32 s13, s8, -6
	s_waitcnt lgkmcnt(0)
	v_fmac_f32_e32 v104, v105, v108
	s_set_gpr_idx_on s13, gpr_idx(SRC0)
	v_mov_b32_e32 v105, v25
	s_set_gpr_idx_off
	s_add_i32 s13, s8, -5
	v_fmac_f32_e32 v104, v105, v109
	s_set_gpr_idx_on s13, gpr_idx(SRC0)
	v_mov_b32_e32 v105, v25
	s_set_gpr_idx_off
	s_add_i32 s13, s8, -4
	;; [unrolled: 5-line block ×3, first 2 shown]
	v_fmac_f32_e32 v104, v105, v111
	s_set_gpr_idx_on s13, gpr_idx(SRC0)
	v_mov_b32_e32 v105, v25
	s_set_gpr_idx_off
	ds_read2_b64 v[108:111], v112 offset0:2 offset1:3
	s_add_i32 s13, s8, -2
	s_waitcnt lgkmcnt(0)
	v_fmac_f32_e32 v104, v105, v108
	s_set_gpr_idx_on s13, gpr_idx(SRC0)
	v_mov_b32_e32 v105, v25
	s_set_gpr_idx_off
	s_add_i32 s13, s8, -1
	v_fmac_f32_e32 v104, v105, v109
	s_set_gpr_idx_on s13, gpr_idx(SRC0)
	v_mov_b32_e32 v105, v25
	s_set_gpr_idx_off
	v_fmac_f32_e32 v104, v105, v110
	s_set_gpr_idx_on s8, gpr_idx(SRC0)
	v_mov_b32_e32 v105, v25
	s_set_gpr_idx_off
	s_add_u32 s8, s8, 8
	v_fmac_f32_e32 v104, v105, v111
	v_add_u32_e32 v105, s8, v107
	s_addc_u32 s9, s9, 0
	s_add_i32 s12, s12, 32
	v_cmp_eq_u32_e32 vcc, 21, v105
	s_add_i32 s13, s8, -7
	s_or_b64 s[10:11], vcc, s[10:11]
	v_mov_b32_e32 v105, s13
	s_andn2_b64 exec, exec, s[10:11]
	s_cbranch_execnz .LBB22_121
; %bb.122:
	s_or_b64 exec, exec, s[10:11]
.LBB22_123:
	s_or_b64 exec, exec, s[2:3]
	v_and_b32_e32 v48, 7, v106
	v_cmp_ne_u32_e32 vcc, 0, v48
	s_and_saveexec_b64 s[8:9], vcc
	s_cbranch_execz .LBB22_127
; %bb.124:
	v_mov_b32_e32 v49, 0x60
	v_lshl_add_u32 v49, v105, 2, v49
	v_mov_b32_e32 v50, 0
	s_mov_b64 s[10:11], 0
.LBB22_125:                             ; =>This Inner Loop Header: Depth=1
	v_cmp_eq_u32_e32 vcc, 1, v105
	v_cndmask_b32_e32 v51, v25, v26, vcc
	v_add_u32_e32 v48, -1, v48
	v_cmp_eq_u32_e32 vcc, 2, v105
	v_cndmask_b32_e32 v51, v51, v27, vcc
	v_cmp_eq_u32_e32 vcc, 0, v48
	v_cmp_eq_u32_e64 s[2:3], 3, v105
	v_cndmask_b32_e64 v51, v51, v28, s[2:3]
	s_or_b64 s[10:11], vcc, s[10:11]
	v_cmp_eq_u32_e32 vcc, 4, v105
	v_cndmask_b32_e32 v51, v51, v29, vcc
	v_cmp_eq_u32_e32 vcc, 5, v105
	v_cndmask_b32_e32 v51, v51, v30, vcc
	;; [unrolled: 2-line block ×14, first 2 shown]
	v_cmp_eq_u32_e32 vcc, 18, v105
	ds_read_b32 v52, v49
	v_cndmask_b32_e32 v51, v51, v43, vcc
	v_cmp_eq_u32_e32 vcc, 19, v105
	v_cndmask_b32_e32 v51, v51, v44, vcc
	v_cmp_eq_u32_e32 vcc, 20, v105
	;; [unrolled: 2-line block ×4, first 2 shown]
	v_add_co_u32_e64 v105, s[2:3], 1, v105
	v_cndmask_b32_e32 v51, v51, v47, vcc
	v_add_u32_e32 v49, 4, v49
	v_addc_co_u32_e64 v50, s[2:3], 0, v50, s[2:3]
	s_waitcnt lgkmcnt(0)
	v_fmac_f32_e32 v104, v51, v52
	s_andn2_b64 exec, exec, s[10:11]
	s_cbranch_execnz .LBB22_125
; %bb.126:
	s_or_b64 exec, exec, s[10:11]
.LBB22_127:
	s_or_b64 exec, exec, s[8:9]
.LBB22_128:
	s_or_b64 exec, exec, s[6:7]
	v_mov_b32_e32 v38, 0
	ds_read_b32 v38, v38 offset:52
	s_waitcnt lgkmcnt(0)
	v_mul_f32_e32 v38, v104, v38
.LBB22_129:
	s_or_b64 exec, exec, s[4:5]
	v_cmp_lt_u32_e64 s[2:3], 12, v0
	ds_write_b32 v103, v37
	s_waitcnt lgkmcnt(0)
	; wave barrier
	s_and_saveexec_b64 s[4:5], s[2:3]
	s_cbranch_execz .LBB22_145
; %bb.130:
	s_andn2_b64 vcc, exec, s[50:51]
	s_cbranch_vccnz .LBB22_132
; %bb.131:
	v_cmp_eq_u32_e32 vcc, 1, v0
	v_cndmask_b32_e32 v104, v25, v26, vcc
	v_cmp_eq_u32_e32 vcc, 2, v0
	v_cndmask_b32_e32 v104, v104, v27, vcc
	;; [unrolled: 2-line block ×18, first 2 shown]
	v_cmp_eq_u32_e32 vcc, 19, v0
	ds_read_b32 v105, v103
	v_cndmask_b32_e32 v104, v104, v44, vcc
	v_cmp_eq_u32_e32 vcc, 20, v0
	v_cndmask_b32_e32 v104, v104, v45, vcc
	v_cmp_eq_u32_e32 vcc, 21, v0
	;; [unrolled: 2-line block ×3, first 2 shown]
	v_cndmask_b32_e32 v104, v104, v47, vcc
	s_waitcnt lgkmcnt(0)
	v_mul_f32_e32 v104, v104, v105
	s_cbranch_execz .LBB22_133
	s_branch .LBB22_134
.LBB22_132:
                                        ; implicit-def: $vgpr104
.LBB22_133:
	ds_read_b32 v104, v103
.LBB22_134:
	s_and_saveexec_b64 s[6:7], s[0:1]
	s_cbranch_execz .LBB22_144
; %bb.135:
	v_add_u32_e32 v105, -14, v0
	v_add_u32_e32 v106, -13, v0
	v_cmp_lt_u32_e32 vcc, 6, v105
	v_mov_b32_e32 v105, 13
	s_and_saveexec_b64 s[0:1], vcc
	s_cbranch_execz .LBB22_139
; %bb.136:
	v_and_b32_e32 v105, -8, v106
	v_sub_u32_e32 v107, 0, v105
	s_mov_b64 s[8:9], 20
	s_movk_i32 s12, 0x94
	s_mov_b64 s[10:11], 0
.LBB22_137:                             ; =>This Inner Loop Header: Depth=1
	s_add_i32 s13, s8, -7
	v_mov_b32_e32 v105, s12
	s_add_i32 s14, s8, -6
	s_set_gpr_idx_on s13, gpr_idx(SRC0)
	v_mov_b32_e32 v114, v25
	s_set_gpr_idx_off
	ds_read2_b32 v[108:109], v105 offset1:1
	s_add_i32 s15, s8, -5
	s_set_gpr_idx_on s14, gpr_idx(SRC0)
	v_mov_b32_e32 v115, v25
	s_set_gpr_idx_off
	s_add_i32 s16, s8, -4
	s_set_gpr_idx_on s15, gpr_idx(SRC0)
	v_mov_b32_e32 v116, v25
	s_set_gpr_idx_off
	ds_read2_b32 v[110:111], v105 offset0:2 offset1:3
	s_add_i32 s17, s8, -3
	s_set_gpr_idx_on s16, gpr_idx(SRC0)
	v_mov_b32_e32 v117, v25
	s_set_gpr_idx_off
	s_add_i32 s18, s8, -2
	s_set_gpr_idx_on s17, gpr_idx(SRC0)
	v_mov_b32_e32 v118, v25
	s_set_gpr_idx_off
	ds_read2_b32 v[112:113], v105 offset0:4 offset1:5
	s_add_i32 s19, s8, -1
	s_waitcnt lgkmcnt(2)
	v_fmac_f32_e32 v104, v114, v108
	s_set_gpr_idx_on s18, gpr_idx(SRC0)
	v_mov_b32_e32 v114, v25
	s_set_gpr_idx_off
	v_fmac_f32_e32 v104, v115, v109
	s_set_gpr_idx_on s19, gpr_idx(SRC0)
	v_mov_b32_e32 v115, v25
	s_set_gpr_idx_off
	ds_read2_b32 v[108:109], v105 offset0:6 offset1:7
	s_waitcnt lgkmcnt(2)
	v_fmac_f32_e32 v104, v116, v110
	s_set_gpr_idx_on s8, gpr_idx(SRC0)
	v_mov_b32_e32 v110, v25
	s_set_gpr_idx_off
	v_fmac_f32_e32 v104, v117, v111
	s_add_u32 s8, s8, 8
	s_waitcnt lgkmcnt(1)
	v_fmac_f32_e32 v104, v118, v112
	v_add_u32_e32 v105, s8, v107
	v_fmac_f32_e32 v104, v114, v113
	s_addc_u32 s9, s9, 0
	s_add_i32 s12, s12, 32
	s_add_i32 s13, s8, -7
	v_cmp_eq_u32_e32 vcc, 20, v105
	s_waitcnt lgkmcnt(0)
	v_fmac_f32_e32 v104, v115, v108
	v_mov_b32_e32 v105, s13
	s_or_b64 s[10:11], vcc, s[10:11]
	v_fmac_f32_e32 v104, v110, v109
	s_andn2_b64 exec, exec, s[10:11]
	s_cbranch_execnz .LBB22_137
; %bb.138:
	s_or_b64 exec, exec, s[10:11]
.LBB22_139:
	s_or_b64 exec, exec, s[0:1]
	v_and_b32_e32 v48, 7, v106
	v_cmp_ne_u32_e32 vcc, 0, v48
	s_and_saveexec_b64 s[8:9], vcc
	s_cbranch_execz .LBB22_143
; %bb.140:
	v_mov_b32_e32 v49, 0x60
	v_lshl_add_u32 v49, v105, 2, v49
	v_mov_b32_e32 v50, 0
	s_mov_b64 s[10:11], 0
.LBB22_141:                             ; =>This Inner Loop Header: Depth=1
	v_cmp_eq_u32_e32 vcc, 1, v105
	v_cndmask_b32_e32 v51, v25, v26, vcc
	v_add_u32_e32 v48, -1, v48
	v_cmp_eq_u32_e32 vcc, 2, v105
	v_cndmask_b32_e32 v51, v51, v27, vcc
	v_cmp_eq_u32_e32 vcc, 0, v48
	v_cmp_eq_u32_e64 s[0:1], 3, v105
	v_cndmask_b32_e64 v51, v51, v28, s[0:1]
	s_or_b64 s[10:11], vcc, s[10:11]
	v_cmp_eq_u32_e32 vcc, 4, v105
	v_cndmask_b32_e32 v51, v51, v29, vcc
	v_cmp_eq_u32_e32 vcc, 5, v105
	v_cndmask_b32_e32 v51, v51, v30, vcc
	;; [unrolled: 2-line block ×14, first 2 shown]
	v_cmp_eq_u32_e32 vcc, 18, v105
	ds_read_b32 v52, v49
	v_cndmask_b32_e32 v51, v51, v43, vcc
	v_cmp_eq_u32_e32 vcc, 19, v105
	v_cndmask_b32_e32 v51, v51, v44, vcc
	v_cmp_eq_u32_e32 vcc, 20, v105
	v_cndmask_b32_e32 v51, v51, v45, vcc
	v_cmp_eq_u32_e32 vcc, 21, v105
	v_cndmask_b32_e32 v51, v51, v46, vcc
	v_cmp_eq_u32_e32 vcc, 22, v105
	v_add_co_u32_e64 v105, s[0:1], 1, v105
	v_cndmask_b32_e32 v51, v51, v47, vcc
	v_add_u32_e32 v49, 4, v49
	v_addc_co_u32_e64 v50, s[0:1], 0, v50, s[0:1]
	s_waitcnt lgkmcnt(0)
	v_fmac_f32_e32 v104, v51, v52
	s_andn2_b64 exec, exec, s[10:11]
	s_cbranch_execnz .LBB22_141
; %bb.142:
	s_or_b64 exec, exec, s[10:11]
.LBB22_143:
	s_or_b64 exec, exec, s[8:9]
.LBB22_144:
	s_or_b64 exec, exec, s[6:7]
	v_mov_b32_e32 v37, 0
	ds_read_b32 v37, v37 offset:48
	s_waitcnt lgkmcnt(0)
	v_mul_f32_e32 v37, v104, v37
.LBB22_145:
	s_or_b64 exec, exec, s[4:5]
	v_cmp_lt_u32_e64 s[0:1], 11, v0
	ds_write_b32 v103, v36
	s_waitcnt lgkmcnt(0)
	; wave barrier
	s_and_saveexec_b64 s[4:5], s[0:1]
	s_cbranch_execz .LBB22_161
; %bb.146:
	s_andn2_b64 vcc, exec, s[50:51]
	s_cbranch_vccnz .LBB22_148
; %bb.147:
	v_cmp_eq_u32_e32 vcc, 1, v0
	v_cndmask_b32_e32 v104, v25, v26, vcc
	v_cmp_eq_u32_e32 vcc, 2, v0
	v_cndmask_b32_e32 v104, v104, v27, vcc
	;; [unrolled: 2-line block ×18, first 2 shown]
	v_cmp_eq_u32_e32 vcc, 19, v0
	ds_read_b32 v105, v103
	v_cndmask_b32_e32 v104, v104, v44, vcc
	v_cmp_eq_u32_e32 vcc, 20, v0
	v_cndmask_b32_e32 v104, v104, v45, vcc
	v_cmp_eq_u32_e32 vcc, 21, v0
	;; [unrolled: 2-line block ×3, first 2 shown]
	v_cndmask_b32_e32 v104, v104, v47, vcc
	s_waitcnt lgkmcnt(0)
	v_mul_f32_e32 v104, v104, v105
	s_cbranch_execz .LBB22_149
	s_branch .LBB22_150
.LBB22_148:
                                        ; implicit-def: $vgpr104
.LBB22_149:
	ds_read_b32 v104, v103
.LBB22_150:
	s_and_saveexec_b64 s[6:7], s[2:3]
	s_cbranch_execz .LBB22_160
; %bb.151:
	v_add_u32_e32 v105, -13, v0
	v_add_u32_e32 v106, -12, v0
	v_cmp_lt_u32_e32 vcc, 6, v105
	v_mov_b32_e32 v105, 12
	s_and_saveexec_b64 s[2:3], vcc
	s_cbranch_execz .LBB22_155
; %bb.152:
	v_and_b32_e32 v105, -8, v106
	v_sub_u32_e32 v107, 0, v105
	s_mov_b64 s[8:9], 19
	s_movk_i32 s12, 0x90
	s_mov_b64 s[10:11], 0
.LBB22_153:                             ; =>This Inner Loop Header: Depth=1
	s_add_i32 s13, s8, -7
	v_mov_b32_e32 v112, s12
	s_set_gpr_idx_on s13, gpr_idx(SRC0)
	v_mov_b32_e32 v105, v25
	s_set_gpr_idx_off
	ds_read_b128 v[108:111], v112
	ds_read_b128 v[112:115], v112 offset:16
	s_add_i32 s13, s8, -6
	s_waitcnt lgkmcnt(1)
	v_fmac_f32_e32 v104, v105, v108
	s_set_gpr_idx_on s13, gpr_idx(SRC0)
	v_mov_b32_e32 v105, v25
	s_set_gpr_idx_off
	s_add_i32 s13, s8, -5
	v_fmac_f32_e32 v104, v105, v109
	s_set_gpr_idx_on s13, gpr_idx(SRC0)
	v_mov_b32_e32 v105, v25
	s_set_gpr_idx_off
	s_add_i32 s13, s8, -4
	;; [unrolled: 5-line block ×4, first 2 shown]
	s_waitcnt lgkmcnt(0)
	v_fmac_f32_e32 v104, v105, v112
	s_set_gpr_idx_on s13, gpr_idx(SRC0)
	v_mov_b32_e32 v105, v25
	s_set_gpr_idx_off
	s_add_i32 s13, s8, -1
	v_fmac_f32_e32 v104, v105, v113
	s_set_gpr_idx_on s13, gpr_idx(SRC0)
	v_mov_b32_e32 v105, v25
	s_set_gpr_idx_off
	v_fmac_f32_e32 v104, v105, v114
	s_set_gpr_idx_on s8, gpr_idx(SRC0)
	v_mov_b32_e32 v105, v25
	s_set_gpr_idx_off
	s_add_u32 s8, s8, 8
	v_fmac_f32_e32 v104, v105, v115
	v_add_u32_e32 v105, s8, v107
	s_addc_u32 s9, s9, 0
	s_add_i32 s12, s12, 32
	v_cmp_eq_u32_e32 vcc, 19, v105
	s_add_i32 s13, s8, -7
	s_or_b64 s[10:11], vcc, s[10:11]
	v_mov_b32_e32 v105, s13
	s_andn2_b64 exec, exec, s[10:11]
	s_cbranch_execnz .LBB22_153
; %bb.154:
	s_or_b64 exec, exec, s[10:11]
.LBB22_155:
	s_or_b64 exec, exec, s[2:3]
	v_and_b32_e32 v48, 7, v106
	v_cmp_ne_u32_e32 vcc, 0, v48
	s_and_saveexec_b64 s[8:9], vcc
	s_cbranch_execz .LBB22_159
; %bb.156:
	v_mov_b32_e32 v49, 0x60
	v_lshl_add_u32 v49, v105, 2, v49
	v_mov_b32_e32 v50, 0
	s_mov_b64 s[10:11], 0
.LBB22_157:                             ; =>This Inner Loop Header: Depth=1
	v_cmp_eq_u32_e32 vcc, 1, v105
	v_cndmask_b32_e32 v51, v25, v26, vcc
	v_add_u32_e32 v48, -1, v48
	v_cmp_eq_u32_e32 vcc, 2, v105
	v_cndmask_b32_e32 v51, v51, v27, vcc
	v_cmp_eq_u32_e32 vcc, 0, v48
	v_cmp_eq_u32_e64 s[2:3], 3, v105
	v_cndmask_b32_e64 v51, v51, v28, s[2:3]
	s_or_b64 s[10:11], vcc, s[10:11]
	v_cmp_eq_u32_e32 vcc, 4, v105
	v_cndmask_b32_e32 v51, v51, v29, vcc
	v_cmp_eq_u32_e32 vcc, 5, v105
	v_cndmask_b32_e32 v51, v51, v30, vcc
	;; [unrolled: 2-line block ×14, first 2 shown]
	v_cmp_eq_u32_e32 vcc, 18, v105
	ds_read_b32 v52, v49
	v_cndmask_b32_e32 v51, v51, v43, vcc
	v_cmp_eq_u32_e32 vcc, 19, v105
	v_cndmask_b32_e32 v51, v51, v44, vcc
	v_cmp_eq_u32_e32 vcc, 20, v105
	;; [unrolled: 2-line block ×4, first 2 shown]
	v_add_co_u32_e64 v105, s[2:3], 1, v105
	v_cndmask_b32_e32 v51, v51, v47, vcc
	v_add_u32_e32 v49, 4, v49
	v_addc_co_u32_e64 v50, s[2:3], 0, v50, s[2:3]
	s_waitcnt lgkmcnt(0)
	v_fmac_f32_e32 v104, v51, v52
	s_andn2_b64 exec, exec, s[10:11]
	s_cbranch_execnz .LBB22_157
; %bb.158:
	s_or_b64 exec, exec, s[10:11]
.LBB22_159:
	s_or_b64 exec, exec, s[8:9]
.LBB22_160:
	s_or_b64 exec, exec, s[6:7]
	v_mov_b32_e32 v36, 0
	ds_read_b32 v36, v36 offset:44
	s_waitcnt lgkmcnt(0)
	v_mul_f32_e32 v36, v104, v36
.LBB22_161:
	s_or_b64 exec, exec, s[4:5]
	v_cmp_lt_u32_e64 s[2:3], 10, v0
	ds_write_b32 v103, v35
	s_waitcnt lgkmcnt(0)
	; wave barrier
	s_and_saveexec_b64 s[4:5], s[2:3]
	s_cbranch_execz .LBB22_177
; %bb.162:
	s_andn2_b64 vcc, exec, s[50:51]
	s_cbranch_vccnz .LBB22_164
; %bb.163:
	v_cmp_eq_u32_e32 vcc, 1, v0
	v_cndmask_b32_e32 v104, v25, v26, vcc
	v_cmp_eq_u32_e32 vcc, 2, v0
	v_cndmask_b32_e32 v104, v104, v27, vcc
	;; [unrolled: 2-line block ×18, first 2 shown]
	v_cmp_eq_u32_e32 vcc, 19, v0
	ds_read_b32 v105, v103
	v_cndmask_b32_e32 v104, v104, v44, vcc
	v_cmp_eq_u32_e32 vcc, 20, v0
	v_cndmask_b32_e32 v104, v104, v45, vcc
	v_cmp_eq_u32_e32 vcc, 21, v0
	;; [unrolled: 2-line block ×3, first 2 shown]
	v_cndmask_b32_e32 v104, v104, v47, vcc
	s_waitcnt lgkmcnt(0)
	v_mul_f32_e32 v104, v104, v105
	s_cbranch_execz .LBB22_165
	s_branch .LBB22_166
.LBB22_164:
                                        ; implicit-def: $vgpr104
.LBB22_165:
	ds_read_b32 v104, v103
.LBB22_166:
	s_and_saveexec_b64 s[6:7], s[0:1]
	s_cbranch_execz .LBB22_176
; %bb.167:
	v_add_u32_e32 v105, -12, v0
	v_add_u32_e32 v106, -11, v0
	v_cmp_lt_u32_e32 vcc, 6, v105
	v_mov_b32_e32 v105, 11
	s_and_saveexec_b64 s[0:1], vcc
	s_cbranch_execz .LBB22_171
; %bb.168:
	v_and_b32_e32 v105, -8, v106
	v_sub_u32_e32 v107, 0, v105
	s_mov_b64 s[8:9], 18
	s_movk_i32 s12, 0x8c
	s_mov_b64 s[10:11], 0
.LBB22_169:                             ; =>This Inner Loop Header: Depth=1
	s_add_i32 s13, s8, -7
	v_mov_b32_e32 v105, s12
	s_add_i32 s14, s8, -6
	s_set_gpr_idx_on s13, gpr_idx(SRC0)
	v_mov_b32_e32 v114, v25
	s_set_gpr_idx_off
	ds_read2_b32 v[108:109], v105 offset1:1
	s_add_i32 s15, s8, -5
	s_set_gpr_idx_on s14, gpr_idx(SRC0)
	v_mov_b32_e32 v115, v25
	s_set_gpr_idx_off
	s_add_i32 s16, s8, -4
	s_set_gpr_idx_on s15, gpr_idx(SRC0)
	v_mov_b32_e32 v116, v25
	s_set_gpr_idx_off
	ds_read2_b32 v[110:111], v105 offset0:2 offset1:3
	s_add_i32 s17, s8, -3
	s_set_gpr_idx_on s16, gpr_idx(SRC0)
	v_mov_b32_e32 v117, v25
	s_set_gpr_idx_off
	s_add_i32 s18, s8, -2
	s_set_gpr_idx_on s17, gpr_idx(SRC0)
	v_mov_b32_e32 v118, v25
	s_set_gpr_idx_off
	ds_read2_b32 v[112:113], v105 offset0:4 offset1:5
	s_add_i32 s19, s8, -1
	s_waitcnt lgkmcnt(2)
	v_fmac_f32_e32 v104, v114, v108
	s_set_gpr_idx_on s18, gpr_idx(SRC0)
	v_mov_b32_e32 v114, v25
	s_set_gpr_idx_off
	v_fmac_f32_e32 v104, v115, v109
	s_set_gpr_idx_on s19, gpr_idx(SRC0)
	v_mov_b32_e32 v115, v25
	s_set_gpr_idx_off
	ds_read2_b32 v[108:109], v105 offset0:6 offset1:7
	s_waitcnt lgkmcnt(2)
	v_fmac_f32_e32 v104, v116, v110
	s_set_gpr_idx_on s8, gpr_idx(SRC0)
	v_mov_b32_e32 v110, v25
	s_set_gpr_idx_off
	v_fmac_f32_e32 v104, v117, v111
	s_add_u32 s8, s8, 8
	s_waitcnt lgkmcnt(1)
	v_fmac_f32_e32 v104, v118, v112
	v_add_u32_e32 v105, s8, v107
	v_fmac_f32_e32 v104, v114, v113
	s_addc_u32 s9, s9, 0
	s_add_i32 s12, s12, 32
	s_add_i32 s13, s8, -7
	v_cmp_eq_u32_e32 vcc, 18, v105
	s_waitcnt lgkmcnt(0)
	v_fmac_f32_e32 v104, v115, v108
	v_mov_b32_e32 v105, s13
	s_or_b64 s[10:11], vcc, s[10:11]
	v_fmac_f32_e32 v104, v110, v109
	s_andn2_b64 exec, exec, s[10:11]
	s_cbranch_execnz .LBB22_169
; %bb.170:
	s_or_b64 exec, exec, s[10:11]
.LBB22_171:
	s_or_b64 exec, exec, s[0:1]
	v_and_b32_e32 v48, 7, v106
	v_cmp_ne_u32_e32 vcc, 0, v48
	s_and_saveexec_b64 s[8:9], vcc
	s_cbranch_execz .LBB22_175
; %bb.172:
	v_mov_b32_e32 v49, 0x60
	v_lshl_add_u32 v49, v105, 2, v49
	v_mov_b32_e32 v50, 0
	s_mov_b64 s[10:11], 0
.LBB22_173:                             ; =>This Inner Loop Header: Depth=1
	v_cmp_eq_u32_e32 vcc, 1, v105
	v_cndmask_b32_e32 v51, v25, v26, vcc
	v_add_u32_e32 v48, -1, v48
	v_cmp_eq_u32_e32 vcc, 2, v105
	v_cndmask_b32_e32 v51, v51, v27, vcc
	v_cmp_eq_u32_e32 vcc, 0, v48
	v_cmp_eq_u32_e64 s[0:1], 3, v105
	v_cndmask_b32_e64 v51, v51, v28, s[0:1]
	s_or_b64 s[10:11], vcc, s[10:11]
	v_cmp_eq_u32_e32 vcc, 4, v105
	v_cndmask_b32_e32 v51, v51, v29, vcc
	v_cmp_eq_u32_e32 vcc, 5, v105
	v_cndmask_b32_e32 v51, v51, v30, vcc
	;; [unrolled: 2-line block ×14, first 2 shown]
	v_cmp_eq_u32_e32 vcc, 18, v105
	ds_read_b32 v52, v49
	v_cndmask_b32_e32 v51, v51, v43, vcc
	v_cmp_eq_u32_e32 vcc, 19, v105
	v_cndmask_b32_e32 v51, v51, v44, vcc
	v_cmp_eq_u32_e32 vcc, 20, v105
	;; [unrolled: 2-line block ×4, first 2 shown]
	v_add_co_u32_e64 v105, s[0:1], 1, v105
	v_cndmask_b32_e32 v51, v51, v47, vcc
	v_add_u32_e32 v49, 4, v49
	v_addc_co_u32_e64 v50, s[0:1], 0, v50, s[0:1]
	s_waitcnt lgkmcnt(0)
	v_fmac_f32_e32 v104, v51, v52
	s_andn2_b64 exec, exec, s[10:11]
	s_cbranch_execnz .LBB22_173
; %bb.174:
	s_or_b64 exec, exec, s[10:11]
.LBB22_175:
	s_or_b64 exec, exec, s[8:9]
.LBB22_176:
	s_or_b64 exec, exec, s[6:7]
	v_mov_b32_e32 v35, 0
	ds_read_b32 v35, v35 offset:40
	s_waitcnt lgkmcnt(0)
	v_mul_f32_e32 v35, v104, v35
.LBB22_177:
	s_or_b64 exec, exec, s[4:5]
	v_cmp_lt_u32_e64 s[0:1], 9, v0
	ds_write_b32 v103, v34
	s_waitcnt lgkmcnt(0)
	; wave barrier
	s_and_saveexec_b64 s[4:5], s[0:1]
	s_cbranch_execz .LBB22_193
; %bb.178:
	s_andn2_b64 vcc, exec, s[50:51]
	s_cbranch_vccnz .LBB22_180
; %bb.179:
	v_cmp_eq_u32_e32 vcc, 1, v0
	v_cndmask_b32_e32 v104, v25, v26, vcc
	v_cmp_eq_u32_e32 vcc, 2, v0
	v_cndmask_b32_e32 v104, v104, v27, vcc
	;; [unrolled: 2-line block ×18, first 2 shown]
	v_cmp_eq_u32_e32 vcc, 19, v0
	ds_read_b32 v105, v103
	v_cndmask_b32_e32 v104, v104, v44, vcc
	v_cmp_eq_u32_e32 vcc, 20, v0
	v_cndmask_b32_e32 v104, v104, v45, vcc
	v_cmp_eq_u32_e32 vcc, 21, v0
	;; [unrolled: 2-line block ×3, first 2 shown]
	v_cndmask_b32_e32 v104, v104, v47, vcc
	s_waitcnt lgkmcnt(0)
	v_mul_f32_e32 v104, v104, v105
	s_cbranch_execz .LBB22_181
	s_branch .LBB22_182
.LBB22_180:
                                        ; implicit-def: $vgpr104
.LBB22_181:
	ds_read_b32 v104, v103
.LBB22_182:
	s_and_saveexec_b64 s[6:7], s[2:3]
	s_cbranch_execz .LBB22_192
; %bb.183:
	v_add_u32_e32 v105, -11, v0
	v_add_u32_e32 v106, -10, v0
	v_cmp_lt_u32_e32 vcc, 6, v105
	v_mov_b32_e32 v105, 10
	s_and_saveexec_b64 s[2:3], vcc
	s_cbranch_execz .LBB22_187
; %bb.184:
	v_and_b32_e32 v105, -8, v106
	v_sub_u32_e32 v107, 0, v105
	s_mov_b64 s[8:9], 17
	s_movk_i32 s12, 0x88
	s_mov_b64 s[10:11], 0
.LBB22_185:                             ; =>This Inner Loop Header: Depth=1
	s_add_i32 s13, s8, -7
	v_mov_b32_e32 v112, s12
	s_set_gpr_idx_on s13, gpr_idx(SRC0)
	v_mov_b32_e32 v105, v25
	s_set_gpr_idx_off
	ds_read2_b64 v[108:111], v112 offset1:1
	s_add_i32 s13, s8, -6
	s_waitcnt lgkmcnt(0)
	v_fmac_f32_e32 v104, v105, v108
	s_set_gpr_idx_on s13, gpr_idx(SRC0)
	v_mov_b32_e32 v105, v25
	s_set_gpr_idx_off
	s_add_i32 s13, s8, -5
	v_fmac_f32_e32 v104, v105, v109
	s_set_gpr_idx_on s13, gpr_idx(SRC0)
	v_mov_b32_e32 v105, v25
	s_set_gpr_idx_off
	s_add_i32 s13, s8, -4
	;; [unrolled: 5-line block ×3, first 2 shown]
	v_fmac_f32_e32 v104, v105, v111
	s_set_gpr_idx_on s13, gpr_idx(SRC0)
	v_mov_b32_e32 v105, v25
	s_set_gpr_idx_off
	ds_read2_b64 v[108:111], v112 offset0:2 offset1:3
	s_add_i32 s13, s8, -2
	s_waitcnt lgkmcnt(0)
	v_fmac_f32_e32 v104, v105, v108
	s_set_gpr_idx_on s13, gpr_idx(SRC0)
	v_mov_b32_e32 v105, v25
	s_set_gpr_idx_off
	s_add_i32 s13, s8, -1
	v_fmac_f32_e32 v104, v105, v109
	s_set_gpr_idx_on s13, gpr_idx(SRC0)
	v_mov_b32_e32 v105, v25
	s_set_gpr_idx_off
	v_fmac_f32_e32 v104, v105, v110
	s_set_gpr_idx_on s8, gpr_idx(SRC0)
	v_mov_b32_e32 v105, v25
	s_set_gpr_idx_off
	s_add_u32 s8, s8, 8
	v_fmac_f32_e32 v104, v105, v111
	v_add_u32_e32 v105, s8, v107
	s_addc_u32 s9, s9, 0
	s_add_i32 s12, s12, 32
	v_cmp_eq_u32_e32 vcc, 17, v105
	s_add_i32 s13, s8, -7
	s_or_b64 s[10:11], vcc, s[10:11]
	v_mov_b32_e32 v105, s13
	s_andn2_b64 exec, exec, s[10:11]
	s_cbranch_execnz .LBB22_185
; %bb.186:
	s_or_b64 exec, exec, s[10:11]
.LBB22_187:
	s_or_b64 exec, exec, s[2:3]
	v_and_b32_e32 v48, 7, v106
	v_cmp_ne_u32_e32 vcc, 0, v48
	s_and_saveexec_b64 s[8:9], vcc
	s_cbranch_execz .LBB22_191
; %bb.188:
	v_mov_b32_e32 v49, 0x60
	v_lshl_add_u32 v49, v105, 2, v49
	v_mov_b32_e32 v50, 0
	s_mov_b64 s[10:11], 0
.LBB22_189:                             ; =>This Inner Loop Header: Depth=1
	v_cmp_eq_u32_e32 vcc, 1, v105
	v_cndmask_b32_e32 v51, v25, v26, vcc
	v_add_u32_e32 v48, -1, v48
	v_cmp_eq_u32_e32 vcc, 2, v105
	v_cndmask_b32_e32 v51, v51, v27, vcc
	v_cmp_eq_u32_e32 vcc, 0, v48
	v_cmp_eq_u32_e64 s[2:3], 3, v105
	v_cndmask_b32_e64 v51, v51, v28, s[2:3]
	s_or_b64 s[10:11], vcc, s[10:11]
	v_cmp_eq_u32_e32 vcc, 4, v105
	v_cndmask_b32_e32 v51, v51, v29, vcc
	v_cmp_eq_u32_e32 vcc, 5, v105
	v_cndmask_b32_e32 v51, v51, v30, vcc
	;; [unrolled: 2-line block ×14, first 2 shown]
	v_cmp_eq_u32_e32 vcc, 18, v105
	ds_read_b32 v52, v49
	v_cndmask_b32_e32 v51, v51, v43, vcc
	v_cmp_eq_u32_e32 vcc, 19, v105
	v_cndmask_b32_e32 v51, v51, v44, vcc
	v_cmp_eq_u32_e32 vcc, 20, v105
	;; [unrolled: 2-line block ×4, first 2 shown]
	v_add_co_u32_e64 v105, s[2:3], 1, v105
	v_cndmask_b32_e32 v51, v51, v47, vcc
	v_add_u32_e32 v49, 4, v49
	v_addc_co_u32_e64 v50, s[2:3], 0, v50, s[2:3]
	s_waitcnt lgkmcnt(0)
	v_fmac_f32_e32 v104, v51, v52
	s_andn2_b64 exec, exec, s[10:11]
	s_cbranch_execnz .LBB22_189
; %bb.190:
	s_or_b64 exec, exec, s[10:11]
.LBB22_191:
	s_or_b64 exec, exec, s[8:9]
.LBB22_192:
	s_or_b64 exec, exec, s[6:7]
	v_mov_b32_e32 v34, 0
	ds_read_b32 v34, v34 offset:36
	s_waitcnt lgkmcnt(0)
	v_mul_f32_e32 v34, v104, v34
.LBB22_193:
	s_or_b64 exec, exec, s[4:5]
	v_cmp_lt_u32_e64 s[2:3], 8, v0
	ds_write_b32 v103, v33
	s_waitcnt lgkmcnt(0)
	; wave barrier
	s_and_saveexec_b64 s[4:5], s[2:3]
	s_cbranch_execz .LBB22_209
; %bb.194:
	s_andn2_b64 vcc, exec, s[50:51]
	s_cbranch_vccnz .LBB22_196
; %bb.195:
	v_cmp_eq_u32_e32 vcc, 1, v0
	v_cndmask_b32_e32 v104, v25, v26, vcc
	v_cmp_eq_u32_e32 vcc, 2, v0
	v_cndmask_b32_e32 v104, v104, v27, vcc
	v_cmp_eq_u32_e32 vcc, 3, v0
	v_cndmask_b32_e32 v104, v104, v28, vcc
	v_cmp_eq_u32_e32 vcc, 4, v0
	v_cndmask_b32_e32 v104, v104, v29, vcc
	v_cmp_eq_u32_e32 vcc, 5, v0
	v_cndmask_b32_e32 v104, v104, v30, vcc
	v_cmp_eq_u32_e32 vcc, 6, v0
	v_cndmask_b32_e32 v104, v104, v31, vcc
	v_cmp_eq_u32_e32 vcc, 7, v0
	v_cndmask_b32_e32 v104, v104, v32, vcc
	v_cmp_eq_u32_e32 vcc, 8, v0
	v_cndmask_b32_e32 v104, v104, v33, vcc
	v_cmp_eq_u32_e32 vcc, 9, v0
	v_cndmask_b32_e32 v104, v104, v34, vcc
	v_cmp_eq_u32_e32 vcc, 10, v0
	v_cndmask_b32_e32 v104, v104, v35, vcc
	v_cmp_eq_u32_e32 vcc, 11, v0
	v_cndmask_b32_e32 v104, v104, v36, vcc
	v_cmp_eq_u32_e32 vcc, 12, v0
	v_cndmask_b32_e32 v104, v104, v37, vcc
	v_cmp_eq_u32_e32 vcc, 13, v0
	v_cndmask_b32_e32 v104, v104, v38, vcc
	v_cmp_eq_u32_e32 vcc, 14, v0
	v_cndmask_b32_e32 v104, v104, v39, vcc
	v_cmp_eq_u32_e32 vcc, 15, v0
	v_cndmask_b32_e32 v104, v104, v40, vcc
	v_cmp_eq_u32_e32 vcc, 16, v0
	v_cndmask_b32_e32 v104, v104, v41, vcc
	v_cmp_eq_u32_e32 vcc, 17, v0
	v_cndmask_b32_e32 v104, v104, v42, vcc
	v_cmp_eq_u32_e32 vcc, 18, v0
	v_cndmask_b32_e32 v104, v104, v43, vcc
	v_cmp_eq_u32_e32 vcc, 19, v0
	ds_read_b32 v105, v103
	v_cndmask_b32_e32 v104, v104, v44, vcc
	v_cmp_eq_u32_e32 vcc, 20, v0
	v_cndmask_b32_e32 v104, v104, v45, vcc
	v_cmp_eq_u32_e32 vcc, 21, v0
	;; [unrolled: 2-line block ×3, first 2 shown]
	v_cndmask_b32_e32 v104, v104, v47, vcc
	s_waitcnt lgkmcnt(0)
	v_mul_f32_e32 v104, v104, v105
	s_cbranch_execz .LBB22_197
	s_branch .LBB22_198
.LBB22_196:
                                        ; implicit-def: $vgpr104
.LBB22_197:
	ds_read_b32 v104, v103
.LBB22_198:
	s_and_saveexec_b64 s[6:7], s[0:1]
	s_cbranch_execz .LBB22_208
; %bb.199:
	v_add_u32_e32 v105, -10, v0
	v_add_u32_e32 v106, -9, v0
	v_cmp_lt_u32_e32 vcc, 6, v105
	v_mov_b32_e32 v105, 9
	s_and_saveexec_b64 s[0:1], vcc
	s_cbranch_execz .LBB22_203
; %bb.200:
	v_and_b32_e32 v105, -8, v106
	v_sub_u32_e32 v107, 0, v105
	s_mov_b64 s[8:9], 16
	s_movk_i32 s12, 0x84
	s_mov_b64 s[10:11], 0
.LBB22_201:                             ; =>This Inner Loop Header: Depth=1
	s_add_i32 s13, s8, -7
	v_mov_b32_e32 v105, s12
	s_add_i32 s14, s8, -6
	s_set_gpr_idx_on s13, gpr_idx(SRC0)
	v_mov_b32_e32 v114, v25
	s_set_gpr_idx_off
	ds_read2_b32 v[108:109], v105 offset1:1
	s_add_i32 s15, s8, -5
	s_set_gpr_idx_on s14, gpr_idx(SRC0)
	v_mov_b32_e32 v115, v25
	s_set_gpr_idx_off
	s_add_i32 s16, s8, -4
	s_set_gpr_idx_on s15, gpr_idx(SRC0)
	v_mov_b32_e32 v116, v25
	s_set_gpr_idx_off
	ds_read2_b32 v[110:111], v105 offset0:2 offset1:3
	s_add_i32 s17, s8, -3
	s_set_gpr_idx_on s16, gpr_idx(SRC0)
	v_mov_b32_e32 v117, v25
	s_set_gpr_idx_off
	s_add_i32 s18, s8, -2
	s_set_gpr_idx_on s17, gpr_idx(SRC0)
	v_mov_b32_e32 v118, v25
	s_set_gpr_idx_off
	ds_read2_b32 v[112:113], v105 offset0:4 offset1:5
	s_add_i32 s19, s8, -1
	s_waitcnt lgkmcnt(2)
	v_fmac_f32_e32 v104, v114, v108
	s_set_gpr_idx_on s18, gpr_idx(SRC0)
	v_mov_b32_e32 v114, v25
	s_set_gpr_idx_off
	v_fmac_f32_e32 v104, v115, v109
	s_set_gpr_idx_on s19, gpr_idx(SRC0)
	v_mov_b32_e32 v115, v25
	s_set_gpr_idx_off
	ds_read2_b32 v[108:109], v105 offset0:6 offset1:7
	s_waitcnt lgkmcnt(2)
	v_fmac_f32_e32 v104, v116, v110
	s_set_gpr_idx_on s8, gpr_idx(SRC0)
	v_mov_b32_e32 v110, v25
	s_set_gpr_idx_off
	v_fmac_f32_e32 v104, v117, v111
	s_add_u32 s8, s8, 8
	s_waitcnt lgkmcnt(1)
	v_fmac_f32_e32 v104, v118, v112
	v_add_u32_e32 v105, s8, v107
	v_fmac_f32_e32 v104, v114, v113
	s_addc_u32 s9, s9, 0
	s_add_i32 s12, s12, 32
	s_add_i32 s13, s8, -7
	v_cmp_eq_u32_e32 vcc, 16, v105
	s_waitcnt lgkmcnt(0)
	v_fmac_f32_e32 v104, v115, v108
	v_mov_b32_e32 v105, s13
	s_or_b64 s[10:11], vcc, s[10:11]
	v_fmac_f32_e32 v104, v110, v109
	s_andn2_b64 exec, exec, s[10:11]
	s_cbranch_execnz .LBB22_201
; %bb.202:
	s_or_b64 exec, exec, s[10:11]
.LBB22_203:
	s_or_b64 exec, exec, s[0:1]
	v_and_b32_e32 v48, 7, v106
	v_cmp_ne_u32_e32 vcc, 0, v48
	s_and_saveexec_b64 s[8:9], vcc
	s_cbranch_execz .LBB22_207
; %bb.204:
	v_mov_b32_e32 v49, 0x60
	v_lshl_add_u32 v49, v105, 2, v49
	v_mov_b32_e32 v50, 0
	s_mov_b64 s[10:11], 0
.LBB22_205:                             ; =>This Inner Loop Header: Depth=1
	v_cmp_eq_u32_e32 vcc, 1, v105
	v_cndmask_b32_e32 v51, v25, v26, vcc
	v_add_u32_e32 v48, -1, v48
	v_cmp_eq_u32_e32 vcc, 2, v105
	v_cndmask_b32_e32 v51, v51, v27, vcc
	v_cmp_eq_u32_e32 vcc, 0, v48
	v_cmp_eq_u32_e64 s[0:1], 3, v105
	v_cndmask_b32_e64 v51, v51, v28, s[0:1]
	s_or_b64 s[10:11], vcc, s[10:11]
	v_cmp_eq_u32_e32 vcc, 4, v105
	v_cndmask_b32_e32 v51, v51, v29, vcc
	v_cmp_eq_u32_e32 vcc, 5, v105
	v_cndmask_b32_e32 v51, v51, v30, vcc
	v_cmp_eq_u32_e32 vcc, 6, v105
	v_cndmask_b32_e32 v51, v51, v31, vcc
	v_cmp_eq_u32_e32 vcc, 7, v105
	v_cndmask_b32_e32 v51, v51, v32, vcc
	v_cmp_eq_u32_e32 vcc, 8, v105
	v_cndmask_b32_e32 v51, v51, v33, vcc
	v_cmp_eq_u32_e32 vcc, 9, v105
	v_cndmask_b32_e32 v51, v51, v34, vcc
	v_cmp_eq_u32_e32 vcc, 10, v105
	v_cndmask_b32_e32 v51, v51, v35, vcc
	v_cmp_eq_u32_e32 vcc, 11, v105
	v_cndmask_b32_e32 v51, v51, v36, vcc
	v_cmp_eq_u32_e32 vcc, 12, v105
	v_cndmask_b32_e32 v51, v51, v37, vcc
	v_cmp_eq_u32_e32 vcc, 13, v105
	v_cndmask_b32_e32 v51, v51, v38, vcc
	v_cmp_eq_u32_e32 vcc, 14, v105
	v_cndmask_b32_e32 v51, v51, v39, vcc
	v_cmp_eq_u32_e32 vcc, 15, v105
	v_cndmask_b32_e32 v51, v51, v40, vcc
	v_cmp_eq_u32_e32 vcc, 16, v105
	v_cndmask_b32_e32 v51, v51, v41, vcc
	v_cmp_eq_u32_e32 vcc, 17, v105
	v_cndmask_b32_e32 v51, v51, v42, vcc
	v_cmp_eq_u32_e32 vcc, 18, v105
	ds_read_b32 v52, v49
	v_cndmask_b32_e32 v51, v51, v43, vcc
	v_cmp_eq_u32_e32 vcc, 19, v105
	v_cndmask_b32_e32 v51, v51, v44, vcc
	v_cmp_eq_u32_e32 vcc, 20, v105
	;; [unrolled: 2-line block ×4, first 2 shown]
	v_add_co_u32_e64 v105, s[0:1], 1, v105
	v_cndmask_b32_e32 v51, v51, v47, vcc
	v_add_u32_e32 v49, 4, v49
	v_addc_co_u32_e64 v50, s[0:1], 0, v50, s[0:1]
	s_waitcnt lgkmcnt(0)
	v_fmac_f32_e32 v104, v51, v52
	s_andn2_b64 exec, exec, s[10:11]
	s_cbranch_execnz .LBB22_205
; %bb.206:
	s_or_b64 exec, exec, s[10:11]
.LBB22_207:
	s_or_b64 exec, exec, s[8:9]
.LBB22_208:
	s_or_b64 exec, exec, s[6:7]
	v_mov_b32_e32 v33, 0
	ds_read_b32 v33, v33 offset:32
	s_waitcnt lgkmcnt(0)
	v_mul_f32_e32 v33, v104, v33
.LBB22_209:
	s_or_b64 exec, exec, s[4:5]
	v_cmp_lt_u32_e64 s[0:1], 7, v0
	ds_write_b32 v103, v32
	s_waitcnt lgkmcnt(0)
	; wave barrier
	s_and_saveexec_b64 s[4:5], s[0:1]
	s_cbranch_execz .LBB22_225
; %bb.210:
	s_andn2_b64 vcc, exec, s[50:51]
	s_cbranch_vccnz .LBB22_212
; %bb.211:
	v_cmp_eq_u32_e32 vcc, 1, v0
	v_cndmask_b32_e32 v104, v25, v26, vcc
	v_cmp_eq_u32_e32 vcc, 2, v0
	v_cndmask_b32_e32 v104, v104, v27, vcc
	;; [unrolled: 2-line block ×18, first 2 shown]
	v_cmp_eq_u32_e32 vcc, 19, v0
	ds_read_b32 v105, v103
	v_cndmask_b32_e32 v104, v104, v44, vcc
	v_cmp_eq_u32_e32 vcc, 20, v0
	v_cndmask_b32_e32 v104, v104, v45, vcc
	v_cmp_eq_u32_e32 vcc, 21, v0
	;; [unrolled: 2-line block ×3, first 2 shown]
	v_cndmask_b32_e32 v104, v104, v47, vcc
	s_waitcnt lgkmcnt(0)
	v_mul_f32_e32 v104, v104, v105
	s_cbranch_execz .LBB22_213
	s_branch .LBB22_214
.LBB22_212:
                                        ; implicit-def: $vgpr104
.LBB22_213:
	ds_read_b32 v104, v103
.LBB22_214:
	s_and_saveexec_b64 s[6:7], s[2:3]
	s_cbranch_execz .LBB22_224
; %bb.215:
	v_add_u32_e32 v105, -9, v0
	v_cmp_lt_u32_e32 vcc, 6, v105
	v_mov_b32_e32 v105, 8
	s_and_saveexec_b64 s[2:3], vcc
	s_cbranch_execz .LBB22_219
; %bb.216:
	v_and_b32_e32 v105, 24, v0
	v_sub_u32_e32 v106, 0, v105
	s_mov_b64 s[8:9], 15
	s_movk_i32 s12, 0x80
	s_mov_b64 s[10:11], 0
.LBB22_217:                             ; =>This Inner Loop Header: Depth=1
	s_add_i32 s13, s8, -7
	v_mov_b32_e32 v105, s12
	s_add_i32 s14, s8, -6
	s_set_gpr_idx_on s13, gpr_idx(SRC0)
	v_mov_b32_e32 v115, v25
	s_set_gpr_idx_off
	s_add_i32 s15, s8, -5
	ds_read_b128 v[107:110], v105
	ds_read_b128 v[111:114], v105 offset:16
	s_set_gpr_idx_on s14, gpr_idx(SRC0)
	v_mov_b32_e32 v105, v25
	s_set_gpr_idx_off
	s_add_i32 s16, s8, -4
	s_set_gpr_idx_on s15, gpr_idx(SRC0)
	v_mov_b32_e32 v116, v25
	s_set_gpr_idx_off
	s_add_i32 s17, s8, -3
	;; [unrolled: 4-line block ×4, first 2 shown]
	s_waitcnt lgkmcnt(1)
	v_fmac_f32_e32 v104, v115, v107
	s_set_gpr_idx_on s18, gpr_idx(SRC0)
	v_mov_b32_e32 v107, v25
	s_set_gpr_idx_off
	v_fmac_f32_e32 v104, v105, v108
	s_set_gpr_idx_on s19, gpr_idx(SRC0)
	v_mov_b32_e32 v108, v25
	s_set_gpr_idx_off
	;; [unrolled: 4-line block ×3, first 2 shown]
	v_fmac_f32_e32 v104, v117, v110
	s_add_u32 s8, s8, 8
	s_waitcnt lgkmcnt(0)
	v_fmac_f32_e32 v104, v118, v111
	v_add_u32_e32 v105, s8, v106
	v_fmac_f32_e32 v104, v107, v112
	s_addc_u32 s9, s9, 0
	s_add_i32 s12, s12, 32
	s_add_i32 s13, s8, -7
	v_cmp_eq_u32_e32 vcc, 7, v105
	v_fmac_f32_e32 v104, v108, v113
	v_mov_b32_e32 v105, s13
	s_or_b64 s[10:11], vcc, s[10:11]
	v_fmac_f32_e32 v104, v109, v114
	s_andn2_b64 exec, exec, s[10:11]
	s_cbranch_execnz .LBB22_217
; %bb.218:
	s_or_b64 exec, exec, s[10:11]
.LBB22_219:
	s_or_b64 exec, exec, s[2:3]
	v_and_b32_e32 v48, 7, v0
	v_cmp_ne_u32_e32 vcc, 0, v48
	s_and_saveexec_b64 s[8:9], vcc
	s_cbranch_execz .LBB22_223
; %bb.220:
	v_mov_b32_e32 v49, 0x60
	v_lshl_add_u32 v49, v105, 2, v49
	v_mov_b32_e32 v50, 0
	s_mov_b64 s[10:11], 0
.LBB22_221:                             ; =>This Inner Loop Header: Depth=1
	v_cmp_eq_u32_e32 vcc, 1, v105
	v_cndmask_b32_e32 v51, v25, v26, vcc
	v_add_u32_e32 v48, -1, v48
	v_cmp_eq_u32_e32 vcc, 2, v105
	v_cndmask_b32_e32 v51, v51, v27, vcc
	v_cmp_eq_u32_e32 vcc, 0, v48
	v_cmp_eq_u32_e64 s[2:3], 3, v105
	v_cndmask_b32_e64 v51, v51, v28, s[2:3]
	s_or_b64 s[10:11], vcc, s[10:11]
	v_cmp_eq_u32_e32 vcc, 4, v105
	v_cndmask_b32_e32 v51, v51, v29, vcc
	v_cmp_eq_u32_e32 vcc, 5, v105
	v_cndmask_b32_e32 v51, v51, v30, vcc
	;; [unrolled: 2-line block ×14, first 2 shown]
	v_cmp_eq_u32_e32 vcc, 18, v105
	ds_read_b32 v52, v49
	v_cndmask_b32_e32 v51, v51, v43, vcc
	v_cmp_eq_u32_e32 vcc, 19, v105
	v_cndmask_b32_e32 v51, v51, v44, vcc
	v_cmp_eq_u32_e32 vcc, 20, v105
	;; [unrolled: 2-line block ×4, first 2 shown]
	v_add_co_u32_e64 v105, s[2:3], 1, v105
	v_cndmask_b32_e32 v51, v51, v47, vcc
	v_add_u32_e32 v49, 4, v49
	v_addc_co_u32_e64 v50, s[2:3], 0, v50, s[2:3]
	s_waitcnt lgkmcnt(0)
	v_fmac_f32_e32 v104, v51, v52
	s_andn2_b64 exec, exec, s[10:11]
	s_cbranch_execnz .LBB22_221
; %bb.222:
	s_or_b64 exec, exec, s[10:11]
.LBB22_223:
	s_or_b64 exec, exec, s[8:9]
.LBB22_224:
	s_or_b64 exec, exec, s[6:7]
	v_mov_b32_e32 v32, 0
	ds_read_b32 v32, v32 offset:28
	s_waitcnt lgkmcnt(0)
	v_mul_f32_e32 v32, v104, v32
.LBB22_225:
	s_or_b64 exec, exec, s[4:5]
	v_cmp_lt_u32_e64 s[2:3], 6, v0
	ds_write_b32 v103, v31
	s_waitcnt lgkmcnt(0)
	; wave barrier
	s_and_saveexec_b64 s[4:5], s[2:3]
	s_cbranch_execz .LBB22_241
; %bb.226:
	s_andn2_b64 vcc, exec, s[50:51]
	s_cbranch_vccnz .LBB22_228
; %bb.227:
	v_cmp_eq_u32_e32 vcc, 1, v0
	v_cndmask_b32_e32 v104, v25, v26, vcc
	v_cmp_eq_u32_e32 vcc, 2, v0
	v_cndmask_b32_e32 v104, v104, v27, vcc
	;; [unrolled: 2-line block ×18, first 2 shown]
	v_cmp_eq_u32_e32 vcc, 19, v0
	ds_read_b32 v105, v103
	v_cndmask_b32_e32 v104, v104, v44, vcc
	v_cmp_eq_u32_e32 vcc, 20, v0
	v_cndmask_b32_e32 v104, v104, v45, vcc
	v_cmp_eq_u32_e32 vcc, 21, v0
	;; [unrolled: 2-line block ×3, first 2 shown]
	v_cndmask_b32_e32 v104, v104, v47, vcc
	s_waitcnt lgkmcnt(0)
	v_mul_f32_e32 v104, v104, v105
	s_cbranch_execz .LBB22_229
	s_branch .LBB22_230
.LBB22_228:
                                        ; implicit-def: $vgpr104
.LBB22_229:
	ds_read_b32 v104, v103
.LBB22_230:
	s_and_saveexec_b64 s[6:7], s[0:1]
	s_cbranch_execz .LBB22_240
; %bb.231:
	v_add_u32_e32 v105, -8, v0
	v_add_u32_e32 v106, -7, v0
	v_cmp_lt_u32_e32 vcc, 6, v105
	v_mov_b32_e32 v105, 7
	s_and_saveexec_b64 s[0:1], vcc
	s_cbranch_execz .LBB22_235
; %bb.232:
	v_and_b32_e32 v105, -8, v106
	v_sub_u32_e32 v107, 0, v105
	s_mov_b64 s[8:9], 14
	s_movk_i32 s12, 0x7c
	s_mov_b64 s[10:11], 0
.LBB22_233:                             ; =>This Inner Loop Header: Depth=1
	s_add_i32 s13, s8, -7
	v_mov_b32_e32 v105, s12
	s_add_i32 s14, s8, -6
	s_set_gpr_idx_on s13, gpr_idx(SRC0)
	v_mov_b32_e32 v114, v25
	s_set_gpr_idx_off
	ds_read2_b32 v[108:109], v105 offset1:1
	s_add_i32 s15, s8, -5
	s_set_gpr_idx_on s14, gpr_idx(SRC0)
	v_mov_b32_e32 v115, v25
	s_set_gpr_idx_off
	s_add_i32 s16, s8, -4
	s_set_gpr_idx_on s15, gpr_idx(SRC0)
	v_mov_b32_e32 v116, v25
	s_set_gpr_idx_off
	ds_read2_b32 v[110:111], v105 offset0:2 offset1:3
	s_add_i32 s17, s8, -3
	s_set_gpr_idx_on s16, gpr_idx(SRC0)
	v_mov_b32_e32 v117, v25
	s_set_gpr_idx_off
	s_add_i32 s18, s8, -2
	s_set_gpr_idx_on s17, gpr_idx(SRC0)
	v_mov_b32_e32 v118, v25
	s_set_gpr_idx_off
	ds_read2_b32 v[112:113], v105 offset0:4 offset1:5
	s_add_i32 s19, s8, -1
	s_waitcnt lgkmcnt(2)
	v_fmac_f32_e32 v104, v114, v108
	s_set_gpr_idx_on s18, gpr_idx(SRC0)
	v_mov_b32_e32 v114, v25
	s_set_gpr_idx_off
	v_fmac_f32_e32 v104, v115, v109
	s_set_gpr_idx_on s19, gpr_idx(SRC0)
	v_mov_b32_e32 v115, v25
	s_set_gpr_idx_off
	ds_read2_b32 v[108:109], v105 offset0:6 offset1:7
	s_waitcnt lgkmcnt(2)
	v_fmac_f32_e32 v104, v116, v110
	s_set_gpr_idx_on s8, gpr_idx(SRC0)
	v_mov_b32_e32 v110, v25
	s_set_gpr_idx_off
	v_fmac_f32_e32 v104, v117, v111
	s_add_u32 s8, s8, 8
	s_waitcnt lgkmcnt(1)
	v_fmac_f32_e32 v104, v118, v112
	v_add_u32_e32 v105, s8, v107
	v_fmac_f32_e32 v104, v114, v113
	s_addc_u32 s9, s9, 0
	s_add_i32 s12, s12, 32
	s_add_i32 s13, s8, -7
	v_cmp_eq_u32_e32 vcc, 14, v105
	s_waitcnt lgkmcnt(0)
	v_fmac_f32_e32 v104, v115, v108
	v_mov_b32_e32 v105, s13
	s_or_b64 s[10:11], vcc, s[10:11]
	v_fmac_f32_e32 v104, v110, v109
	s_andn2_b64 exec, exec, s[10:11]
	s_cbranch_execnz .LBB22_233
; %bb.234:
	s_or_b64 exec, exec, s[10:11]
.LBB22_235:
	s_or_b64 exec, exec, s[0:1]
	v_and_b32_e32 v48, 7, v106
	v_cmp_ne_u32_e32 vcc, 0, v48
	s_and_saveexec_b64 s[8:9], vcc
	s_cbranch_execz .LBB22_239
; %bb.236:
	v_mov_b32_e32 v49, 0x60
	v_lshl_add_u32 v49, v105, 2, v49
	v_mov_b32_e32 v50, 0
	s_mov_b64 s[10:11], 0
.LBB22_237:                             ; =>This Inner Loop Header: Depth=1
	v_cmp_eq_u32_e32 vcc, 1, v105
	v_cndmask_b32_e32 v51, v25, v26, vcc
	v_add_u32_e32 v48, -1, v48
	v_cmp_eq_u32_e32 vcc, 2, v105
	v_cndmask_b32_e32 v51, v51, v27, vcc
	v_cmp_eq_u32_e32 vcc, 0, v48
	v_cmp_eq_u32_e64 s[0:1], 3, v105
	v_cndmask_b32_e64 v51, v51, v28, s[0:1]
	s_or_b64 s[10:11], vcc, s[10:11]
	v_cmp_eq_u32_e32 vcc, 4, v105
	v_cndmask_b32_e32 v51, v51, v29, vcc
	v_cmp_eq_u32_e32 vcc, 5, v105
	v_cndmask_b32_e32 v51, v51, v30, vcc
	;; [unrolled: 2-line block ×14, first 2 shown]
	v_cmp_eq_u32_e32 vcc, 18, v105
	ds_read_b32 v52, v49
	v_cndmask_b32_e32 v51, v51, v43, vcc
	v_cmp_eq_u32_e32 vcc, 19, v105
	v_cndmask_b32_e32 v51, v51, v44, vcc
	v_cmp_eq_u32_e32 vcc, 20, v105
	;; [unrolled: 2-line block ×4, first 2 shown]
	v_add_co_u32_e64 v105, s[0:1], 1, v105
	v_cndmask_b32_e32 v51, v51, v47, vcc
	v_add_u32_e32 v49, 4, v49
	v_addc_co_u32_e64 v50, s[0:1], 0, v50, s[0:1]
	s_waitcnt lgkmcnt(0)
	v_fmac_f32_e32 v104, v51, v52
	s_andn2_b64 exec, exec, s[10:11]
	s_cbranch_execnz .LBB22_237
; %bb.238:
	s_or_b64 exec, exec, s[10:11]
.LBB22_239:
	s_or_b64 exec, exec, s[8:9]
.LBB22_240:
	s_or_b64 exec, exec, s[6:7]
	v_mov_b32_e32 v31, 0
	ds_read_b32 v31, v31 offset:24
	s_waitcnt lgkmcnt(0)
	v_mul_f32_e32 v31, v104, v31
.LBB22_241:
	s_or_b64 exec, exec, s[4:5]
	v_cmp_lt_u32_e64 s[0:1], 5, v0
	ds_write_b32 v103, v30
	s_waitcnt lgkmcnt(0)
	; wave barrier
	s_and_saveexec_b64 s[4:5], s[0:1]
	s_cbranch_execz .LBB22_257
; %bb.242:
	s_andn2_b64 vcc, exec, s[50:51]
	s_cbranch_vccnz .LBB22_244
; %bb.243:
	v_cmp_eq_u32_e32 vcc, 1, v0
	v_cndmask_b32_e32 v104, v25, v26, vcc
	v_cmp_eq_u32_e32 vcc, 2, v0
	v_cndmask_b32_e32 v104, v104, v27, vcc
	;; [unrolled: 2-line block ×18, first 2 shown]
	v_cmp_eq_u32_e32 vcc, 19, v0
	ds_read_b32 v105, v103
	v_cndmask_b32_e32 v104, v104, v44, vcc
	v_cmp_eq_u32_e32 vcc, 20, v0
	v_cndmask_b32_e32 v104, v104, v45, vcc
	v_cmp_eq_u32_e32 vcc, 21, v0
	;; [unrolled: 2-line block ×3, first 2 shown]
	v_cndmask_b32_e32 v104, v104, v47, vcc
	s_waitcnt lgkmcnt(0)
	v_mul_f32_e32 v104, v104, v105
	s_cbranch_execz .LBB22_245
	s_branch .LBB22_246
.LBB22_244:
                                        ; implicit-def: $vgpr104
.LBB22_245:
	ds_read_b32 v104, v103
.LBB22_246:
	s_and_saveexec_b64 s[6:7], s[2:3]
	s_cbranch_execz .LBB22_256
; %bb.247:
	v_add_u32_e32 v107, -7, v0
	v_add_u32_e32 v106, -6, v0
	v_mov_b32_e32 v105, 6
	v_cmp_lt_u32_e32 vcc, 6, v107
	s_and_saveexec_b64 s[2:3], vcc
	s_cbranch_execz .LBB22_251
; %bb.248:
	v_and_b32_e32 v105, -8, v106
	v_sub_u32_e32 v107, 0, v105
	s_mov_b64 s[8:9], 13
	s_movk_i32 s12, 0x78
	s_mov_b64 s[10:11], 0
.LBB22_249:                             ; =>This Inner Loop Header: Depth=1
	s_add_i32 s13, s8, -7
	v_mov_b32_e32 v112, s12
	s_set_gpr_idx_on s13, gpr_idx(SRC0)
	v_mov_b32_e32 v105, v25
	s_set_gpr_idx_off
	ds_read2_b64 v[108:111], v112 offset1:1
	s_add_i32 s13, s8, -6
	s_waitcnt lgkmcnt(0)
	v_fmac_f32_e32 v104, v105, v108
	s_set_gpr_idx_on s13, gpr_idx(SRC0)
	v_mov_b32_e32 v105, v25
	s_set_gpr_idx_off
	s_add_i32 s13, s8, -5
	v_fmac_f32_e32 v104, v105, v109
	s_set_gpr_idx_on s13, gpr_idx(SRC0)
	v_mov_b32_e32 v105, v25
	s_set_gpr_idx_off
	s_add_i32 s13, s8, -4
	;; [unrolled: 5-line block ×3, first 2 shown]
	v_fmac_f32_e32 v104, v105, v111
	s_set_gpr_idx_on s13, gpr_idx(SRC0)
	v_mov_b32_e32 v105, v25
	s_set_gpr_idx_off
	ds_read2_b64 v[108:111], v112 offset0:2 offset1:3
	s_add_i32 s13, s8, -2
	s_waitcnt lgkmcnt(0)
	v_fmac_f32_e32 v104, v105, v108
	s_set_gpr_idx_on s13, gpr_idx(SRC0)
	v_mov_b32_e32 v105, v25
	s_set_gpr_idx_off
	s_add_i32 s13, s8, -1
	v_fmac_f32_e32 v104, v105, v109
	s_set_gpr_idx_on s13, gpr_idx(SRC0)
	v_mov_b32_e32 v105, v25
	s_set_gpr_idx_off
	v_fmac_f32_e32 v104, v105, v110
	s_set_gpr_idx_on s8, gpr_idx(SRC0)
	v_mov_b32_e32 v105, v25
	s_set_gpr_idx_off
	s_add_u32 s8, s8, 8
	v_fmac_f32_e32 v104, v105, v111
	v_add_u32_e32 v105, s8, v107
	s_addc_u32 s9, s9, 0
	s_add_i32 s12, s12, 32
	v_cmp_eq_u32_e32 vcc, 13, v105
	s_add_i32 s13, s8, -7
	s_or_b64 s[10:11], vcc, s[10:11]
	v_mov_b32_e32 v105, s13
	s_andn2_b64 exec, exec, s[10:11]
	s_cbranch_execnz .LBB22_249
; %bb.250:
	s_or_b64 exec, exec, s[10:11]
.LBB22_251:
	s_or_b64 exec, exec, s[2:3]
	v_and_b32_e32 v48, 7, v106
	v_cmp_ne_u32_e32 vcc, 0, v48
	s_and_saveexec_b64 s[8:9], vcc
	s_cbranch_execz .LBB22_255
; %bb.252:
	v_mov_b32_e32 v49, 0x60
	v_lshl_add_u32 v49, v105, 2, v49
	v_mov_b32_e32 v50, 0
	s_mov_b64 s[10:11], 0
.LBB22_253:                             ; =>This Inner Loop Header: Depth=1
	v_cmp_eq_u32_e32 vcc, 1, v105
	v_cndmask_b32_e32 v51, v25, v26, vcc
	v_add_u32_e32 v48, -1, v48
	v_cmp_eq_u32_e32 vcc, 2, v105
	v_cndmask_b32_e32 v51, v51, v27, vcc
	v_cmp_eq_u32_e32 vcc, 0, v48
	v_cmp_eq_u32_e64 s[2:3], 3, v105
	v_cndmask_b32_e64 v51, v51, v28, s[2:3]
	s_or_b64 s[10:11], vcc, s[10:11]
	v_cmp_eq_u32_e32 vcc, 4, v105
	v_cndmask_b32_e32 v51, v51, v29, vcc
	v_cmp_eq_u32_e32 vcc, 5, v105
	v_cndmask_b32_e32 v51, v51, v30, vcc
	;; [unrolled: 2-line block ×14, first 2 shown]
	v_cmp_eq_u32_e32 vcc, 18, v105
	ds_read_b32 v52, v49
	v_cndmask_b32_e32 v51, v51, v43, vcc
	v_cmp_eq_u32_e32 vcc, 19, v105
	v_cndmask_b32_e32 v51, v51, v44, vcc
	v_cmp_eq_u32_e32 vcc, 20, v105
	;; [unrolled: 2-line block ×4, first 2 shown]
	v_add_co_u32_e64 v105, s[2:3], 1, v105
	v_cndmask_b32_e32 v51, v51, v47, vcc
	v_add_u32_e32 v49, 4, v49
	v_addc_co_u32_e64 v50, s[2:3], 0, v50, s[2:3]
	s_waitcnt lgkmcnt(0)
	v_fmac_f32_e32 v104, v51, v52
	s_andn2_b64 exec, exec, s[10:11]
	s_cbranch_execnz .LBB22_253
; %bb.254:
	s_or_b64 exec, exec, s[10:11]
.LBB22_255:
	s_or_b64 exec, exec, s[8:9]
.LBB22_256:
	s_or_b64 exec, exec, s[6:7]
	v_mov_b32_e32 v30, 0
	ds_read_b32 v30, v30 offset:20
	s_waitcnt lgkmcnt(0)
	v_mul_f32_e32 v30, v104, v30
.LBB22_257:
	s_or_b64 exec, exec, s[4:5]
	v_cmp_lt_u32_e64 s[2:3], 4, v0
	ds_write_b32 v103, v29
	s_waitcnt lgkmcnt(0)
	; wave barrier
	s_and_saveexec_b64 s[4:5], s[2:3]
	s_cbranch_execz .LBB22_273
; %bb.258:
	s_andn2_b64 vcc, exec, s[50:51]
	s_cbranch_vccnz .LBB22_260
; %bb.259:
	v_cmp_eq_u32_e32 vcc, 1, v0
	v_cndmask_b32_e32 v104, v25, v26, vcc
	v_cmp_eq_u32_e32 vcc, 2, v0
	v_cndmask_b32_e32 v104, v104, v27, vcc
	;; [unrolled: 2-line block ×18, first 2 shown]
	v_cmp_eq_u32_e32 vcc, 19, v0
	ds_read_b32 v105, v103
	v_cndmask_b32_e32 v104, v104, v44, vcc
	v_cmp_eq_u32_e32 vcc, 20, v0
	v_cndmask_b32_e32 v104, v104, v45, vcc
	v_cmp_eq_u32_e32 vcc, 21, v0
	;; [unrolled: 2-line block ×3, first 2 shown]
	v_cndmask_b32_e32 v104, v104, v47, vcc
	s_waitcnt lgkmcnt(0)
	v_mul_f32_e32 v104, v104, v105
	s_cbranch_execz .LBB22_261
	s_branch .LBB22_262
.LBB22_260:
                                        ; implicit-def: $vgpr104
.LBB22_261:
	ds_read_b32 v104, v103
.LBB22_262:
	s_and_saveexec_b64 s[6:7], s[0:1]
	s_cbranch_execz .LBB22_272
; %bb.263:
	v_add_u32_e32 v105, -6, v0
	v_add_u32_e32 v106, -5, v0
	v_cmp_lt_u32_e32 vcc, 6, v105
	v_mov_b32_e32 v105, 5
	s_and_saveexec_b64 s[0:1], vcc
	s_cbranch_execz .LBB22_267
; %bb.264:
	v_and_b32_e32 v105, -8, v106
	v_sub_u32_e32 v107, 0, v105
	s_mov_b64 s[8:9], 12
	s_movk_i32 s12, 0x74
	s_mov_b64 s[10:11], 0
.LBB22_265:                             ; =>This Inner Loop Header: Depth=1
	s_add_i32 s13, s8, -7
	v_mov_b32_e32 v105, s12
	s_add_i32 s14, s8, -6
	s_set_gpr_idx_on s13, gpr_idx(SRC0)
	v_mov_b32_e32 v114, v25
	s_set_gpr_idx_off
	ds_read2_b32 v[108:109], v105 offset1:1
	s_add_i32 s15, s8, -5
	s_set_gpr_idx_on s14, gpr_idx(SRC0)
	v_mov_b32_e32 v115, v25
	s_set_gpr_idx_off
	s_add_i32 s16, s8, -4
	s_set_gpr_idx_on s15, gpr_idx(SRC0)
	v_mov_b32_e32 v116, v25
	s_set_gpr_idx_off
	ds_read2_b32 v[110:111], v105 offset0:2 offset1:3
	s_add_i32 s17, s8, -3
	s_set_gpr_idx_on s16, gpr_idx(SRC0)
	v_mov_b32_e32 v117, v25
	s_set_gpr_idx_off
	s_add_i32 s18, s8, -2
	s_set_gpr_idx_on s17, gpr_idx(SRC0)
	v_mov_b32_e32 v118, v25
	s_set_gpr_idx_off
	ds_read2_b32 v[112:113], v105 offset0:4 offset1:5
	s_add_i32 s19, s8, -1
	s_waitcnt lgkmcnt(2)
	v_fmac_f32_e32 v104, v114, v108
	s_set_gpr_idx_on s18, gpr_idx(SRC0)
	v_mov_b32_e32 v114, v25
	s_set_gpr_idx_off
	v_fmac_f32_e32 v104, v115, v109
	s_set_gpr_idx_on s19, gpr_idx(SRC0)
	v_mov_b32_e32 v115, v25
	s_set_gpr_idx_off
	ds_read2_b32 v[108:109], v105 offset0:6 offset1:7
	s_waitcnt lgkmcnt(2)
	v_fmac_f32_e32 v104, v116, v110
	s_set_gpr_idx_on s8, gpr_idx(SRC0)
	v_mov_b32_e32 v110, v25
	s_set_gpr_idx_off
	v_fmac_f32_e32 v104, v117, v111
	s_add_u32 s8, s8, 8
	s_waitcnt lgkmcnt(1)
	v_fmac_f32_e32 v104, v118, v112
	v_add_u32_e32 v105, s8, v107
	v_fmac_f32_e32 v104, v114, v113
	s_addc_u32 s9, s9, 0
	s_add_i32 s12, s12, 32
	s_add_i32 s13, s8, -7
	v_cmp_eq_u32_e32 vcc, 12, v105
	s_waitcnt lgkmcnt(0)
	v_fmac_f32_e32 v104, v115, v108
	v_mov_b32_e32 v105, s13
	s_or_b64 s[10:11], vcc, s[10:11]
	v_fmac_f32_e32 v104, v110, v109
	s_andn2_b64 exec, exec, s[10:11]
	s_cbranch_execnz .LBB22_265
; %bb.266:
	s_or_b64 exec, exec, s[10:11]
.LBB22_267:
	s_or_b64 exec, exec, s[0:1]
	v_and_b32_e32 v48, 7, v106
	v_cmp_ne_u32_e32 vcc, 0, v48
	s_and_saveexec_b64 s[8:9], vcc
	s_cbranch_execz .LBB22_271
; %bb.268:
	v_mov_b32_e32 v49, 0x60
	v_lshl_add_u32 v49, v105, 2, v49
	v_mov_b32_e32 v50, 0
	s_mov_b64 s[10:11], 0
.LBB22_269:                             ; =>This Inner Loop Header: Depth=1
	v_cmp_eq_u32_e32 vcc, 1, v105
	v_cndmask_b32_e32 v51, v25, v26, vcc
	v_add_u32_e32 v48, -1, v48
	v_cmp_eq_u32_e32 vcc, 2, v105
	v_cndmask_b32_e32 v51, v51, v27, vcc
	v_cmp_eq_u32_e32 vcc, 0, v48
	v_cmp_eq_u32_e64 s[0:1], 3, v105
	v_cndmask_b32_e64 v51, v51, v28, s[0:1]
	s_or_b64 s[10:11], vcc, s[10:11]
	v_cmp_eq_u32_e32 vcc, 4, v105
	v_cndmask_b32_e32 v51, v51, v29, vcc
	v_cmp_eq_u32_e32 vcc, 5, v105
	v_cndmask_b32_e32 v51, v51, v30, vcc
	;; [unrolled: 2-line block ×14, first 2 shown]
	v_cmp_eq_u32_e32 vcc, 18, v105
	ds_read_b32 v52, v49
	v_cndmask_b32_e32 v51, v51, v43, vcc
	v_cmp_eq_u32_e32 vcc, 19, v105
	v_cndmask_b32_e32 v51, v51, v44, vcc
	v_cmp_eq_u32_e32 vcc, 20, v105
	;; [unrolled: 2-line block ×4, first 2 shown]
	v_add_co_u32_e64 v105, s[0:1], 1, v105
	v_cndmask_b32_e32 v51, v51, v47, vcc
	v_add_u32_e32 v49, 4, v49
	v_addc_co_u32_e64 v50, s[0:1], 0, v50, s[0:1]
	s_waitcnt lgkmcnt(0)
	v_fmac_f32_e32 v104, v51, v52
	s_andn2_b64 exec, exec, s[10:11]
	s_cbranch_execnz .LBB22_269
; %bb.270:
	s_or_b64 exec, exec, s[10:11]
.LBB22_271:
	s_or_b64 exec, exec, s[8:9]
.LBB22_272:
	s_or_b64 exec, exec, s[6:7]
	v_mov_b32_e32 v29, 0
	ds_read_b32 v29, v29 offset:16
	s_waitcnt lgkmcnt(0)
	v_mul_f32_e32 v29, v104, v29
.LBB22_273:
	s_or_b64 exec, exec, s[4:5]
	v_cmp_lt_u32_e64 s[0:1], 3, v0
	ds_write_b32 v103, v28
	s_waitcnt lgkmcnt(0)
	; wave barrier
	s_and_saveexec_b64 s[4:5], s[0:1]
	s_cbranch_execz .LBB22_289
; %bb.274:
	s_andn2_b64 vcc, exec, s[50:51]
	s_cbranch_vccnz .LBB22_276
; %bb.275:
	v_cmp_eq_u32_e32 vcc, 1, v0
	v_cndmask_b32_e32 v104, v25, v26, vcc
	v_cmp_eq_u32_e32 vcc, 2, v0
	v_cndmask_b32_e32 v104, v104, v27, vcc
	;; [unrolled: 2-line block ×18, first 2 shown]
	v_cmp_eq_u32_e32 vcc, 19, v0
	ds_read_b32 v105, v103
	v_cndmask_b32_e32 v104, v104, v44, vcc
	v_cmp_eq_u32_e32 vcc, 20, v0
	v_cndmask_b32_e32 v104, v104, v45, vcc
	v_cmp_eq_u32_e32 vcc, 21, v0
	;; [unrolled: 2-line block ×3, first 2 shown]
	v_cndmask_b32_e32 v104, v104, v47, vcc
	s_waitcnt lgkmcnt(0)
	v_mul_f32_e32 v104, v104, v105
	s_cbranch_execz .LBB22_277
	s_branch .LBB22_278
.LBB22_276:
                                        ; implicit-def: $vgpr104
.LBB22_277:
	ds_read_b32 v104, v103
.LBB22_278:
	s_and_saveexec_b64 s[6:7], s[2:3]
	s_cbranch_execz .LBB22_288
; %bb.279:
	v_add_u32_e32 v105, -5, v0
	v_add_u32_e32 v106, -4, v0
	v_cmp_lt_u32_e32 vcc, 6, v105
	v_mov_b32_e32 v105, 4
	s_and_saveexec_b64 s[2:3], vcc
	s_cbranch_execz .LBB22_283
; %bb.280:
	v_and_b32_e32 v105, -8, v106
	v_sub_u32_e32 v107, 0, v105
	s_mov_b64 s[8:9], 5
	s_movk_i32 s12, 0x70
	s_mov_b64 s[10:11], 0
.LBB22_281:                             ; =>This Inner Loop Header: Depth=1
	s_add_i32 s13, s8, -1
	v_mov_b32_e32 v112, s12
	s_set_gpr_idx_on s13, gpr_idx(SRC0)
	v_mov_b32_e32 v105, v25
	s_set_gpr_idx_off
	ds_read_b128 v[108:111], v112
	ds_read_b128 v[112:115], v112 offset:16
	s_add_i32 s13, s8, 1
	s_waitcnt lgkmcnt(1)
	v_fmac_f32_e32 v104, v105, v108
	s_set_gpr_idx_on s8, gpr_idx(SRC0)
	v_mov_b32_e32 v105, v25
	s_set_gpr_idx_off
	v_fmac_f32_e32 v104, v105, v109
	s_set_gpr_idx_on s13, gpr_idx(SRC0)
	v_mov_b32_e32 v105, v25
	s_set_gpr_idx_off
	s_add_i32 s13, s8, 2
	v_fmac_f32_e32 v104, v105, v110
	s_set_gpr_idx_on s13, gpr_idx(SRC0)
	v_mov_b32_e32 v105, v25
	s_set_gpr_idx_off
	s_add_i32 s13, s8, 3
	;; [unrolled: 5-line block ×3, first 2 shown]
	s_waitcnt lgkmcnt(0)
	v_fmac_f32_e32 v104, v105, v112
	s_set_gpr_idx_on s13, gpr_idx(SRC0)
	v_mov_b32_e32 v105, v25
	s_set_gpr_idx_off
	s_add_i32 s13, s8, 5
	v_fmac_f32_e32 v104, v105, v113
	s_set_gpr_idx_on s13, gpr_idx(SRC0)
	v_mov_b32_e32 v105, v25
	s_set_gpr_idx_off
	s_add_i32 s13, s8, 6
	v_fmac_f32_e32 v104, v105, v114
	s_set_gpr_idx_on s13, gpr_idx(SRC0)
	v_mov_b32_e32 v105, v25
	s_set_gpr_idx_off
	s_add_u32 s8, s8, 8
	v_fmac_f32_e32 v104, v105, v115
	v_add_u32_e32 v105, s8, v107
	s_addc_u32 s9, s9, 0
	s_add_i32 s12, s12, 32
	v_cmp_eq_u32_e32 vcc, 5, v105
	s_add_i32 s13, s8, -1
	s_or_b64 s[10:11], vcc, s[10:11]
	v_mov_b32_e32 v105, s13
	s_andn2_b64 exec, exec, s[10:11]
	s_cbranch_execnz .LBB22_281
; %bb.282:
	s_or_b64 exec, exec, s[10:11]
.LBB22_283:
	s_or_b64 exec, exec, s[2:3]
	v_and_b32_e32 v48, 7, v106
	v_cmp_ne_u32_e32 vcc, 0, v48
	s_and_saveexec_b64 s[8:9], vcc
	s_cbranch_execz .LBB22_287
; %bb.284:
	v_mov_b32_e32 v49, 0x60
	v_lshl_add_u32 v49, v105, 2, v49
	v_mov_b32_e32 v50, 0
	s_mov_b64 s[10:11], 0
.LBB22_285:                             ; =>This Inner Loop Header: Depth=1
	v_cmp_eq_u32_e32 vcc, 1, v105
	v_cndmask_b32_e32 v51, v25, v26, vcc
	v_add_u32_e32 v48, -1, v48
	v_cmp_eq_u32_e32 vcc, 2, v105
	v_cndmask_b32_e32 v51, v51, v27, vcc
	v_cmp_eq_u32_e32 vcc, 0, v48
	v_cmp_eq_u32_e64 s[2:3], 3, v105
	v_cndmask_b32_e64 v51, v51, v28, s[2:3]
	s_or_b64 s[10:11], vcc, s[10:11]
	v_cmp_eq_u32_e32 vcc, 4, v105
	v_cndmask_b32_e32 v51, v51, v29, vcc
	v_cmp_eq_u32_e32 vcc, 5, v105
	v_cndmask_b32_e32 v51, v51, v30, vcc
	;; [unrolled: 2-line block ×14, first 2 shown]
	v_cmp_eq_u32_e32 vcc, 18, v105
	ds_read_b32 v52, v49
	v_cndmask_b32_e32 v51, v51, v43, vcc
	v_cmp_eq_u32_e32 vcc, 19, v105
	v_cndmask_b32_e32 v51, v51, v44, vcc
	v_cmp_eq_u32_e32 vcc, 20, v105
	;; [unrolled: 2-line block ×4, first 2 shown]
	v_add_co_u32_e64 v105, s[2:3], 1, v105
	v_cndmask_b32_e32 v51, v51, v47, vcc
	v_add_u32_e32 v49, 4, v49
	v_addc_co_u32_e64 v50, s[2:3], 0, v50, s[2:3]
	s_waitcnt lgkmcnt(0)
	v_fmac_f32_e32 v104, v51, v52
	s_andn2_b64 exec, exec, s[10:11]
	s_cbranch_execnz .LBB22_285
; %bb.286:
	s_or_b64 exec, exec, s[10:11]
.LBB22_287:
	s_or_b64 exec, exec, s[8:9]
.LBB22_288:
	s_or_b64 exec, exec, s[6:7]
	v_mov_b32_e32 v28, 0
	ds_read_b32 v28, v28 offset:12
	s_waitcnt lgkmcnt(0)
	v_mul_f32_e32 v28, v104, v28
.LBB22_289:
	s_or_b64 exec, exec, s[4:5]
	v_cmp_lt_u32_e64 s[2:3], 2, v0
	ds_write_b32 v103, v27
	s_waitcnt lgkmcnt(0)
	; wave barrier
	s_and_saveexec_b64 s[4:5], s[2:3]
	s_cbranch_execz .LBB22_305
; %bb.290:
	s_andn2_b64 vcc, exec, s[50:51]
	s_cbranch_vccnz .LBB22_292
; %bb.291:
	v_cmp_eq_u32_e32 vcc, 1, v0
	v_cndmask_b32_e32 v104, v25, v26, vcc
	v_cmp_eq_u32_e32 vcc, 2, v0
	v_cndmask_b32_e32 v104, v104, v27, vcc
	;; [unrolled: 2-line block ×18, first 2 shown]
	v_cmp_eq_u32_e32 vcc, 19, v0
	ds_read_b32 v105, v103
	v_cndmask_b32_e32 v104, v104, v44, vcc
	v_cmp_eq_u32_e32 vcc, 20, v0
	v_cndmask_b32_e32 v104, v104, v45, vcc
	v_cmp_eq_u32_e32 vcc, 21, v0
	;; [unrolled: 2-line block ×3, first 2 shown]
	v_cndmask_b32_e32 v104, v104, v47, vcc
	s_waitcnt lgkmcnt(0)
	v_mul_f32_e32 v104, v104, v105
	s_cbranch_execz .LBB22_293
	s_branch .LBB22_294
.LBB22_292:
                                        ; implicit-def: $vgpr104
.LBB22_293:
	ds_read_b32 v104, v103
.LBB22_294:
	s_and_saveexec_b64 s[6:7], s[0:1]
	s_cbranch_execz .LBB22_304
; %bb.295:
	v_add_u32_e32 v105, -4, v0
	v_add_u32_e32 v106, -3, v0
	v_cmp_lt_u32_e32 vcc, 6, v105
	v_mov_b32_e32 v105, 3
	s_and_saveexec_b64 s[0:1], vcc
	s_cbranch_execz .LBB22_299
; %bb.296:
	v_and_b32_e32 v105, -8, v106
	v_sub_u32_e32 v107, 0, v105
	s_mov_b64 s[8:9], 10
	s_movk_i32 s12, 0x6c
	s_mov_b64 s[10:11], 0
.LBB22_297:                             ; =>This Inner Loop Header: Depth=1
	s_add_i32 s13, s8, -7
	v_mov_b32_e32 v105, s12
	s_add_i32 s14, s8, -6
	s_set_gpr_idx_on s13, gpr_idx(SRC0)
	v_mov_b32_e32 v114, v25
	s_set_gpr_idx_off
	ds_read2_b32 v[108:109], v105 offset1:1
	s_add_i32 s15, s8, -5
	s_set_gpr_idx_on s14, gpr_idx(SRC0)
	v_mov_b32_e32 v115, v25
	s_set_gpr_idx_off
	s_add_i32 s16, s8, -4
	s_set_gpr_idx_on s15, gpr_idx(SRC0)
	v_mov_b32_e32 v116, v25
	s_set_gpr_idx_off
	ds_read2_b32 v[110:111], v105 offset0:2 offset1:3
	s_add_i32 s17, s8, -3
	s_set_gpr_idx_on s16, gpr_idx(SRC0)
	v_mov_b32_e32 v117, v25
	s_set_gpr_idx_off
	s_add_i32 s18, s8, -2
	s_set_gpr_idx_on s17, gpr_idx(SRC0)
	v_mov_b32_e32 v118, v25
	s_set_gpr_idx_off
	ds_read2_b32 v[112:113], v105 offset0:4 offset1:5
	s_add_i32 s19, s8, -1
	s_waitcnt lgkmcnt(2)
	v_fmac_f32_e32 v104, v114, v108
	s_set_gpr_idx_on s18, gpr_idx(SRC0)
	v_mov_b32_e32 v114, v25
	s_set_gpr_idx_off
	v_fmac_f32_e32 v104, v115, v109
	s_set_gpr_idx_on s19, gpr_idx(SRC0)
	v_mov_b32_e32 v115, v25
	s_set_gpr_idx_off
	ds_read2_b32 v[108:109], v105 offset0:6 offset1:7
	s_waitcnt lgkmcnt(2)
	v_fmac_f32_e32 v104, v116, v110
	s_set_gpr_idx_on s8, gpr_idx(SRC0)
	v_mov_b32_e32 v110, v25
	s_set_gpr_idx_off
	v_fmac_f32_e32 v104, v117, v111
	s_add_u32 s8, s8, 8
	s_waitcnt lgkmcnt(1)
	v_fmac_f32_e32 v104, v118, v112
	v_add_u32_e32 v105, s8, v107
	v_fmac_f32_e32 v104, v114, v113
	s_addc_u32 s9, s9, 0
	s_add_i32 s12, s12, 32
	s_add_i32 s13, s8, -7
	v_cmp_eq_u32_e32 vcc, 10, v105
	s_waitcnt lgkmcnt(0)
	v_fmac_f32_e32 v104, v115, v108
	v_mov_b32_e32 v105, s13
	s_or_b64 s[10:11], vcc, s[10:11]
	v_fmac_f32_e32 v104, v110, v109
	s_andn2_b64 exec, exec, s[10:11]
	s_cbranch_execnz .LBB22_297
; %bb.298:
	s_or_b64 exec, exec, s[10:11]
.LBB22_299:
	s_or_b64 exec, exec, s[0:1]
	v_and_b32_e32 v48, 7, v106
	v_cmp_ne_u32_e32 vcc, 0, v48
	s_and_saveexec_b64 s[8:9], vcc
	s_cbranch_execz .LBB22_303
; %bb.300:
	v_mov_b32_e32 v49, 0x60
	v_lshl_add_u32 v49, v105, 2, v49
	v_mov_b32_e32 v50, 0
	s_mov_b64 s[10:11], 0
.LBB22_301:                             ; =>This Inner Loop Header: Depth=1
	v_cmp_eq_u32_e32 vcc, 1, v105
	v_cndmask_b32_e32 v51, v25, v26, vcc
	v_add_u32_e32 v48, -1, v48
	v_cmp_eq_u32_e32 vcc, 2, v105
	v_cndmask_b32_e32 v51, v51, v27, vcc
	v_cmp_eq_u32_e32 vcc, 0, v48
	v_cmp_eq_u32_e64 s[0:1], 3, v105
	v_cndmask_b32_e64 v51, v51, v28, s[0:1]
	s_or_b64 s[10:11], vcc, s[10:11]
	v_cmp_eq_u32_e32 vcc, 4, v105
	v_cndmask_b32_e32 v51, v51, v29, vcc
	v_cmp_eq_u32_e32 vcc, 5, v105
	v_cndmask_b32_e32 v51, v51, v30, vcc
	;; [unrolled: 2-line block ×14, first 2 shown]
	v_cmp_eq_u32_e32 vcc, 18, v105
	ds_read_b32 v52, v49
	v_cndmask_b32_e32 v51, v51, v43, vcc
	v_cmp_eq_u32_e32 vcc, 19, v105
	v_cndmask_b32_e32 v51, v51, v44, vcc
	v_cmp_eq_u32_e32 vcc, 20, v105
	;; [unrolled: 2-line block ×4, first 2 shown]
	v_add_co_u32_e64 v105, s[0:1], 1, v105
	v_cndmask_b32_e32 v51, v51, v47, vcc
	v_add_u32_e32 v49, 4, v49
	v_addc_co_u32_e64 v50, s[0:1], 0, v50, s[0:1]
	s_waitcnt lgkmcnt(0)
	v_fmac_f32_e32 v104, v51, v52
	s_andn2_b64 exec, exec, s[10:11]
	s_cbranch_execnz .LBB22_301
; %bb.302:
	s_or_b64 exec, exec, s[10:11]
.LBB22_303:
	s_or_b64 exec, exec, s[8:9]
.LBB22_304:
	s_or_b64 exec, exec, s[6:7]
	v_mov_b32_e32 v27, 0
	ds_read_b32 v27, v27 offset:8
	s_waitcnt lgkmcnt(0)
	v_mul_f32_e32 v27, v104, v27
.LBB22_305:
	s_or_b64 exec, exec, s[4:5]
	v_cmp_lt_u32_e64 s[0:1], 1, v0
	ds_write_b32 v103, v26
	s_waitcnt lgkmcnt(0)
	; wave barrier
	s_and_saveexec_b64 s[4:5], s[0:1]
	s_cbranch_execz .LBB22_321
; %bb.306:
	s_andn2_b64 vcc, exec, s[50:51]
	s_cbranch_vccnz .LBB22_308
; %bb.307:
	v_cmp_eq_u32_e32 vcc, 1, v0
	v_cndmask_b32_e32 v104, v25, v26, vcc
	v_cmp_eq_u32_e32 vcc, 2, v0
	v_cndmask_b32_e32 v104, v104, v27, vcc
	;; [unrolled: 2-line block ×18, first 2 shown]
	v_cmp_eq_u32_e32 vcc, 19, v0
	ds_read_b32 v105, v103
	v_cndmask_b32_e32 v104, v104, v44, vcc
	v_cmp_eq_u32_e32 vcc, 20, v0
	v_cndmask_b32_e32 v104, v104, v45, vcc
	v_cmp_eq_u32_e32 vcc, 21, v0
	v_cndmask_b32_e32 v104, v104, v46, vcc
	v_cmp_eq_u32_e32 vcc, 22, v0
	v_cndmask_b32_e32 v104, v104, v47, vcc
	s_waitcnt lgkmcnt(0)
	v_mul_f32_e32 v104, v104, v105
	s_cbranch_execz .LBB22_309
	s_branch .LBB22_310
.LBB22_308:
                                        ; implicit-def: $vgpr104
.LBB22_309:
	ds_read_b32 v104, v103
.LBB22_310:
	s_and_saveexec_b64 s[6:7], s[2:3]
	s_cbranch_execz .LBB22_320
; %bb.311:
	v_add_u32_e32 v105, -3, v0
	v_add_u32_e32 v106, -2, v0
	v_cmp_lt_u32_e32 vcc, 6, v105
	v_mov_b32_e32 v105, 2
	s_and_saveexec_b64 s[2:3], vcc
	s_cbranch_execz .LBB22_315
; %bb.312:
	v_and_b32_e32 v105, -8, v106
	v_sub_u32_e32 v107, 0, v105
	s_mov_b64 s[8:9], 9
	s_movk_i32 s12, 0x68
	s_mov_b64 s[10:11], 0
.LBB22_313:                             ; =>This Inner Loop Header: Depth=1
	s_add_i32 s13, s8, -7
	v_mov_b32_e32 v112, s12
	s_set_gpr_idx_on s13, gpr_idx(SRC0)
	v_mov_b32_e32 v105, v25
	s_set_gpr_idx_off
	ds_read2_b64 v[108:111], v112 offset1:1
	s_add_i32 s13, s8, -6
	s_waitcnt lgkmcnt(0)
	v_fmac_f32_e32 v104, v105, v108
	s_set_gpr_idx_on s13, gpr_idx(SRC0)
	v_mov_b32_e32 v105, v25
	s_set_gpr_idx_off
	s_add_i32 s13, s8, -5
	v_fmac_f32_e32 v104, v105, v109
	s_set_gpr_idx_on s13, gpr_idx(SRC0)
	v_mov_b32_e32 v105, v25
	s_set_gpr_idx_off
	s_add_i32 s13, s8, -4
	;; [unrolled: 5-line block ×3, first 2 shown]
	v_fmac_f32_e32 v104, v105, v111
	s_set_gpr_idx_on s13, gpr_idx(SRC0)
	v_mov_b32_e32 v105, v25
	s_set_gpr_idx_off
	ds_read2_b64 v[108:111], v112 offset0:2 offset1:3
	s_add_i32 s13, s8, -2
	s_waitcnt lgkmcnt(0)
	v_fmac_f32_e32 v104, v105, v108
	s_set_gpr_idx_on s13, gpr_idx(SRC0)
	v_mov_b32_e32 v105, v25
	s_set_gpr_idx_off
	s_add_i32 s13, s8, -1
	v_fmac_f32_e32 v104, v105, v109
	s_set_gpr_idx_on s13, gpr_idx(SRC0)
	v_mov_b32_e32 v105, v25
	s_set_gpr_idx_off
	v_fmac_f32_e32 v104, v105, v110
	s_set_gpr_idx_on s8, gpr_idx(SRC0)
	v_mov_b32_e32 v105, v25
	s_set_gpr_idx_off
	s_add_u32 s8, s8, 8
	v_fmac_f32_e32 v104, v105, v111
	v_add_u32_e32 v105, s8, v107
	s_addc_u32 s9, s9, 0
	s_add_i32 s12, s12, 32
	v_cmp_eq_u32_e32 vcc, 9, v105
	s_add_i32 s13, s8, -7
	s_or_b64 s[10:11], vcc, s[10:11]
	v_mov_b32_e32 v105, s13
	s_andn2_b64 exec, exec, s[10:11]
	s_cbranch_execnz .LBB22_313
; %bb.314:
	s_or_b64 exec, exec, s[10:11]
.LBB22_315:
	s_or_b64 exec, exec, s[2:3]
	v_and_b32_e32 v48, 7, v106
	v_cmp_ne_u32_e32 vcc, 0, v48
	s_and_saveexec_b64 s[8:9], vcc
	s_cbranch_execz .LBB22_319
; %bb.316:
	v_mov_b32_e32 v49, 0x60
	v_lshl_add_u32 v49, v105, 2, v49
	v_mov_b32_e32 v50, 0
	s_mov_b64 s[10:11], 0
.LBB22_317:                             ; =>This Inner Loop Header: Depth=1
	v_cmp_eq_u32_e32 vcc, 1, v105
	v_cndmask_b32_e32 v51, v25, v26, vcc
	v_add_u32_e32 v48, -1, v48
	v_cmp_eq_u32_e32 vcc, 2, v105
	v_cndmask_b32_e32 v51, v51, v27, vcc
	v_cmp_eq_u32_e32 vcc, 0, v48
	v_cmp_eq_u32_e64 s[2:3], 3, v105
	v_cndmask_b32_e64 v51, v51, v28, s[2:3]
	s_or_b64 s[10:11], vcc, s[10:11]
	v_cmp_eq_u32_e32 vcc, 4, v105
	v_cndmask_b32_e32 v51, v51, v29, vcc
	v_cmp_eq_u32_e32 vcc, 5, v105
	v_cndmask_b32_e32 v51, v51, v30, vcc
	;; [unrolled: 2-line block ×14, first 2 shown]
	v_cmp_eq_u32_e32 vcc, 18, v105
	ds_read_b32 v52, v49
	v_cndmask_b32_e32 v51, v51, v43, vcc
	v_cmp_eq_u32_e32 vcc, 19, v105
	v_cndmask_b32_e32 v51, v51, v44, vcc
	v_cmp_eq_u32_e32 vcc, 20, v105
	;; [unrolled: 2-line block ×4, first 2 shown]
	v_add_co_u32_e64 v105, s[2:3], 1, v105
	v_cndmask_b32_e32 v51, v51, v47, vcc
	v_add_u32_e32 v49, 4, v49
	v_addc_co_u32_e64 v50, s[2:3], 0, v50, s[2:3]
	s_waitcnt lgkmcnt(0)
	v_fmac_f32_e32 v104, v51, v52
	s_andn2_b64 exec, exec, s[10:11]
	s_cbranch_execnz .LBB22_317
; %bb.318:
	s_or_b64 exec, exec, s[10:11]
.LBB22_319:
	s_or_b64 exec, exec, s[8:9]
.LBB22_320:
	s_or_b64 exec, exec, s[6:7]
	v_mov_b32_e32 v26, 0
	ds_read_b32 v26, v26 offset:4
	s_waitcnt lgkmcnt(0)
	v_mul_f32_e32 v26, v104, v26
.LBB22_321:
	s_or_b64 exec, exec, s[4:5]
	v_cmp_ne_u32_e32 vcc, 0, v0
	ds_write_b32 v103, v25
	s_waitcnt lgkmcnt(0)
	; wave barrier
	s_and_saveexec_b64 s[2:3], vcc
	s_cbranch_execz .LBB22_337
; %bb.322:
	s_andn2_b64 vcc, exec, s[50:51]
	s_cbranch_vccnz .LBB22_324
; %bb.323:
	v_cmp_eq_u32_e32 vcc, 1, v0
	v_cndmask_b32_e32 v104, v25, v26, vcc
	v_cmp_eq_u32_e32 vcc, 2, v0
	v_cndmask_b32_e32 v104, v104, v27, vcc
	;; [unrolled: 2-line block ×18, first 2 shown]
	v_cmp_eq_u32_e32 vcc, 19, v0
	ds_read_b32 v105, v103
	v_cndmask_b32_e32 v104, v104, v44, vcc
	v_cmp_eq_u32_e32 vcc, 20, v0
	v_cndmask_b32_e32 v104, v104, v45, vcc
	v_cmp_eq_u32_e32 vcc, 21, v0
	;; [unrolled: 2-line block ×3, first 2 shown]
	v_cndmask_b32_e32 v104, v104, v47, vcc
	s_waitcnt lgkmcnt(0)
	v_mul_f32_e32 v104, v104, v105
	s_cbranch_execz .LBB22_325
	s_branch .LBB22_326
.LBB22_324:
                                        ; implicit-def: $vgpr104
.LBB22_325:
	ds_read_b32 v104, v103
.LBB22_326:
	s_and_saveexec_b64 s[4:5], s[0:1]
	s_cbranch_execz .LBB22_336
; %bb.327:
	v_add_u32_e32 v105, -2, v0
	v_add_u32_e32 v106, -1, v0
	v_cmp_lt_u32_e32 vcc, 6, v105
	v_mov_b32_e32 v105, 1
	s_and_saveexec_b64 s[0:1], vcc
	s_cbranch_execz .LBB22_331
; %bb.328:
	v_and_b32_e32 v105, -8, v106
	v_sub_u32_e32 v107, 0, v105
	s_mov_b64 s[6:7], 8
	s_movk_i32 s10, 0x64
	s_mov_b64 s[8:9], 0
.LBB22_329:                             ; =>This Inner Loop Header: Depth=1
	s_add_i32 s11, s6, -7
	v_mov_b32_e32 v105, s10
	s_add_i32 s12, s6, -6
	s_set_gpr_idx_on s11, gpr_idx(SRC0)
	v_mov_b32_e32 v114, v25
	s_set_gpr_idx_off
	ds_read2_b32 v[108:109], v105 offset1:1
	s_add_i32 s13, s6, -5
	s_set_gpr_idx_on s12, gpr_idx(SRC0)
	v_mov_b32_e32 v115, v25
	s_set_gpr_idx_off
	s_add_i32 s14, s6, -4
	s_set_gpr_idx_on s13, gpr_idx(SRC0)
	v_mov_b32_e32 v116, v25
	s_set_gpr_idx_off
	ds_read2_b32 v[110:111], v105 offset0:2 offset1:3
	s_add_i32 s15, s6, -3
	s_set_gpr_idx_on s14, gpr_idx(SRC0)
	v_mov_b32_e32 v117, v25
	s_set_gpr_idx_off
	s_add_i32 s16, s6, -2
	s_set_gpr_idx_on s15, gpr_idx(SRC0)
	v_mov_b32_e32 v118, v25
	s_set_gpr_idx_off
	ds_read2_b32 v[112:113], v105 offset0:4 offset1:5
	s_add_i32 s17, s6, -1
	s_waitcnt lgkmcnt(2)
	v_fmac_f32_e32 v104, v114, v108
	s_set_gpr_idx_on s16, gpr_idx(SRC0)
	v_mov_b32_e32 v114, v25
	s_set_gpr_idx_off
	v_fmac_f32_e32 v104, v115, v109
	s_set_gpr_idx_on s17, gpr_idx(SRC0)
	v_mov_b32_e32 v115, v25
	s_set_gpr_idx_off
	ds_read2_b32 v[108:109], v105 offset0:6 offset1:7
	s_waitcnt lgkmcnt(2)
	v_fmac_f32_e32 v104, v116, v110
	s_set_gpr_idx_on s6, gpr_idx(SRC0)
	v_mov_b32_e32 v110, v25
	s_set_gpr_idx_off
	v_fmac_f32_e32 v104, v117, v111
	s_add_u32 s6, s6, 8
	s_waitcnt lgkmcnt(1)
	v_fmac_f32_e32 v104, v118, v112
	v_add_u32_e32 v105, s6, v107
	v_fmac_f32_e32 v104, v114, v113
	s_addc_u32 s7, s7, 0
	s_add_i32 s10, s10, 32
	s_add_i32 s11, s6, -7
	v_cmp_eq_u32_e32 vcc, 8, v105
	s_waitcnt lgkmcnt(0)
	v_fmac_f32_e32 v104, v115, v108
	v_mov_b32_e32 v105, s11
	s_or_b64 s[8:9], vcc, s[8:9]
	v_fmac_f32_e32 v104, v110, v109
	s_andn2_b64 exec, exec, s[8:9]
	s_cbranch_execnz .LBB22_329
; %bb.330:
	s_or_b64 exec, exec, s[8:9]
.LBB22_331:
	s_or_b64 exec, exec, s[0:1]
	v_and_b32_e32 v48, 7, v106
	v_cmp_ne_u32_e32 vcc, 0, v48
	s_and_saveexec_b64 s[6:7], vcc
	s_cbranch_execz .LBB22_335
; %bb.332:
	v_mov_b32_e32 v49, 0x60
	v_lshl_add_u32 v49, v105, 2, v49
	v_mov_b32_e32 v50, 0
	s_mov_b64 s[8:9], 0
.LBB22_333:                             ; =>This Inner Loop Header: Depth=1
	v_cmp_eq_u32_e32 vcc, 1, v105
	v_cndmask_b32_e32 v51, v25, v26, vcc
	v_add_u32_e32 v48, -1, v48
	v_cmp_eq_u32_e32 vcc, 2, v105
	v_cndmask_b32_e32 v51, v51, v27, vcc
	v_cmp_eq_u32_e32 vcc, 0, v48
	v_cmp_eq_u32_e64 s[0:1], 3, v105
	v_cndmask_b32_e64 v51, v51, v28, s[0:1]
	s_or_b64 s[8:9], vcc, s[8:9]
	v_cmp_eq_u32_e32 vcc, 4, v105
	v_cndmask_b32_e32 v51, v51, v29, vcc
	v_cmp_eq_u32_e32 vcc, 5, v105
	v_cndmask_b32_e32 v51, v51, v30, vcc
	;; [unrolled: 2-line block ×14, first 2 shown]
	v_cmp_eq_u32_e32 vcc, 18, v105
	ds_read_b32 v52, v49
	v_cndmask_b32_e32 v51, v51, v43, vcc
	v_cmp_eq_u32_e32 vcc, 19, v105
	v_cndmask_b32_e32 v51, v51, v44, vcc
	v_cmp_eq_u32_e32 vcc, 20, v105
	;; [unrolled: 2-line block ×4, first 2 shown]
	v_add_co_u32_e64 v105, s[0:1], 1, v105
	v_cndmask_b32_e32 v51, v51, v47, vcc
	v_add_u32_e32 v49, 4, v49
	v_addc_co_u32_e64 v50, s[0:1], 0, v50, s[0:1]
	s_waitcnt lgkmcnt(0)
	v_fmac_f32_e32 v104, v51, v52
	s_andn2_b64 exec, exec, s[8:9]
	s_cbranch_execnz .LBB22_333
; %bb.334:
	s_or_b64 exec, exec, s[8:9]
.LBB22_335:
	s_or_b64 exec, exec, s[6:7]
.LBB22_336:
	s_or_b64 exec, exec, s[4:5]
	v_mov_b32_e32 v25, 0
	ds_read_b32 v25, v25
	s_waitcnt lgkmcnt(0)
	v_mul_f32_e32 v25, v104, v25
.LBB22_337:
	s_or_b64 exec, exec, s[2:3]
	s_branch .LBB22_561
.LBB22_338:
	v_cmp_eq_u32_e64 s[2:3], 0, v0
	s_waitcnt vmcnt(22)
	ds_write_b32 v103, v3
	s_waitcnt lgkmcnt(0)
	; wave barrier
	s_and_saveexec_b64 s[0:1], s[2:3]
	s_cbranch_execz .LBB22_344
; %bb.339:
	s_and_b64 vcc, exec, s[50:51]
	s_cbranch_vccz .LBB22_341
; %bb.340:
	v_cmp_eq_u32_e32 vcc, 1, v0
	s_waitcnt vmcnt(6)
	v_cndmask_b32_e32 v3, v2, v3, vcc
	v_cmp_eq_u32_e32 vcc, 2, v0
	v_cndmask_b32_e32 v3, v3, v4, vcc
	v_cmp_eq_u32_e32 vcc, 3, v0
	;; [unrolled: 2-line block ×16, first 2 shown]
	s_waitcnt vmcnt(5)
	v_cndmask_b32_e32 v3, v3, v19, vcc
	v_cmp_eq_u32_e32 vcc, 18, v0
	s_waitcnt vmcnt(4)
	v_cndmask_b32_e32 v3, v3, v20, vcc
	v_cmp_eq_u32_e32 vcc, 19, v0
	ds_read_b32 v25, v103
	s_waitcnt vmcnt(3)
	v_cndmask_b32_e32 v3, v3, v21, vcc
	v_cmp_eq_u32_e32 vcc, 20, v0
	s_waitcnt vmcnt(2)
	v_cndmask_b32_e32 v3, v3, v22, vcc
	v_cmp_eq_u32_e32 vcc, 21, v0
	;; [unrolled: 3-line block ×3, first 2 shown]
	s_waitcnt vmcnt(0)
	v_cndmask_b32_e32 v3, v3, v24, vcc
	s_waitcnt lgkmcnt(0)
	v_mul_f32_e32 v3, v3, v25
	s_cbranch_execz .LBB22_342
	s_branch .LBB22_343
.LBB22_341:
                                        ; implicit-def: $vgpr3
.LBB22_342:
	ds_read_b32 v3, v103
.LBB22_343:
	v_mov_b32_e32 v25, 0
	ds_read_b32 v25, v25 offset:4
	s_waitcnt lgkmcnt(0)
	v_mul_f32_e32 v3, v3, v25
.LBB22_344:
	s_or_b64 exec, exec, s[0:1]
	v_cndmask_b32_e64 v25, 0, 1, s[50:51]
	v_cmp_gt_u32_e32 vcc, 2, v0
	v_cmp_ne_u32_e64 s[0:1], 1, v25
	s_waitcnt vmcnt(21)
	ds_write_b32 v103, v4
	s_waitcnt lgkmcnt(0)
	; wave barrier
	s_and_saveexec_b64 s[4:5], vcc
	s_cbranch_execz .LBB22_350
; %bb.345:
	s_and_b64 vcc, exec, s[0:1]
	s_cbranch_vccnz .LBB22_347
; %bb.346:
	v_cmp_eq_u32_e32 vcc, 1, v0
	s_waitcnt vmcnt(6)
	v_cndmask_b32_e32 v25, v2, v3, vcc
	v_cmp_eq_u32_e32 vcc, 2, v0
	v_cndmask_b32_e32 v4, v25, v4, vcc
	v_cmp_eq_u32_e32 vcc, 3, v0
	;; [unrolled: 2-line block ×16, first 2 shown]
	s_waitcnt vmcnt(5)
	v_cndmask_b32_e32 v4, v4, v19, vcc
	v_cmp_eq_u32_e32 vcc, 18, v0
	s_waitcnt vmcnt(4)
	v_cndmask_b32_e32 v4, v4, v20, vcc
	v_cmp_eq_u32_e32 vcc, 19, v0
	ds_read_b32 v25, v103
	s_waitcnt vmcnt(3)
	v_cndmask_b32_e32 v4, v4, v21, vcc
	v_cmp_eq_u32_e32 vcc, 20, v0
	s_waitcnt vmcnt(2)
	v_cndmask_b32_e32 v4, v4, v22, vcc
	v_cmp_eq_u32_e32 vcc, 21, v0
	;; [unrolled: 3-line block ×3, first 2 shown]
	s_waitcnt vmcnt(0)
	v_cndmask_b32_e32 v4, v4, v24, vcc
	s_waitcnt lgkmcnt(0)
	v_mul_f32_e32 v4, v4, v25
	s_cbranch_execz .LBB22_348
	s_branch .LBB22_349
.LBB22_347:
                                        ; implicit-def: $vgpr4
.LBB22_348:
	ds_read_b32 v4, v103
.LBB22_349:
	v_mov_b32_e32 v25, 0
	ds_read2_b32 v[25:26], v25 offset0:2 offset1:25
	s_waitcnt lgkmcnt(0)
	v_fma_f32 v26, v3, v26, v4
	v_cndmask_b32_e64 v4, v4, v26, s[2:3]
	v_mul_f32_e32 v4, v4, v25
.LBB22_350:
	s_or_b64 exec, exec, s[4:5]
	v_add_u32_e32 v27, 1, v0
	v_cmp_gt_u32_e64 s[4:5], 3, v0
	s_waitcnt vmcnt(20)
	ds_write_b32 v103, v5
	s_waitcnt lgkmcnt(0)
	; wave barrier
	s_and_saveexec_b64 s[6:7], s[4:5]
	s_cbranch_execz .LBB22_358
; %bb.351:
	s_and_b64 vcc, exec, s[0:1]
	s_cbranch_vccnz .LBB22_353
; %bb.352:
	v_cmp_eq_u32_e32 vcc, 1, v0
	s_waitcnt vmcnt(6)
	v_cndmask_b32_e32 v25, v2, v3, vcc
	v_cmp_eq_u32_e32 vcc, 2, v0
	v_cndmask_b32_e32 v25, v25, v4, vcc
	v_cmp_eq_u32_e32 vcc, 3, v0
	;; [unrolled: 2-line block ×16, first 2 shown]
	s_waitcnt vmcnt(5)
	v_cndmask_b32_e32 v25, v25, v19, vcc
	v_cmp_eq_u32_e32 vcc, 18, v0
	s_waitcnt vmcnt(4)
	v_cndmask_b32_e32 v25, v25, v20, vcc
	v_cmp_eq_u32_e32 vcc, 19, v0
	ds_read_b32 v26, v103
	s_waitcnt vmcnt(3)
	v_cndmask_b32_e32 v25, v25, v21, vcc
	v_cmp_eq_u32_e32 vcc, 20, v0
	s_waitcnt vmcnt(2)
	v_cndmask_b32_e32 v25, v25, v22, vcc
	v_cmp_eq_u32_e32 vcc, 21, v0
	;; [unrolled: 3-line block ×3, first 2 shown]
	s_waitcnt vmcnt(0)
	v_cndmask_b32_e32 v25, v25, v24, vcc
	s_waitcnt lgkmcnt(0)
	v_mul_f32_e32 v25, v25, v26
	s_cbranch_execz .LBB22_354
	s_branch .LBB22_355
.LBB22_353:
                                        ; implicit-def: $vgpr25
.LBB22_354:
	ds_read_b32 v25, v103
.LBB22_355:
	v_cmp_ne_u32_e32 vcc, 2, v0
	s_and_saveexec_b64 s[8:9], vcc
	s_cbranch_execz .LBB22_357
; %bb.356:
	v_cmp_eq_u32_e32 vcc, 1, v27
	s_waitcnt vmcnt(6)
	v_cndmask_b32_e32 v26, v2, v3, vcc
	v_cmp_eq_u32_e32 vcc, 2, v27
	v_cndmask_b32_e32 v26, v26, v4, vcc
	v_cmp_eq_u32_e32 vcc, 3, v27
	;; [unrolled: 2-line block ×16, first 2 shown]
	s_waitcnt vmcnt(5)
	v_cndmask_b32_e32 v5, v5, v19, vcc
	v_cmp_eq_u32_e32 vcc, 18, v27
	s_waitcnt vmcnt(4)
	v_cndmask_b32_e32 v5, v5, v20, vcc
	v_cmp_eq_u32_e32 vcc, 19, v27
	v_mov_b32_e32 v26, 0
	s_waitcnt vmcnt(3)
	v_cndmask_b32_e32 v5, v5, v21, vcc
	v_cmp_eq_u32_e32 vcc, 20, v27
	ds_read_b32 v28, v103 offset:4
	ds_read_b32 v26, v26 offset:104
	s_waitcnt vmcnt(2)
	v_cndmask_b32_e32 v5, v5, v22, vcc
	v_cmp_eq_u32_e32 vcc, 21, v27
	s_waitcnt vmcnt(1)
	v_cndmask_b32_e32 v5, v5, v23, vcc
	v_cmp_eq_u32_e32 vcc, 22, v27
	s_waitcnt vmcnt(0)
	v_cndmask_b32_e32 v5, v5, v24, vcc
	s_waitcnt lgkmcnt(1)
	v_fmac_f32_e32 v25, v5, v28
	s_waitcnt lgkmcnt(0)
	v_fma_f32 v5, v4, v26, v25
	v_cndmask_b32_e64 v25, v25, v5, s[2:3]
.LBB22_357:
	s_or_b64 exec, exec, s[8:9]
	v_mov_b32_e32 v5, 0
	ds_read_b32 v5, v5 offset:12
	s_waitcnt lgkmcnt(0)
	v_mul_f32_e32 v5, v25, v5
.LBB22_358:
	s_or_b64 exec, exec, s[6:7]
	v_cmp_gt_u32_e32 vcc, 4, v0
	s_waitcnt vmcnt(19)
	ds_write_b32 v103, v6
	s_waitcnt lgkmcnt(0)
	; wave barrier
	s_and_saveexec_b64 s[8:9], vcc
	s_cbranch_execz .LBB22_368
; %bb.359:
	s_and_b64 vcc, exec, s[0:1]
	s_cbranch_vccnz .LBB22_361
; %bb.360:
	v_cmp_eq_u32_e32 vcc, 1, v0
	s_waitcnt vmcnt(6)
	v_cndmask_b32_e32 v25, v2, v3, vcc
	v_cmp_eq_u32_e32 vcc, 2, v0
	v_cndmask_b32_e32 v25, v25, v4, vcc
	v_cmp_eq_u32_e32 vcc, 3, v0
	;; [unrolled: 2-line block ×16, first 2 shown]
	s_waitcnt vmcnt(5)
	v_cndmask_b32_e32 v25, v25, v19, vcc
	v_cmp_eq_u32_e32 vcc, 18, v0
	s_waitcnt vmcnt(4)
	v_cndmask_b32_e32 v25, v25, v20, vcc
	v_cmp_eq_u32_e32 vcc, 19, v0
	ds_read_b32 v26, v103
	s_waitcnt vmcnt(3)
	v_cndmask_b32_e32 v25, v25, v21, vcc
	v_cmp_eq_u32_e32 vcc, 20, v0
	s_waitcnt vmcnt(2)
	v_cndmask_b32_e32 v25, v25, v22, vcc
	v_cmp_eq_u32_e32 vcc, 21, v0
	;; [unrolled: 3-line block ×3, first 2 shown]
	s_waitcnt vmcnt(0)
	v_cndmask_b32_e32 v25, v25, v24, vcc
	s_waitcnt lgkmcnt(0)
	v_mul_f32_e32 v28, v25, v26
	s_cbranch_execz .LBB22_362
	s_branch .LBB22_363
.LBB22_361:
                                        ; implicit-def: $vgpr28
.LBB22_362:
	ds_read_b32 v28, v103
.LBB22_363:
	v_cmp_ne_u32_e32 vcc, 3, v0
	s_and_saveexec_b64 s[10:11], vcc
	s_cbranch_execz .LBB22_367
; %bb.364:
	v_mov_b32_e32 v25, 0x64
	v_lshl_add_u32 v29, v0, 2, v25
	v_mov_b32_e32 v26, v1
	s_mov_b64 s[12:13], 0
	v_mov_b32_e32 v25, v0
.LBB22_365:                             ; =>This Inner Loop Header: Depth=1
	v_add_co_u32_e32 v25, vcc, 1, v25
	v_addc_co_u32_e32 v26, vcc, 0, v26, vcc
	v_cmp_eq_u32_e32 vcc, 1, v25
	s_waitcnt vmcnt(6)
	v_cndmask_b32_e32 v31, v2, v3, vcc
	v_cmp_lt_u32_e32 vcc, 2, v25
	v_cmp_eq_u32_e64 s[6:7], 2, v25
	v_cndmask_b32_e64 v31, v31, v4, s[6:7]
	s_or_b64 s[12:13], vcc, s[12:13]
	v_cmp_eq_u32_e32 vcc, 3, v25
	v_cndmask_b32_e32 v31, v31, v5, vcc
	v_cmp_eq_u32_e32 vcc, 4, v25
	v_cndmask_b32_e32 v31, v31, v6, vcc
	;; [unrolled: 2-line block ×14, first 2 shown]
	v_cmp_eq_u32_e32 vcc, 17, v25
	s_waitcnt vmcnt(5)
	v_cndmask_b32_e32 v31, v31, v19, vcc
	v_cmp_eq_u32_e32 vcc, 18, v25
	ds_read_b32 v30, v29
	s_waitcnt vmcnt(4)
	v_cndmask_b32_e32 v31, v31, v20, vcc
	v_cmp_eq_u32_e32 vcc, 19, v25
	s_waitcnt vmcnt(3)
	v_cndmask_b32_e32 v31, v31, v21, vcc
	v_cmp_eq_u32_e32 vcc, 20, v25
	;; [unrolled: 3-line block ×4, first 2 shown]
	s_waitcnt vmcnt(0)
	v_cndmask_b32_e32 v31, v31, v24, vcc
	v_add_u32_e32 v29, 4, v29
	s_waitcnt lgkmcnt(0)
	v_fmac_f32_e32 v28, v31, v30
	s_andn2_b64 exec, exec, s[12:13]
	s_cbranch_execnz .LBB22_365
; %bb.366:
	s_or_b64 exec, exec, s[12:13]
.LBB22_367:
	s_or_b64 exec, exec, s[10:11]
	v_mov_b32_e32 v6, 0
	ds_read_b32 v6, v6 offset:16
	s_waitcnt lgkmcnt(0)
	v_mul_f32_e32 v6, v28, v6
.LBB22_368:
	s_or_b64 exec, exec, s[8:9]
	v_cmp_gt_u32_e64 s[6:7], 5, v0
	s_waitcnt vmcnt(18)
	ds_write_b32 v103, v7
	s_waitcnt lgkmcnt(0)
	; wave barrier
	s_and_saveexec_b64 s[10:11], s[6:7]
	s_cbranch_execz .LBB22_378
; %bb.369:
	s_and_b64 vcc, exec, s[0:1]
	s_cbranch_vccnz .LBB22_371
; %bb.370:
	v_cmp_eq_u32_e32 vcc, 1, v0
	s_waitcnt vmcnt(6)
	v_cndmask_b32_e32 v25, v2, v3, vcc
	v_cmp_eq_u32_e32 vcc, 2, v0
	v_cndmask_b32_e32 v25, v25, v4, vcc
	v_cmp_eq_u32_e32 vcc, 3, v0
	;; [unrolled: 2-line block ×16, first 2 shown]
	s_waitcnt vmcnt(5)
	v_cndmask_b32_e32 v25, v25, v19, vcc
	v_cmp_eq_u32_e32 vcc, 18, v0
	s_waitcnt vmcnt(4)
	v_cndmask_b32_e32 v25, v25, v20, vcc
	v_cmp_eq_u32_e32 vcc, 19, v0
	ds_read_b32 v26, v103
	s_waitcnt vmcnt(3)
	v_cndmask_b32_e32 v25, v25, v21, vcc
	v_cmp_eq_u32_e32 vcc, 20, v0
	s_waitcnt vmcnt(2)
	v_cndmask_b32_e32 v25, v25, v22, vcc
	v_cmp_eq_u32_e32 vcc, 21, v0
	;; [unrolled: 3-line block ×3, first 2 shown]
	s_waitcnt vmcnt(0)
	v_cndmask_b32_e32 v25, v25, v24, vcc
	s_waitcnt lgkmcnt(0)
	v_mul_f32_e32 v28, v25, v26
	s_cbranch_execz .LBB22_372
	s_branch .LBB22_373
.LBB22_371:
                                        ; implicit-def: $vgpr28
.LBB22_372:
	ds_read_b32 v28, v103
.LBB22_373:
	v_cmp_ne_u32_e32 vcc, 4, v0
	s_and_saveexec_b64 s[12:13], vcc
	s_cbranch_execz .LBB22_377
; %bb.374:
	v_mov_b32_e32 v25, 0x64
	v_lshl_add_u32 v29, v0, 2, v25
	v_mov_b32_e32 v26, v1
	s_mov_b64 s[14:15], 0
	v_mov_b32_e32 v25, v0
.LBB22_375:                             ; =>This Inner Loop Header: Depth=1
	v_add_co_u32_e32 v25, vcc, 1, v25
	v_addc_co_u32_e32 v26, vcc, 0, v26, vcc
	v_cmp_eq_u32_e32 vcc, 1, v25
	s_waitcnt vmcnt(6)
	v_cndmask_b32_e32 v31, v2, v3, vcc
	v_cmp_lt_u32_e32 vcc, 3, v25
	v_cmp_eq_u32_e64 s[8:9], 2, v25
	v_cndmask_b32_e64 v31, v31, v4, s[8:9]
	s_or_b64 s[14:15], vcc, s[14:15]
	v_cmp_eq_u32_e32 vcc, 3, v25
	v_cndmask_b32_e32 v31, v31, v5, vcc
	v_cmp_eq_u32_e32 vcc, 4, v25
	v_cndmask_b32_e32 v31, v31, v6, vcc
	;; [unrolled: 2-line block ×14, first 2 shown]
	v_cmp_eq_u32_e32 vcc, 17, v25
	s_waitcnt vmcnt(5)
	v_cndmask_b32_e32 v31, v31, v19, vcc
	v_cmp_eq_u32_e32 vcc, 18, v25
	ds_read_b32 v30, v29
	s_waitcnt vmcnt(4)
	v_cndmask_b32_e32 v31, v31, v20, vcc
	v_cmp_eq_u32_e32 vcc, 19, v25
	s_waitcnt vmcnt(3)
	v_cndmask_b32_e32 v31, v31, v21, vcc
	v_cmp_eq_u32_e32 vcc, 20, v25
	;; [unrolled: 3-line block ×4, first 2 shown]
	s_waitcnt vmcnt(0)
	v_cndmask_b32_e32 v31, v31, v24, vcc
	v_add_u32_e32 v29, 4, v29
	s_waitcnt lgkmcnt(0)
	v_fmac_f32_e32 v28, v31, v30
	s_andn2_b64 exec, exec, s[14:15]
	s_cbranch_execnz .LBB22_375
; %bb.376:
	s_or_b64 exec, exec, s[14:15]
.LBB22_377:
	s_or_b64 exec, exec, s[12:13]
	v_mov_b32_e32 v7, 0
	ds_read_b32 v7, v7 offset:20
	s_waitcnt lgkmcnt(0)
	v_mul_f32_e32 v7, v28, v7
.LBB22_378:
	s_or_b64 exec, exec, s[10:11]
	v_cmp_gt_u32_e32 vcc, 6, v0
	s_waitcnt vmcnt(17)
	ds_write_b32 v103, v8
	s_waitcnt lgkmcnt(0)
	; wave barrier
	s_and_saveexec_b64 s[10:11], vcc
	s_cbranch_execz .LBB22_388
; %bb.379:
	s_and_b64 vcc, exec, s[0:1]
	s_cbranch_vccnz .LBB22_381
; %bb.380:
	v_cmp_eq_u32_e32 vcc, 1, v0
	s_waitcnt vmcnt(6)
	v_cndmask_b32_e32 v25, v2, v3, vcc
	v_cmp_eq_u32_e32 vcc, 2, v0
	v_cndmask_b32_e32 v25, v25, v4, vcc
	v_cmp_eq_u32_e32 vcc, 3, v0
	;; [unrolled: 2-line block ×16, first 2 shown]
	s_waitcnt vmcnt(5)
	v_cndmask_b32_e32 v25, v25, v19, vcc
	v_cmp_eq_u32_e32 vcc, 18, v0
	s_waitcnt vmcnt(4)
	v_cndmask_b32_e32 v25, v25, v20, vcc
	v_cmp_eq_u32_e32 vcc, 19, v0
	ds_read_b32 v26, v103
	s_waitcnt vmcnt(3)
	v_cndmask_b32_e32 v25, v25, v21, vcc
	v_cmp_eq_u32_e32 vcc, 20, v0
	s_waitcnt vmcnt(2)
	v_cndmask_b32_e32 v25, v25, v22, vcc
	v_cmp_eq_u32_e32 vcc, 21, v0
	;; [unrolled: 3-line block ×3, first 2 shown]
	s_waitcnt vmcnt(0)
	v_cndmask_b32_e32 v25, v25, v24, vcc
	s_waitcnt lgkmcnt(0)
	v_mul_f32_e32 v28, v25, v26
	s_cbranch_execz .LBB22_382
	s_branch .LBB22_383
.LBB22_381:
                                        ; implicit-def: $vgpr28
.LBB22_382:
	ds_read_b32 v28, v103
.LBB22_383:
	v_cmp_ne_u32_e32 vcc, 5, v0
	s_and_saveexec_b64 s[12:13], vcc
	s_cbranch_execz .LBB22_387
; %bb.384:
	v_mov_b32_e32 v25, 0x64
	v_lshl_add_u32 v29, v0, 2, v25
	v_mov_b32_e32 v26, v1
	s_mov_b64 s[14:15], 0
	v_mov_b32_e32 v25, v0
.LBB22_385:                             ; =>This Inner Loop Header: Depth=1
	v_add_co_u32_e32 v25, vcc, 1, v25
	v_addc_co_u32_e32 v26, vcc, 0, v26, vcc
	v_cmp_eq_u32_e32 vcc, 1, v25
	s_waitcnt vmcnt(6)
	v_cndmask_b32_e32 v31, v2, v3, vcc
	v_cmp_lt_u32_e32 vcc, 4, v25
	v_cmp_eq_u32_e64 s[8:9], 2, v25
	v_cndmask_b32_e64 v31, v31, v4, s[8:9]
	s_or_b64 s[14:15], vcc, s[14:15]
	v_cmp_eq_u32_e32 vcc, 3, v25
	v_cndmask_b32_e32 v31, v31, v5, vcc
	v_cmp_eq_u32_e32 vcc, 4, v25
	v_cndmask_b32_e32 v31, v31, v6, vcc
	;; [unrolled: 2-line block ×14, first 2 shown]
	v_cmp_eq_u32_e32 vcc, 17, v25
	s_waitcnt vmcnt(5)
	v_cndmask_b32_e32 v31, v31, v19, vcc
	v_cmp_eq_u32_e32 vcc, 18, v25
	ds_read_b32 v30, v29
	s_waitcnt vmcnt(4)
	v_cndmask_b32_e32 v31, v31, v20, vcc
	v_cmp_eq_u32_e32 vcc, 19, v25
	s_waitcnt vmcnt(3)
	v_cndmask_b32_e32 v31, v31, v21, vcc
	v_cmp_eq_u32_e32 vcc, 20, v25
	;; [unrolled: 3-line block ×4, first 2 shown]
	s_waitcnt vmcnt(0)
	v_cndmask_b32_e32 v31, v31, v24, vcc
	v_add_u32_e32 v29, 4, v29
	s_waitcnt lgkmcnt(0)
	v_fmac_f32_e32 v28, v31, v30
	s_andn2_b64 exec, exec, s[14:15]
	s_cbranch_execnz .LBB22_385
; %bb.386:
	s_or_b64 exec, exec, s[14:15]
.LBB22_387:
	s_or_b64 exec, exec, s[12:13]
	v_mov_b32_e32 v8, 0
	ds_read_b32 v8, v8 offset:24
	s_waitcnt lgkmcnt(0)
	v_mul_f32_e32 v8, v28, v8
.LBB22_388:
	s_or_b64 exec, exec, s[10:11]
	v_cmp_gt_u32_e64 s[8:9], 7, v0
	s_waitcnt vmcnt(16)
	ds_write_b32 v103, v9
	s_waitcnt lgkmcnt(0)
	; wave barrier
	s_and_saveexec_b64 s[12:13], s[8:9]
	s_cbranch_execz .LBB22_398
; %bb.389:
	s_and_b64 vcc, exec, s[0:1]
	s_cbranch_vccnz .LBB22_391
; %bb.390:
	v_cmp_eq_u32_e32 vcc, 1, v0
	s_waitcnt vmcnt(6)
	v_cndmask_b32_e32 v25, v2, v3, vcc
	v_cmp_eq_u32_e32 vcc, 2, v0
	v_cndmask_b32_e32 v25, v25, v4, vcc
	v_cmp_eq_u32_e32 vcc, 3, v0
	;; [unrolled: 2-line block ×16, first 2 shown]
	s_waitcnt vmcnt(5)
	v_cndmask_b32_e32 v25, v25, v19, vcc
	v_cmp_eq_u32_e32 vcc, 18, v0
	s_waitcnt vmcnt(4)
	v_cndmask_b32_e32 v25, v25, v20, vcc
	v_cmp_eq_u32_e32 vcc, 19, v0
	ds_read_b32 v26, v103
	s_waitcnt vmcnt(3)
	v_cndmask_b32_e32 v25, v25, v21, vcc
	v_cmp_eq_u32_e32 vcc, 20, v0
	s_waitcnt vmcnt(2)
	v_cndmask_b32_e32 v25, v25, v22, vcc
	v_cmp_eq_u32_e32 vcc, 21, v0
	;; [unrolled: 3-line block ×3, first 2 shown]
	s_waitcnt vmcnt(0)
	v_cndmask_b32_e32 v25, v25, v24, vcc
	s_waitcnt lgkmcnt(0)
	v_mul_f32_e32 v28, v25, v26
	s_cbranch_execz .LBB22_392
	s_branch .LBB22_393
.LBB22_391:
                                        ; implicit-def: $vgpr28
.LBB22_392:
	ds_read_b32 v28, v103
.LBB22_393:
	v_cmp_ne_u32_e32 vcc, 6, v0
	s_and_saveexec_b64 s[14:15], vcc
	s_cbranch_execz .LBB22_397
; %bb.394:
	v_mov_b32_e32 v25, 0x64
	v_lshl_add_u32 v29, v0, 2, v25
	v_mov_b32_e32 v26, v1
	s_mov_b64 s[16:17], 0
	v_mov_b32_e32 v25, v0
.LBB22_395:                             ; =>This Inner Loop Header: Depth=1
	v_add_co_u32_e32 v25, vcc, 1, v25
	v_addc_co_u32_e32 v26, vcc, 0, v26, vcc
	v_cmp_eq_u32_e32 vcc, 1, v25
	s_waitcnt vmcnt(6)
	v_cndmask_b32_e32 v31, v2, v3, vcc
	v_cmp_lt_u32_e32 vcc, 5, v25
	v_cmp_eq_u32_e64 s[10:11], 2, v25
	v_cndmask_b32_e64 v31, v31, v4, s[10:11]
	s_or_b64 s[16:17], vcc, s[16:17]
	v_cmp_eq_u32_e32 vcc, 3, v25
	v_cndmask_b32_e32 v31, v31, v5, vcc
	v_cmp_eq_u32_e32 vcc, 4, v25
	v_cndmask_b32_e32 v31, v31, v6, vcc
	;; [unrolled: 2-line block ×14, first 2 shown]
	v_cmp_eq_u32_e32 vcc, 17, v25
	s_waitcnt vmcnt(5)
	v_cndmask_b32_e32 v31, v31, v19, vcc
	v_cmp_eq_u32_e32 vcc, 18, v25
	ds_read_b32 v30, v29
	s_waitcnt vmcnt(4)
	v_cndmask_b32_e32 v31, v31, v20, vcc
	v_cmp_eq_u32_e32 vcc, 19, v25
	s_waitcnt vmcnt(3)
	v_cndmask_b32_e32 v31, v31, v21, vcc
	v_cmp_eq_u32_e32 vcc, 20, v25
	;; [unrolled: 3-line block ×4, first 2 shown]
	s_waitcnt vmcnt(0)
	v_cndmask_b32_e32 v31, v31, v24, vcc
	v_add_u32_e32 v29, 4, v29
	s_waitcnt lgkmcnt(0)
	v_fmac_f32_e32 v28, v31, v30
	s_andn2_b64 exec, exec, s[16:17]
	s_cbranch_execnz .LBB22_395
; %bb.396:
	s_or_b64 exec, exec, s[16:17]
.LBB22_397:
	s_or_b64 exec, exec, s[14:15]
	v_mov_b32_e32 v9, 0
	ds_read_b32 v9, v9 offset:28
	s_waitcnt lgkmcnt(0)
	v_mul_f32_e32 v9, v28, v9
.LBB22_398:
	s_or_b64 exec, exec, s[12:13]
	v_cmp_gt_u32_e32 vcc, 8, v0
	s_waitcnt vmcnt(15)
	ds_write_b32 v103, v10
	s_waitcnt lgkmcnt(0)
	; wave barrier
	s_and_saveexec_b64 s[12:13], vcc
	s_cbranch_execz .LBB22_408
; %bb.399:
	s_and_b64 vcc, exec, s[0:1]
	s_cbranch_vccnz .LBB22_401
; %bb.400:
	v_cmp_eq_u32_e32 vcc, 1, v0
	s_waitcnt vmcnt(6)
	v_cndmask_b32_e32 v25, v2, v3, vcc
	v_cmp_eq_u32_e32 vcc, 2, v0
	v_cndmask_b32_e32 v25, v25, v4, vcc
	v_cmp_eq_u32_e32 vcc, 3, v0
	v_cndmask_b32_e32 v25, v25, v5, vcc
	v_cmp_eq_u32_e32 vcc, 4, v0
	v_cndmask_b32_e32 v25, v25, v6, vcc
	v_cmp_eq_u32_e32 vcc, 5, v0
	v_cndmask_b32_e32 v25, v25, v7, vcc
	v_cmp_eq_u32_e32 vcc, 6, v0
	v_cndmask_b32_e32 v25, v25, v8, vcc
	v_cmp_eq_u32_e32 vcc, 7, v0
	v_cndmask_b32_e32 v25, v25, v9, vcc
	v_cmp_eq_u32_e32 vcc, 8, v0
	v_cndmask_b32_e32 v25, v25, v10, vcc
	v_cmp_eq_u32_e32 vcc, 9, v0
	v_cndmask_b32_e32 v25, v25, v11, vcc
	v_cmp_eq_u32_e32 vcc, 10, v0
	v_cndmask_b32_e32 v25, v25, v12, vcc
	v_cmp_eq_u32_e32 vcc, 11, v0
	v_cndmask_b32_e32 v25, v25, v13, vcc
	v_cmp_eq_u32_e32 vcc, 12, v0
	v_cndmask_b32_e32 v25, v25, v14, vcc
	v_cmp_eq_u32_e32 vcc, 13, v0
	v_cndmask_b32_e32 v25, v25, v15, vcc
	v_cmp_eq_u32_e32 vcc, 14, v0
	v_cndmask_b32_e32 v25, v25, v16, vcc
	v_cmp_eq_u32_e32 vcc, 15, v0
	v_cndmask_b32_e32 v25, v25, v17, vcc
	v_cmp_eq_u32_e32 vcc, 16, v0
	v_cndmask_b32_e32 v25, v25, v18, vcc
	v_cmp_eq_u32_e32 vcc, 17, v0
	s_waitcnt vmcnt(5)
	v_cndmask_b32_e32 v25, v25, v19, vcc
	v_cmp_eq_u32_e32 vcc, 18, v0
	s_waitcnt vmcnt(4)
	v_cndmask_b32_e32 v25, v25, v20, vcc
	v_cmp_eq_u32_e32 vcc, 19, v0
	ds_read_b32 v26, v103
	s_waitcnt vmcnt(3)
	v_cndmask_b32_e32 v25, v25, v21, vcc
	v_cmp_eq_u32_e32 vcc, 20, v0
	s_waitcnt vmcnt(2)
	v_cndmask_b32_e32 v25, v25, v22, vcc
	v_cmp_eq_u32_e32 vcc, 21, v0
	;; [unrolled: 3-line block ×3, first 2 shown]
	s_waitcnt vmcnt(0)
	v_cndmask_b32_e32 v25, v25, v24, vcc
	s_waitcnt lgkmcnt(0)
	v_mul_f32_e32 v28, v25, v26
	s_cbranch_execz .LBB22_402
	s_branch .LBB22_403
.LBB22_401:
                                        ; implicit-def: $vgpr28
.LBB22_402:
	ds_read_b32 v28, v103
.LBB22_403:
	v_cmp_ne_u32_e32 vcc, 7, v0
	s_and_saveexec_b64 s[14:15], vcc
	s_cbranch_execz .LBB22_407
; %bb.404:
	v_mov_b32_e32 v25, 0x64
	v_lshl_add_u32 v29, v0, 2, v25
	v_mov_b32_e32 v26, v1
	s_mov_b64 s[16:17], 0
	v_mov_b32_e32 v25, v0
.LBB22_405:                             ; =>This Inner Loop Header: Depth=1
	v_add_co_u32_e32 v25, vcc, 1, v25
	v_addc_co_u32_e32 v26, vcc, 0, v26, vcc
	v_cmp_eq_u32_e32 vcc, 1, v25
	s_waitcnt vmcnt(6)
	v_cndmask_b32_e32 v31, v2, v3, vcc
	v_cmp_lt_u32_e32 vcc, 6, v25
	v_cmp_eq_u32_e64 s[10:11], 2, v25
	v_cndmask_b32_e64 v31, v31, v4, s[10:11]
	s_or_b64 s[16:17], vcc, s[16:17]
	v_cmp_eq_u32_e32 vcc, 3, v25
	v_cndmask_b32_e32 v31, v31, v5, vcc
	v_cmp_eq_u32_e32 vcc, 4, v25
	v_cndmask_b32_e32 v31, v31, v6, vcc
	;; [unrolled: 2-line block ×14, first 2 shown]
	v_cmp_eq_u32_e32 vcc, 17, v25
	s_waitcnt vmcnt(5)
	v_cndmask_b32_e32 v31, v31, v19, vcc
	v_cmp_eq_u32_e32 vcc, 18, v25
	ds_read_b32 v30, v29
	s_waitcnt vmcnt(4)
	v_cndmask_b32_e32 v31, v31, v20, vcc
	v_cmp_eq_u32_e32 vcc, 19, v25
	s_waitcnt vmcnt(3)
	v_cndmask_b32_e32 v31, v31, v21, vcc
	v_cmp_eq_u32_e32 vcc, 20, v25
	;; [unrolled: 3-line block ×4, first 2 shown]
	s_waitcnt vmcnt(0)
	v_cndmask_b32_e32 v31, v31, v24, vcc
	v_add_u32_e32 v29, 4, v29
	s_waitcnt lgkmcnt(0)
	v_fmac_f32_e32 v28, v31, v30
	s_andn2_b64 exec, exec, s[16:17]
	s_cbranch_execnz .LBB22_405
; %bb.406:
	s_or_b64 exec, exec, s[16:17]
.LBB22_407:
	s_or_b64 exec, exec, s[14:15]
	v_mov_b32_e32 v10, 0
	ds_read_b32 v10, v10 offset:32
	s_waitcnt lgkmcnt(0)
	v_mul_f32_e32 v10, v28, v10
.LBB22_408:
	s_or_b64 exec, exec, s[12:13]
	v_cmp_gt_u32_e32 vcc, 9, v0
	s_waitcnt vmcnt(14)
	ds_write_b32 v103, v11
	s_waitcnt lgkmcnt(0)
	; wave barrier
	s_and_saveexec_b64 s[10:11], vcc
	s_cbranch_execz .LBB22_430
; %bb.409:
	s_and_b64 vcc, exec, s[0:1]
	s_cbranch_vccnz .LBB22_411
; %bb.410:
	v_cmp_eq_u32_e32 vcc, 1, v0
	s_waitcnt vmcnt(6)
	v_cndmask_b32_e32 v25, v2, v3, vcc
	v_cmp_eq_u32_e32 vcc, 2, v0
	v_cndmask_b32_e32 v25, v25, v4, vcc
	v_cmp_eq_u32_e32 vcc, 3, v0
	;; [unrolled: 2-line block ×16, first 2 shown]
	s_waitcnt vmcnt(5)
	v_cndmask_b32_e32 v25, v25, v19, vcc
	v_cmp_eq_u32_e32 vcc, 18, v0
	s_waitcnt vmcnt(4)
	v_cndmask_b32_e32 v25, v25, v20, vcc
	v_cmp_eq_u32_e32 vcc, 19, v0
	ds_read_b32 v26, v103
	s_waitcnt vmcnt(3)
	v_cndmask_b32_e32 v25, v25, v21, vcc
	v_cmp_eq_u32_e32 vcc, 20, v0
	s_waitcnt vmcnt(2)
	v_cndmask_b32_e32 v25, v25, v22, vcc
	v_cmp_eq_u32_e32 vcc, 21, v0
	;; [unrolled: 3-line block ×3, first 2 shown]
	s_waitcnt vmcnt(0)
	v_cndmask_b32_e32 v25, v25, v24, vcc
	s_waitcnt lgkmcnt(0)
	v_mul_f32_e32 v25, v25, v26
	s_cbranch_execz .LBB22_412
	s_branch .LBB22_413
.LBB22_411:
                                        ; implicit-def: $vgpr25
.LBB22_412:
	ds_read_b32 v25, v103
.LBB22_413:
	v_cmp_ne_u32_e32 vcc, 8, v0
	s_and_saveexec_b64 s[12:13], vcc
	s_cbranch_execz .LBB22_429
; %bb.414:
	v_cmp_eq_u32_e32 vcc, 1, v27
	s_waitcnt vmcnt(6)
	v_cndmask_b32_e32 v26, v2, v3, vcc
	v_cmp_eq_u32_e32 vcc, 2, v27
	v_cndmask_b32_e32 v26, v26, v4, vcc
	v_cmp_eq_u32_e32 vcc, 3, v27
	;; [unrolled: 2-line block ×16, first 2 shown]
	s_waitcnt vmcnt(5)
	v_cndmask_b32_e32 v26, v26, v19, vcc
	v_cmp_eq_u32_e32 vcc, 18, v27
	s_waitcnt vmcnt(4)
	v_cndmask_b32_e32 v26, v26, v20, vcc
	v_cmp_eq_u32_e32 vcc, 19, v27
	ds_read_b32 v28, v103 offset:4
	s_waitcnt vmcnt(3)
	v_cndmask_b32_e32 v26, v26, v21, vcc
	v_cmp_eq_u32_e32 vcc, 20, v27
	s_waitcnt vmcnt(2)
	v_cndmask_b32_e32 v26, v26, v22, vcc
	v_cmp_eq_u32_e32 vcc, 21, v27
	;; [unrolled: 3-line block ×3, first 2 shown]
	s_waitcnt vmcnt(0)
	v_cndmask_b32_e32 v26, v26, v24, vcc
	s_waitcnt lgkmcnt(0)
	v_fmac_f32_e32 v25, v26, v28
	s_and_saveexec_b64 s[14:15], s[8:9]
	s_cbranch_execz .LBB22_428
; %bb.415:
	v_add_u32_e32 v26, 2, v0
	v_cmp_eq_u32_e32 vcc, 1, v26
	v_cndmask_b32_e32 v27, v2, v3, vcc
	v_cmp_eq_u32_e32 vcc, 2, v26
	v_cndmask_b32_e32 v27, v27, v4, vcc
	;; [unrolled: 2-line block ×18, first 2 shown]
	v_cmp_eq_u32_e32 vcc, 19, v26
	ds_read_b32 v28, v103 offset:8
	v_cndmask_b32_e32 v27, v27, v21, vcc
	v_cmp_eq_u32_e32 vcc, 20, v26
	v_cndmask_b32_e32 v27, v27, v22, vcc
	v_cmp_eq_u32_e32 vcc, 21, v26
	;; [unrolled: 2-line block ×3, first 2 shown]
	v_cndmask_b32_e32 v26, v27, v24, vcc
	s_waitcnt lgkmcnt(0)
	v_fmac_f32_e32 v25, v26, v28
	v_cmp_ne_u32_e32 vcc, 6, v0
	s_and_saveexec_b64 s[8:9], vcc
	s_cbranch_execz .LBB22_427
; %bb.416:
	v_add_u32_e32 v26, 3, v0
	v_cmp_eq_u32_e32 vcc, 1, v26
	v_cndmask_b32_e32 v27, v2, v3, vcc
	v_cmp_eq_u32_e32 vcc, 2, v26
	v_cndmask_b32_e32 v27, v27, v4, vcc
	;; [unrolled: 2-line block ×18, first 2 shown]
	v_cmp_eq_u32_e32 vcc, 19, v26
	ds_read_b32 v28, v103 offset:12
	v_cndmask_b32_e32 v27, v27, v21, vcc
	v_cmp_eq_u32_e32 vcc, 20, v26
	v_cndmask_b32_e32 v27, v27, v22, vcc
	v_cmp_eq_u32_e32 vcc, 21, v26
	;; [unrolled: 2-line block ×3, first 2 shown]
	v_cndmask_b32_e32 v26, v27, v24, vcc
	s_waitcnt lgkmcnt(0)
	v_fmac_f32_e32 v25, v26, v28
	s_and_saveexec_b64 s[16:17], s[6:7]
	s_cbranch_execz .LBB22_426
; %bb.417:
	v_add_u32_e32 v26, 4, v0
	v_cmp_eq_u32_e32 vcc, 1, v26
	v_cndmask_b32_e32 v27, v2, v3, vcc
	v_cmp_eq_u32_e32 vcc, 2, v26
	v_cndmask_b32_e32 v27, v27, v4, vcc
	;; [unrolled: 2-line block ×18, first 2 shown]
	v_cmp_eq_u32_e32 vcc, 19, v26
	ds_read_b32 v28, v103 offset:16
	v_cndmask_b32_e32 v27, v27, v21, vcc
	v_cmp_eq_u32_e32 vcc, 20, v26
	v_cndmask_b32_e32 v27, v27, v22, vcc
	v_cmp_eq_u32_e32 vcc, 21, v26
	;; [unrolled: 2-line block ×3, first 2 shown]
	v_cndmask_b32_e32 v26, v27, v24, vcc
	s_waitcnt lgkmcnt(0)
	v_fmac_f32_e32 v25, v26, v28
	v_cmp_ne_u32_e32 vcc, 4, v0
	s_and_saveexec_b64 s[6:7], vcc
	s_cbranch_execz .LBB22_425
; %bb.418:
	v_add_u32_e32 v26, 5, v0
	v_cmp_eq_u32_e32 vcc, 1, v26
	v_cndmask_b32_e32 v27, v2, v3, vcc
	v_cmp_eq_u32_e32 vcc, 2, v26
	v_cndmask_b32_e32 v27, v27, v4, vcc
	;; [unrolled: 2-line block ×18, first 2 shown]
	v_cmp_eq_u32_e32 vcc, 19, v26
	ds_read_b32 v28, v103 offset:20
	v_cndmask_b32_e32 v27, v27, v21, vcc
	v_cmp_eq_u32_e32 vcc, 20, v26
	v_cndmask_b32_e32 v27, v27, v22, vcc
	v_cmp_eq_u32_e32 vcc, 21, v26
	;; [unrolled: 2-line block ×3, first 2 shown]
	v_cndmask_b32_e32 v26, v27, v24, vcc
	s_waitcnt lgkmcnt(0)
	v_fmac_f32_e32 v25, v26, v28
	s_and_saveexec_b64 s[18:19], s[4:5]
	s_cbranch_execz .LBB22_424
; %bb.419:
	v_add_u32_e32 v26, 6, v0
	v_cmp_eq_u32_e32 vcc, 1, v26
	v_cndmask_b32_e32 v27, v2, v3, vcc
	v_cmp_eq_u32_e32 vcc, 2, v26
	v_cndmask_b32_e32 v27, v27, v4, vcc
	;; [unrolled: 2-line block ×18, first 2 shown]
	v_cmp_eq_u32_e32 vcc, 19, v26
	ds_read_b32 v28, v103 offset:24
	v_cndmask_b32_e32 v27, v27, v21, vcc
	v_cmp_eq_u32_e32 vcc, 20, v26
	v_cndmask_b32_e32 v27, v27, v22, vcc
	v_cmp_eq_u32_e32 vcc, 21, v26
	;; [unrolled: 2-line block ×3, first 2 shown]
	v_cndmask_b32_e32 v26, v27, v24, vcc
	s_waitcnt lgkmcnt(0)
	v_fmac_f32_e32 v25, v26, v28
	v_cmp_ne_u32_e32 vcc, 2, v0
	s_and_saveexec_b64 s[4:5], vcc
	s_cbranch_execz .LBB22_423
; %bb.420:
	v_add_u32_e32 v26, 7, v0
	v_cmp_eq_u32_e32 vcc, 1, v26
	v_cndmask_b32_e32 v27, v2, v3, vcc
	v_cmp_eq_u32_e32 vcc, 2, v26
	v_cndmask_b32_e32 v27, v27, v4, vcc
	;; [unrolled: 2-line block ×18, first 2 shown]
	v_cmp_eq_u32_e32 vcc, 19, v26
	ds_read_b32 v27, v103 offset:28
	v_cndmask_b32_e32 v11, v11, v21, vcc
	v_cmp_eq_u32_e32 vcc, 20, v26
	v_cndmask_b32_e32 v11, v11, v22, vcc
	v_cmp_eq_u32_e32 vcc, 21, v26
	;; [unrolled: 2-line block ×3, first 2 shown]
	v_cndmask_b32_e32 v11, v11, v24, vcc
	s_waitcnt lgkmcnt(0)
	v_fmac_f32_e32 v25, v11, v27
	s_and_saveexec_b64 s[20:21], s[2:3]
	s_cbranch_execz .LBB22_422
; %bb.421:
	ds_read_b32 v11, v103 offset:32
	s_waitcnt lgkmcnt(0)
	v_fmac_f32_e32 v25, v10, v11
.LBB22_422:
	s_or_b64 exec, exec, s[20:21]
.LBB22_423:
	s_or_b64 exec, exec, s[4:5]
.LBB22_424:
	s_or_b64 exec, exec, s[18:19]
.LBB22_425:
	s_or_b64 exec, exec, s[6:7]
.LBB22_426:
	s_or_b64 exec, exec, s[16:17]
.LBB22_427:
	s_or_b64 exec, exec, s[8:9]
.LBB22_428:
	s_or_b64 exec, exec, s[14:15]
.LBB22_429:
	s_or_b64 exec, exec, s[12:13]
	v_mov_b32_e32 v11, 0
	ds_read_b32 v11, v11 offset:36
	s_waitcnt lgkmcnt(0)
	v_mul_f32_e32 v11, v25, v11
.LBB22_430:
	s_or_b64 exec, exec, s[10:11]
	v_cmp_gt_u32_e32 vcc, 10, v0
	s_waitcnt vmcnt(13)
	ds_write_b32 v103, v12
	s_waitcnt lgkmcnt(0)
	; wave barrier
	s_and_saveexec_b64 s[4:5], vcc
	s_cbranch_execz .LBB22_440
; %bb.431:
	s_and_b64 vcc, exec, s[0:1]
	s_cbranch_vccnz .LBB22_433
; %bb.432:
	v_cmp_eq_u32_e32 vcc, 1, v0
	s_waitcnt vmcnt(6)
	v_cndmask_b32_e32 v25, v2, v3, vcc
	v_cmp_eq_u32_e32 vcc, 2, v0
	v_cndmask_b32_e32 v25, v25, v4, vcc
	v_cmp_eq_u32_e32 vcc, 3, v0
	;; [unrolled: 2-line block ×16, first 2 shown]
	s_waitcnt vmcnt(5)
	v_cndmask_b32_e32 v25, v25, v19, vcc
	v_cmp_eq_u32_e32 vcc, 18, v0
	s_waitcnt vmcnt(4)
	v_cndmask_b32_e32 v25, v25, v20, vcc
	v_cmp_eq_u32_e32 vcc, 19, v0
	ds_read_b32 v26, v103
	s_waitcnt vmcnt(3)
	v_cndmask_b32_e32 v25, v25, v21, vcc
	v_cmp_eq_u32_e32 vcc, 20, v0
	s_waitcnt vmcnt(2)
	v_cndmask_b32_e32 v25, v25, v22, vcc
	v_cmp_eq_u32_e32 vcc, 21, v0
	s_waitcnt vmcnt(1)
	v_cndmask_b32_e32 v25, v25, v23, vcc
	v_cmp_eq_u32_e32 vcc, 22, v0
	s_waitcnt vmcnt(0)
	v_cndmask_b32_e32 v25, v25, v24, vcc
	s_waitcnt lgkmcnt(0)
	v_mul_f32_e32 v27, v25, v26
	s_cbranch_execz .LBB22_434
	s_branch .LBB22_435
.LBB22_433:
                                        ; implicit-def: $vgpr27
.LBB22_434:
	ds_read_b32 v27, v103
.LBB22_435:
	v_cmp_ne_u32_e32 vcc, 9, v0
	s_and_saveexec_b64 s[6:7], vcc
	s_cbranch_execz .LBB22_439
; %bb.436:
	v_mov_b32_e32 v25, 0x64
	v_lshl_add_u32 v28, v0, 2, v25
	v_mov_b32_e32 v26, v1
	s_mov_b64 s[8:9], 0
	v_mov_b32_e32 v25, v0
.LBB22_437:                             ; =>This Inner Loop Header: Depth=1
	v_add_co_u32_e32 v25, vcc, 1, v25
	v_addc_co_u32_e32 v26, vcc, 0, v26, vcc
	v_cmp_eq_u32_e32 vcc, 1, v25
	s_waitcnt vmcnt(6)
	v_cndmask_b32_e32 v30, v2, v3, vcc
	v_cmp_lt_u32_e32 vcc, 8, v25
	v_cmp_eq_u32_e64 s[2:3], 2, v25
	v_cndmask_b32_e64 v30, v30, v4, s[2:3]
	s_or_b64 s[8:9], vcc, s[8:9]
	v_cmp_eq_u32_e32 vcc, 3, v25
	v_cndmask_b32_e32 v30, v30, v5, vcc
	v_cmp_eq_u32_e32 vcc, 4, v25
	v_cndmask_b32_e32 v30, v30, v6, vcc
	v_cmp_eq_u32_e32 vcc, 5, v25
	v_cndmask_b32_e32 v30, v30, v7, vcc
	v_cmp_eq_u32_e32 vcc, 6, v25
	v_cndmask_b32_e32 v30, v30, v8, vcc
	v_cmp_eq_u32_e32 vcc, 7, v25
	v_cndmask_b32_e32 v30, v30, v9, vcc
	v_cmp_eq_u32_e32 vcc, 8, v25
	v_cndmask_b32_e32 v30, v30, v10, vcc
	v_cmp_eq_u32_e32 vcc, 9, v25
	v_cndmask_b32_e32 v30, v30, v11, vcc
	v_cmp_eq_u32_e32 vcc, 10, v25
	v_cndmask_b32_e32 v30, v30, v12, vcc
	v_cmp_eq_u32_e32 vcc, 11, v25
	v_cndmask_b32_e32 v30, v30, v13, vcc
	v_cmp_eq_u32_e32 vcc, 12, v25
	v_cndmask_b32_e32 v30, v30, v14, vcc
	v_cmp_eq_u32_e32 vcc, 13, v25
	v_cndmask_b32_e32 v30, v30, v15, vcc
	v_cmp_eq_u32_e32 vcc, 14, v25
	v_cndmask_b32_e32 v30, v30, v16, vcc
	v_cmp_eq_u32_e32 vcc, 15, v25
	v_cndmask_b32_e32 v30, v30, v17, vcc
	v_cmp_eq_u32_e32 vcc, 16, v25
	v_cndmask_b32_e32 v30, v30, v18, vcc
	v_cmp_eq_u32_e32 vcc, 17, v25
	s_waitcnt vmcnt(5)
	v_cndmask_b32_e32 v30, v30, v19, vcc
	v_cmp_eq_u32_e32 vcc, 18, v25
	ds_read_b32 v29, v28
	s_waitcnt vmcnt(4)
	v_cndmask_b32_e32 v30, v30, v20, vcc
	v_cmp_eq_u32_e32 vcc, 19, v25
	s_waitcnt vmcnt(3)
	v_cndmask_b32_e32 v30, v30, v21, vcc
	v_cmp_eq_u32_e32 vcc, 20, v25
	;; [unrolled: 3-line block ×4, first 2 shown]
	s_waitcnt vmcnt(0)
	v_cndmask_b32_e32 v30, v30, v24, vcc
	v_add_u32_e32 v28, 4, v28
	s_waitcnt lgkmcnt(0)
	v_fmac_f32_e32 v27, v30, v29
	s_andn2_b64 exec, exec, s[8:9]
	s_cbranch_execnz .LBB22_437
; %bb.438:
	s_or_b64 exec, exec, s[8:9]
.LBB22_439:
	s_or_b64 exec, exec, s[6:7]
	v_mov_b32_e32 v12, 0
	ds_read_b32 v12, v12 offset:40
	s_waitcnt lgkmcnt(0)
	v_mul_f32_e32 v12, v27, v12
.LBB22_440:
	s_or_b64 exec, exec, s[4:5]
	v_cmp_gt_u32_e32 vcc, 11, v0
	s_waitcnt vmcnt(12)
	ds_write_b32 v103, v13
	s_waitcnt lgkmcnt(0)
	; wave barrier
	s_and_saveexec_b64 s[4:5], vcc
	s_cbranch_execz .LBB22_450
; %bb.441:
	s_and_b64 vcc, exec, s[0:1]
	s_cbranch_vccnz .LBB22_443
; %bb.442:
	v_cmp_eq_u32_e32 vcc, 1, v0
	s_waitcnt vmcnt(6)
	v_cndmask_b32_e32 v25, v2, v3, vcc
	v_cmp_eq_u32_e32 vcc, 2, v0
	v_cndmask_b32_e32 v25, v25, v4, vcc
	v_cmp_eq_u32_e32 vcc, 3, v0
	;; [unrolled: 2-line block ×16, first 2 shown]
	s_waitcnt vmcnt(5)
	v_cndmask_b32_e32 v25, v25, v19, vcc
	v_cmp_eq_u32_e32 vcc, 18, v0
	s_waitcnt vmcnt(4)
	v_cndmask_b32_e32 v25, v25, v20, vcc
	v_cmp_eq_u32_e32 vcc, 19, v0
	ds_read_b32 v26, v103
	s_waitcnt vmcnt(3)
	v_cndmask_b32_e32 v25, v25, v21, vcc
	v_cmp_eq_u32_e32 vcc, 20, v0
	s_waitcnt vmcnt(2)
	v_cndmask_b32_e32 v25, v25, v22, vcc
	v_cmp_eq_u32_e32 vcc, 21, v0
	;; [unrolled: 3-line block ×3, first 2 shown]
	s_waitcnt vmcnt(0)
	v_cndmask_b32_e32 v25, v25, v24, vcc
	s_waitcnt lgkmcnt(0)
	v_mul_f32_e32 v27, v25, v26
	s_cbranch_execz .LBB22_444
	s_branch .LBB22_445
.LBB22_443:
                                        ; implicit-def: $vgpr27
.LBB22_444:
	ds_read_b32 v27, v103
.LBB22_445:
	v_cmp_ne_u32_e32 vcc, 10, v0
	s_and_saveexec_b64 s[6:7], vcc
	s_cbranch_execz .LBB22_449
; %bb.446:
	v_mov_b32_e32 v25, 0x64
	v_lshl_add_u32 v28, v0, 2, v25
	v_mov_b32_e32 v26, v1
	s_mov_b64 s[8:9], 0
	v_mov_b32_e32 v25, v0
.LBB22_447:                             ; =>This Inner Loop Header: Depth=1
	v_add_co_u32_e32 v25, vcc, 1, v25
	v_addc_co_u32_e32 v26, vcc, 0, v26, vcc
	v_cmp_eq_u32_e32 vcc, 1, v25
	s_waitcnt vmcnt(6)
	v_cndmask_b32_e32 v30, v2, v3, vcc
	v_cmp_lt_u32_e32 vcc, 9, v25
	v_cmp_eq_u32_e64 s[2:3], 2, v25
	v_cndmask_b32_e64 v30, v30, v4, s[2:3]
	s_or_b64 s[8:9], vcc, s[8:9]
	v_cmp_eq_u32_e32 vcc, 3, v25
	v_cndmask_b32_e32 v30, v30, v5, vcc
	v_cmp_eq_u32_e32 vcc, 4, v25
	v_cndmask_b32_e32 v30, v30, v6, vcc
	;; [unrolled: 2-line block ×14, first 2 shown]
	v_cmp_eq_u32_e32 vcc, 17, v25
	s_waitcnt vmcnt(5)
	v_cndmask_b32_e32 v30, v30, v19, vcc
	v_cmp_eq_u32_e32 vcc, 18, v25
	ds_read_b32 v29, v28
	s_waitcnt vmcnt(4)
	v_cndmask_b32_e32 v30, v30, v20, vcc
	v_cmp_eq_u32_e32 vcc, 19, v25
	s_waitcnt vmcnt(3)
	v_cndmask_b32_e32 v30, v30, v21, vcc
	v_cmp_eq_u32_e32 vcc, 20, v25
	;; [unrolled: 3-line block ×4, first 2 shown]
	s_waitcnt vmcnt(0)
	v_cndmask_b32_e32 v30, v30, v24, vcc
	v_add_u32_e32 v28, 4, v28
	s_waitcnt lgkmcnt(0)
	v_fmac_f32_e32 v27, v30, v29
	s_andn2_b64 exec, exec, s[8:9]
	s_cbranch_execnz .LBB22_447
; %bb.448:
	s_or_b64 exec, exec, s[8:9]
.LBB22_449:
	s_or_b64 exec, exec, s[6:7]
	v_mov_b32_e32 v13, 0
	ds_read_b32 v13, v13 offset:44
	s_waitcnt lgkmcnt(0)
	v_mul_f32_e32 v13, v27, v13
.LBB22_450:
	s_or_b64 exec, exec, s[4:5]
	v_cmp_gt_u32_e32 vcc, 12, v0
	s_waitcnt vmcnt(11)
	ds_write_b32 v103, v14
	s_waitcnt lgkmcnt(0)
	; wave barrier
	s_and_saveexec_b64 s[4:5], vcc
	s_cbranch_execz .LBB22_460
; %bb.451:
	s_and_b64 vcc, exec, s[0:1]
	s_cbranch_vccnz .LBB22_453
; %bb.452:
	v_cmp_eq_u32_e32 vcc, 1, v0
	s_waitcnt vmcnt(6)
	v_cndmask_b32_e32 v25, v2, v3, vcc
	v_cmp_eq_u32_e32 vcc, 2, v0
	v_cndmask_b32_e32 v25, v25, v4, vcc
	v_cmp_eq_u32_e32 vcc, 3, v0
	v_cndmask_b32_e32 v25, v25, v5, vcc
	v_cmp_eq_u32_e32 vcc, 4, v0
	v_cndmask_b32_e32 v25, v25, v6, vcc
	v_cmp_eq_u32_e32 vcc, 5, v0
	v_cndmask_b32_e32 v25, v25, v7, vcc
	v_cmp_eq_u32_e32 vcc, 6, v0
	v_cndmask_b32_e32 v25, v25, v8, vcc
	v_cmp_eq_u32_e32 vcc, 7, v0
	v_cndmask_b32_e32 v25, v25, v9, vcc
	v_cmp_eq_u32_e32 vcc, 8, v0
	v_cndmask_b32_e32 v25, v25, v10, vcc
	v_cmp_eq_u32_e32 vcc, 9, v0
	v_cndmask_b32_e32 v25, v25, v11, vcc
	v_cmp_eq_u32_e32 vcc, 10, v0
	v_cndmask_b32_e32 v25, v25, v12, vcc
	v_cmp_eq_u32_e32 vcc, 11, v0
	v_cndmask_b32_e32 v25, v25, v13, vcc
	v_cmp_eq_u32_e32 vcc, 12, v0
	v_cndmask_b32_e32 v25, v25, v14, vcc
	v_cmp_eq_u32_e32 vcc, 13, v0
	v_cndmask_b32_e32 v25, v25, v15, vcc
	v_cmp_eq_u32_e32 vcc, 14, v0
	v_cndmask_b32_e32 v25, v25, v16, vcc
	v_cmp_eq_u32_e32 vcc, 15, v0
	v_cndmask_b32_e32 v25, v25, v17, vcc
	v_cmp_eq_u32_e32 vcc, 16, v0
	v_cndmask_b32_e32 v25, v25, v18, vcc
	v_cmp_eq_u32_e32 vcc, 17, v0
	s_waitcnt vmcnt(5)
	v_cndmask_b32_e32 v25, v25, v19, vcc
	v_cmp_eq_u32_e32 vcc, 18, v0
	s_waitcnt vmcnt(4)
	v_cndmask_b32_e32 v25, v25, v20, vcc
	v_cmp_eq_u32_e32 vcc, 19, v0
	ds_read_b32 v26, v103
	s_waitcnt vmcnt(3)
	v_cndmask_b32_e32 v25, v25, v21, vcc
	v_cmp_eq_u32_e32 vcc, 20, v0
	s_waitcnt vmcnt(2)
	v_cndmask_b32_e32 v25, v25, v22, vcc
	v_cmp_eq_u32_e32 vcc, 21, v0
	;; [unrolled: 3-line block ×3, first 2 shown]
	s_waitcnt vmcnt(0)
	v_cndmask_b32_e32 v25, v25, v24, vcc
	s_waitcnt lgkmcnt(0)
	v_mul_f32_e32 v27, v25, v26
	s_cbranch_execz .LBB22_454
	s_branch .LBB22_455
.LBB22_453:
                                        ; implicit-def: $vgpr27
.LBB22_454:
	ds_read_b32 v27, v103
.LBB22_455:
	v_cmp_ne_u32_e32 vcc, 11, v0
	s_and_saveexec_b64 s[6:7], vcc
	s_cbranch_execz .LBB22_459
; %bb.456:
	v_mov_b32_e32 v25, 0x64
	v_lshl_add_u32 v28, v0, 2, v25
	v_mov_b32_e32 v26, v1
	s_mov_b64 s[8:9], 0
	v_mov_b32_e32 v25, v0
.LBB22_457:                             ; =>This Inner Loop Header: Depth=1
	v_add_co_u32_e32 v25, vcc, 1, v25
	v_addc_co_u32_e32 v26, vcc, 0, v26, vcc
	v_cmp_eq_u32_e32 vcc, 1, v25
	s_waitcnt vmcnt(6)
	v_cndmask_b32_e32 v30, v2, v3, vcc
	v_cmp_lt_u32_e32 vcc, 10, v25
	v_cmp_eq_u32_e64 s[2:3], 2, v25
	v_cndmask_b32_e64 v30, v30, v4, s[2:3]
	s_or_b64 s[8:9], vcc, s[8:9]
	v_cmp_eq_u32_e32 vcc, 3, v25
	v_cndmask_b32_e32 v30, v30, v5, vcc
	v_cmp_eq_u32_e32 vcc, 4, v25
	v_cndmask_b32_e32 v30, v30, v6, vcc
	;; [unrolled: 2-line block ×14, first 2 shown]
	v_cmp_eq_u32_e32 vcc, 17, v25
	s_waitcnt vmcnt(5)
	v_cndmask_b32_e32 v30, v30, v19, vcc
	v_cmp_eq_u32_e32 vcc, 18, v25
	ds_read_b32 v29, v28
	s_waitcnt vmcnt(4)
	v_cndmask_b32_e32 v30, v30, v20, vcc
	v_cmp_eq_u32_e32 vcc, 19, v25
	s_waitcnt vmcnt(3)
	v_cndmask_b32_e32 v30, v30, v21, vcc
	v_cmp_eq_u32_e32 vcc, 20, v25
	;; [unrolled: 3-line block ×4, first 2 shown]
	s_waitcnt vmcnt(0)
	v_cndmask_b32_e32 v30, v30, v24, vcc
	v_add_u32_e32 v28, 4, v28
	s_waitcnt lgkmcnt(0)
	v_fmac_f32_e32 v27, v30, v29
	s_andn2_b64 exec, exec, s[8:9]
	s_cbranch_execnz .LBB22_457
; %bb.458:
	s_or_b64 exec, exec, s[8:9]
.LBB22_459:
	s_or_b64 exec, exec, s[6:7]
	v_mov_b32_e32 v14, 0
	ds_read_b32 v14, v14 offset:48
	s_waitcnt lgkmcnt(0)
	v_mul_f32_e32 v14, v27, v14
.LBB22_460:
	s_or_b64 exec, exec, s[4:5]
	v_cmp_gt_u32_e32 vcc, 13, v0
	s_waitcnt vmcnt(10)
	ds_write_b32 v103, v15
	s_waitcnt lgkmcnt(0)
	; wave barrier
	s_and_saveexec_b64 s[4:5], vcc
	s_cbranch_execz .LBB22_470
; %bb.461:
	s_and_b64 vcc, exec, s[0:1]
	s_cbranch_vccnz .LBB22_463
; %bb.462:
	v_cmp_eq_u32_e32 vcc, 1, v0
	s_waitcnt vmcnt(6)
	v_cndmask_b32_e32 v25, v2, v3, vcc
	v_cmp_eq_u32_e32 vcc, 2, v0
	v_cndmask_b32_e32 v25, v25, v4, vcc
	v_cmp_eq_u32_e32 vcc, 3, v0
	;; [unrolled: 2-line block ×16, first 2 shown]
	s_waitcnt vmcnt(5)
	v_cndmask_b32_e32 v25, v25, v19, vcc
	v_cmp_eq_u32_e32 vcc, 18, v0
	s_waitcnt vmcnt(4)
	v_cndmask_b32_e32 v25, v25, v20, vcc
	v_cmp_eq_u32_e32 vcc, 19, v0
	ds_read_b32 v26, v103
	s_waitcnt vmcnt(3)
	v_cndmask_b32_e32 v25, v25, v21, vcc
	v_cmp_eq_u32_e32 vcc, 20, v0
	s_waitcnt vmcnt(2)
	v_cndmask_b32_e32 v25, v25, v22, vcc
	v_cmp_eq_u32_e32 vcc, 21, v0
	s_waitcnt vmcnt(1)
	v_cndmask_b32_e32 v25, v25, v23, vcc
	v_cmp_eq_u32_e32 vcc, 22, v0
	s_waitcnt vmcnt(0)
	v_cndmask_b32_e32 v25, v25, v24, vcc
	s_waitcnt lgkmcnt(0)
	v_mul_f32_e32 v27, v25, v26
	s_cbranch_execz .LBB22_464
	s_branch .LBB22_465
.LBB22_463:
                                        ; implicit-def: $vgpr27
.LBB22_464:
	ds_read_b32 v27, v103
.LBB22_465:
	v_cmp_ne_u32_e32 vcc, 12, v0
	s_and_saveexec_b64 s[6:7], vcc
	s_cbranch_execz .LBB22_469
; %bb.466:
	v_mov_b32_e32 v25, 0x64
	v_lshl_add_u32 v28, v0, 2, v25
	v_mov_b32_e32 v26, v1
	s_mov_b64 s[8:9], 0
	v_mov_b32_e32 v25, v0
.LBB22_467:                             ; =>This Inner Loop Header: Depth=1
	v_add_co_u32_e32 v25, vcc, 1, v25
	v_addc_co_u32_e32 v26, vcc, 0, v26, vcc
	v_cmp_eq_u32_e32 vcc, 1, v25
	s_waitcnt vmcnt(6)
	v_cndmask_b32_e32 v30, v2, v3, vcc
	v_cmp_lt_u32_e32 vcc, 11, v25
	v_cmp_eq_u32_e64 s[2:3], 2, v25
	v_cndmask_b32_e64 v30, v30, v4, s[2:3]
	s_or_b64 s[8:9], vcc, s[8:9]
	v_cmp_eq_u32_e32 vcc, 3, v25
	v_cndmask_b32_e32 v30, v30, v5, vcc
	v_cmp_eq_u32_e32 vcc, 4, v25
	v_cndmask_b32_e32 v30, v30, v6, vcc
	;; [unrolled: 2-line block ×14, first 2 shown]
	v_cmp_eq_u32_e32 vcc, 17, v25
	s_waitcnt vmcnt(5)
	v_cndmask_b32_e32 v30, v30, v19, vcc
	v_cmp_eq_u32_e32 vcc, 18, v25
	ds_read_b32 v29, v28
	s_waitcnt vmcnt(4)
	v_cndmask_b32_e32 v30, v30, v20, vcc
	v_cmp_eq_u32_e32 vcc, 19, v25
	s_waitcnt vmcnt(3)
	v_cndmask_b32_e32 v30, v30, v21, vcc
	v_cmp_eq_u32_e32 vcc, 20, v25
	;; [unrolled: 3-line block ×4, first 2 shown]
	s_waitcnt vmcnt(0)
	v_cndmask_b32_e32 v30, v30, v24, vcc
	v_add_u32_e32 v28, 4, v28
	s_waitcnt lgkmcnt(0)
	v_fmac_f32_e32 v27, v30, v29
	s_andn2_b64 exec, exec, s[8:9]
	s_cbranch_execnz .LBB22_467
; %bb.468:
	s_or_b64 exec, exec, s[8:9]
.LBB22_469:
	s_or_b64 exec, exec, s[6:7]
	v_mov_b32_e32 v15, 0
	ds_read_b32 v15, v15 offset:52
	s_waitcnt lgkmcnt(0)
	v_mul_f32_e32 v15, v27, v15
.LBB22_470:
	s_or_b64 exec, exec, s[4:5]
	v_cmp_gt_u32_e32 vcc, 14, v0
	s_waitcnt vmcnt(9)
	ds_write_b32 v103, v16
	s_waitcnt lgkmcnt(0)
	; wave barrier
	s_and_saveexec_b64 s[4:5], vcc
	s_cbranch_execz .LBB22_480
; %bb.471:
	s_and_b64 vcc, exec, s[0:1]
	s_cbranch_vccnz .LBB22_473
; %bb.472:
	v_cmp_eq_u32_e32 vcc, 1, v0
	s_waitcnt vmcnt(6)
	v_cndmask_b32_e32 v25, v2, v3, vcc
	v_cmp_eq_u32_e32 vcc, 2, v0
	v_cndmask_b32_e32 v25, v25, v4, vcc
	v_cmp_eq_u32_e32 vcc, 3, v0
	;; [unrolled: 2-line block ×16, first 2 shown]
	s_waitcnt vmcnt(5)
	v_cndmask_b32_e32 v25, v25, v19, vcc
	v_cmp_eq_u32_e32 vcc, 18, v0
	s_waitcnt vmcnt(4)
	v_cndmask_b32_e32 v25, v25, v20, vcc
	v_cmp_eq_u32_e32 vcc, 19, v0
	ds_read_b32 v26, v103
	s_waitcnt vmcnt(3)
	v_cndmask_b32_e32 v25, v25, v21, vcc
	v_cmp_eq_u32_e32 vcc, 20, v0
	s_waitcnt vmcnt(2)
	v_cndmask_b32_e32 v25, v25, v22, vcc
	v_cmp_eq_u32_e32 vcc, 21, v0
	;; [unrolled: 3-line block ×3, first 2 shown]
	s_waitcnt vmcnt(0)
	v_cndmask_b32_e32 v25, v25, v24, vcc
	s_waitcnt lgkmcnt(0)
	v_mul_f32_e32 v27, v25, v26
	s_cbranch_execz .LBB22_474
	s_branch .LBB22_475
.LBB22_473:
                                        ; implicit-def: $vgpr27
.LBB22_474:
	ds_read_b32 v27, v103
.LBB22_475:
	v_cmp_ne_u32_e32 vcc, 13, v0
	s_and_saveexec_b64 s[6:7], vcc
	s_cbranch_execz .LBB22_479
; %bb.476:
	v_mov_b32_e32 v25, 0x64
	v_lshl_add_u32 v28, v0, 2, v25
	v_mov_b32_e32 v26, v1
	s_mov_b64 s[8:9], 0
	v_mov_b32_e32 v25, v0
.LBB22_477:                             ; =>This Inner Loop Header: Depth=1
	v_add_co_u32_e32 v25, vcc, 1, v25
	v_addc_co_u32_e32 v26, vcc, 0, v26, vcc
	v_cmp_eq_u32_e32 vcc, 1, v25
	s_waitcnt vmcnt(6)
	v_cndmask_b32_e32 v30, v2, v3, vcc
	v_cmp_lt_u32_e32 vcc, 12, v25
	v_cmp_eq_u32_e64 s[2:3], 2, v25
	v_cndmask_b32_e64 v30, v30, v4, s[2:3]
	s_or_b64 s[8:9], vcc, s[8:9]
	v_cmp_eq_u32_e32 vcc, 3, v25
	v_cndmask_b32_e32 v30, v30, v5, vcc
	v_cmp_eq_u32_e32 vcc, 4, v25
	v_cndmask_b32_e32 v30, v30, v6, vcc
	v_cmp_eq_u32_e32 vcc, 5, v25
	v_cndmask_b32_e32 v30, v30, v7, vcc
	v_cmp_eq_u32_e32 vcc, 6, v25
	v_cndmask_b32_e32 v30, v30, v8, vcc
	v_cmp_eq_u32_e32 vcc, 7, v25
	v_cndmask_b32_e32 v30, v30, v9, vcc
	v_cmp_eq_u32_e32 vcc, 8, v25
	v_cndmask_b32_e32 v30, v30, v10, vcc
	v_cmp_eq_u32_e32 vcc, 9, v25
	v_cndmask_b32_e32 v30, v30, v11, vcc
	v_cmp_eq_u32_e32 vcc, 10, v25
	v_cndmask_b32_e32 v30, v30, v12, vcc
	v_cmp_eq_u32_e32 vcc, 11, v25
	v_cndmask_b32_e32 v30, v30, v13, vcc
	v_cmp_eq_u32_e32 vcc, 12, v25
	v_cndmask_b32_e32 v30, v30, v14, vcc
	v_cmp_eq_u32_e32 vcc, 13, v25
	v_cndmask_b32_e32 v30, v30, v15, vcc
	v_cmp_eq_u32_e32 vcc, 14, v25
	v_cndmask_b32_e32 v30, v30, v16, vcc
	v_cmp_eq_u32_e32 vcc, 15, v25
	v_cndmask_b32_e32 v30, v30, v17, vcc
	v_cmp_eq_u32_e32 vcc, 16, v25
	v_cndmask_b32_e32 v30, v30, v18, vcc
	v_cmp_eq_u32_e32 vcc, 17, v25
	s_waitcnt vmcnt(5)
	v_cndmask_b32_e32 v30, v30, v19, vcc
	v_cmp_eq_u32_e32 vcc, 18, v25
	ds_read_b32 v29, v28
	s_waitcnt vmcnt(4)
	v_cndmask_b32_e32 v30, v30, v20, vcc
	v_cmp_eq_u32_e32 vcc, 19, v25
	s_waitcnt vmcnt(3)
	v_cndmask_b32_e32 v30, v30, v21, vcc
	v_cmp_eq_u32_e32 vcc, 20, v25
	;; [unrolled: 3-line block ×4, first 2 shown]
	s_waitcnt vmcnt(0)
	v_cndmask_b32_e32 v30, v30, v24, vcc
	v_add_u32_e32 v28, 4, v28
	s_waitcnt lgkmcnt(0)
	v_fmac_f32_e32 v27, v30, v29
	s_andn2_b64 exec, exec, s[8:9]
	s_cbranch_execnz .LBB22_477
; %bb.478:
	s_or_b64 exec, exec, s[8:9]
.LBB22_479:
	s_or_b64 exec, exec, s[6:7]
	v_mov_b32_e32 v16, 0
	ds_read_b32 v16, v16 offset:56
	s_waitcnt lgkmcnt(0)
	v_mul_f32_e32 v16, v27, v16
.LBB22_480:
	s_or_b64 exec, exec, s[4:5]
	v_cmp_gt_u32_e32 vcc, 15, v0
	s_waitcnt vmcnt(8)
	ds_write_b32 v103, v17
	s_waitcnt lgkmcnt(0)
	; wave barrier
	s_and_saveexec_b64 s[4:5], vcc
	s_cbranch_execz .LBB22_490
; %bb.481:
	s_and_b64 vcc, exec, s[0:1]
	s_cbranch_vccnz .LBB22_483
; %bb.482:
	v_cmp_eq_u32_e32 vcc, 1, v0
	s_waitcnt vmcnt(6)
	v_cndmask_b32_e32 v25, v2, v3, vcc
	v_cmp_eq_u32_e32 vcc, 2, v0
	v_cndmask_b32_e32 v25, v25, v4, vcc
	v_cmp_eq_u32_e32 vcc, 3, v0
	;; [unrolled: 2-line block ×16, first 2 shown]
	s_waitcnt vmcnt(5)
	v_cndmask_b32_e32 v25, v25, v19, vcc
	v_cmp_eq_u32_e32 vcc, 18, v0
	s_waitcnt vmcnt(4)
	v_cndmask_b32_e32 v25, v25, v20, vcc
	v_cmp_eq_u32_e32 vcc, 19, v0
	ds_read_b32 v26, v103
	s_waitcnt vmcnt(3)
	v_cndmask_b32_e32 v25, v25, v21, vcc
	v_cmp_eq_u32_e32 vcc, 20, v0
	s_waitcnt vmcnt(2)
	v_cndmask_b32_e32 v25, v25, v22, vcc
	v_cmp_eq_u32_e32 vcc, 21, v0
	;; [unrolled: 3-line block ×3, first 2 shown]
	s_waitcnt vmcnt(0)
	v_cndmask_b32_e32 v25, v25, v24, vcc
	s_waitcnt lgkmcnt(0)
	v_mul_f32_e32 v27, v25, v26
	s_cbranch_execz .LBB22_484
	s_branch .LBB22_485
.LBB22_483:
                                        ; implicit-def: $vgpr27
.LBB22_484:
	ds_read_b32 v27, v103
.LBB22_485:
	v_cmp_ne_u32_e32 vcc, 14, v0
	s_and_saveexec_b64 s[6:7], vcc
	s_cbranch_execz .LBB22_489
; %bb.486:
	v_mov_b32_e32 v25, 0x64
	v_lshl_add_u32 v28, v0, 2, v25
	v_mov_b32_e32 v26, v1
	s_mov_b64 s[8:9], 0
	v_mov_b32_e32 v25, v0
.LBB22_487:                             ; =>This Inner Loop Header: Depth=1
	v_add_co_u32_e32 v25, vcc, 1, v25
	v_addc_co_u32_e32 v26, vcc, 0, v26, vcc
	v_cmp_eq_u32_e32 vcc, 1, v25
	s_waitcnt vmcnt(6)
	v_cndmask_b32_e32 v30, v2, v3, vcc
	v_cmp_lt_u32_e32 vcc, 13, v25
	v_cmp_eq_u32_e64 s[2:3], 2, v25
	v_cndmask_b32_e64 v30, v30, v4, s[2:3]
	s_or_b64 s[8:9], vcc, s[8:9]
	v_cmp_eq_u32_e32 vcc, 3, v25
	v_cndmask_b32_e32 v30, v30, v5, vcc
	v_cmp_eq_u32_e32 vcc, 4, v25
	v_cndmask_b32_e32 v30, v30, v6, vcc
	;; [unrolled: 2-line block ×14, first 2 shown]
	v_cmp_eq_u32_e32 vcc, 17, v25
	s_waitcnt vmcnt(5)
	v_cndmask_b32_e32 v30, v30, v19, vcc
	v_cmp_eq_u32_e32 vcc, 18, v25
	ds_read_b32 v29, v28
	s_waitcnt vmcnt(4)
	v_cndmask_b32_e32 v30, v30, v20, vcc
	v_cmp_eq_u32_e32 vcc, 19, v25
	s_waitcnt vmcnt(3)
	v_cndmask_b32_e32 v30, v30, v21, vcc
	v_cmp_eq_u32_e32 vcc, 20, v25
	;; [unrolled: 3-line block ×4, first 2 shown]
	s_waitcnt vmcnt(0)
	v_cndmask_b32_e32 v30, v30, v24, vcc
	v_add_u32_e32 v28, 4, v28
	s_waitcnt lgkmcnt(0)
	v_fmac_f32_e32 v27, v30, v29
	s_andn2_b64 exec, exec, s[8:9]
	s_cbranch_execnz .LBB22_487
; %bb.488:
	s_or_b64 exec, exec, s[8:9]
.LBB22_489:
	s_or_b64 exec, exec, s[6:7]
	v_mov_b32_e32 v17, 0
	ds_read_b32 v17, v17 offset:60
	s_waitcnt lgkmcnt(0)
	v_mul_f32_e32 v17, v27, v17
.LBB22_490:
	s_or_b64 exec, exec, s[4:5]
	v_cmp_gt_u32_e32 vcc, 16, v0
	s_waitcnt vmcnt(7)
	ds_write_b32 v103, v18
	s_waitcnt lgkmcnt(0)
	; wave barrier
	s_and_saveexec_b64 s[4:5], vcc
	s_cbranch_execz .LBB22_500
; %bb.491:
	s_and_b64 vcc, exec, s[0:1]
	s_cbranch_vccnz .LBB22_493
; %bb.492:
	v_cmp_eq_u32_e32 vcc, 1, v0
	s_waitcnt vmcnt(6)
	v_cndmask_b32_e32 v25, v2, v3, vcc
	v_cmp_eq_u32_e32 vcc, 2, v0
	v_cndmask_b32_e32 v25, v25, v4, vcc
	v_cmp_eq_u32_e32 vcc, 3, v0
	;; [unrolled: 2-line block ×16, first 2 shown]
	s_waitcnt vmcnt(5)
	v_cndmask_b32_e32 v25, v25, v19, vcc
	v_cmp_eq_u32_e32 vcc, 18, v0
	s_waitcnt vmcnt(4)
	v_cndmask_b32_e32 v25, v25, v20, vcc
	v_cmp_eq_u32_e32 vcc, 19, v0
	ds_read_b32 v26, v103
	s_waitcnt vmcnt(3)
	v_cndmask_b32_e32 v25, v25, v21, vcc
	v_cmp_eq_u32_e32 vcc, 20, v0
	s_waitcnt vmcnt(2)
	v_cndmask_b32_e32 v25, v25, v22, vcc
	v_cmp_eq_u32_e32 vcc, 21, v0
	;; [unrolled: 3-line block ×3, first 2 shown]
	s_waitcnt vmcnt(0)
	v_cndmask_b32_e32 v25, v25, v24, vcc
	s_waitcnt lgkmcnt(0)
	v_mul_f32_e32 v27, v25, v26
	s_cbranch_execz .LBB22_494
	s_branch .LBB22_495
.LBB22_493:
                                        ; implicit-def: $vgpr27
.LBB22_494:
	ds_read_b32 v27, v103
.LBB22_495:
	v_cmp_ne_u32_e32 vcc, 15, v0
	s_and_saveexec_b64 s[6:7], vcc
	s_cbranch_execz .LBB22_499
; %bb.496:
	v_mov_b32_e32 v25, 0x64
	v_lshl_add_u32 v28, v0, 2, v25
	v_mov_b32_e32 v26, v1
	s_mov_b64 s[8:9], 0
	v_mov_b32_e32 v25, v0
.LBB22_497:                             ; =>This Inner Loop Header: Depth=1
	v_add_co_u32_e32 v25, vcc, 1, v25
	v_addc_co_u32_e32 v26, vcc, 0, v26, vcc
	v_cmp_eq_u32_e32 vcc, 1, v25
	s_waitcnt vmcnt(6)
	v_cndmask_b32_e32 v30, v2, v3, vcc
	v_cmp_lt_u32_e32 vcc, 14, v25
	v_cmp_eq_u32_e64 s[2:3], 2, v25
	v_cndmask_b32_e64 v30, v30, v4, s[2:3]
	s_or_b64 s[8:9], vcc, s[8:9]
	v_cmp_eq_u32_e32 vcc, 3, v25
	v_cndmask_b32_e32 v30, v30, v5, vcc
	v_cmp_eq_u32_e32 vcc, 4, v25
	v_cndmask_b32_e32 v30, v30, v6, vcc
	;; [unrolled: 2-line block ×14, first 2 shown]
	v_cmp_eq_u32_e32 vcc, 17, v25
	s_waitcnt vmcnt(5)
	v_cndmask_b32_e32 v30, v30, v19, vcc
	v_cmp_eq_u32_e32 vcc, 18, v25
	ds_read_b32 v29, v28
	s_waitcnt vmcnt(4)
	v_cndmask_b32_e32 v30, v30, v20, vcc
	v_cmp_eq_u32_e32 vcc, 19, v25
	s_waitcnt vmcnt(3)
	v_cndmask_b32_e32 v30, v30, v21, vcc
	v_cmp_eq_u32_e32 vcc, 20, v25
	;; [unrolled: 3-line block ×4, first 2 shown]
	s_waitcnt vmcnt(0)
	v_cndmask_b32_e32 v30, v30, v24, vcc
	v_add_u32_e32 v28, 4, v28
	s_waitcnt lgkmcnt(0)
	v_fmac_f32_e32 v27, v30, v29
	s_andn2_b64 exec, exec, s[8:9]
	s_cbranch_execnz .LBB22_497
; %bb.498:
	s_or_b64 exec, exec, s[8:9]
.LBB22_499:
	s_or_b64 exec, exec, s[6:7]
	v_mov_b32_e32 v18, 0
	ds_read_b32 v18, v18 offset:64
	s_waitcnt lgkmcnt(0)
	v_mul_f32_e32 v18, v27, v18
.LBB22_500:
	s_or_b64 exec, exec, s[4:5]
	v_cmp_gt_u32_e32 vcc, 17, v0
	s_waitcnt vmcnt(5)
	ds_write_b32 v103, v19
	s_waitcnt lgkmcnt(0)
	; wave barrier
	s_and_saveexec_b64 s[4:5], vcc
	s_cbranch_execz .LBB22_510
; %bb.501:
	s_and_b64 vcc, exec, s[0:1]
	s_cbranch_vccnz .LBB22_503
; %bb.502:
	v_cmp_eq_u32_e32 vcc, 1, v0
	v_cndmask_b32_e32 v25, v2, v3, vcc
	v_cmp_eq_u32_e32 vcc, 2, v0
	v_cndmask_b32_e32 v25, v25, v4, vcc
	;; [unrolled: 2-line block ×17, first 2 shown]
	v_cmp_eq_u32_e32 vcc, 18, v0
	s_waitcnt vmcnt(4)
	v_cndmask_b32_e32 v25, v25, v20, vcc
	v_cmp_eq_u32_e32 vcc, 19, v0
	ds_read_b32 v26, v103
	s_waitcnt vmcnt(3)
	v_cndmask_b32_e32 v25, v25, v21, vcc
	v_cmp_eq_u32_e32 vcc, 20, v0
	s_waitcnt vmcnt(2)
	v_cndmask_b32_e32 v25, v25, v22, vcc
	v_cmp_eq_u32_e32 vcc, 21, v0
	s_waitcnt vmcnt(1)
	v_cndmask_b32_e32 v25, v25, v23, vcc
	v_cmp_eq_u32_e32 vcc, 22, v0
	s_waitcnt vmcnt(0)
	v_cndmask_b32_e32 v25, v25, v24, vcc
	s_waitcnt lgkmcnt(0)
	v_mul_f32_e32 v27, v25, v26
	s_cbranch_execz .LBB22_504
	s_branch .LBB22_505
.LBB22_503:
                                        ; implicit-def: $vgpr27
.LBB22_504:
	ds_read_b32 v27, v103
.LBB22_505:
	v_cmp_ne_u32_e32 vcc, 16, v0
	s_and_saveexec_b64 s[6:7], vcc
	s_cbranch_execz .LBB22_509
; %bb.506:
	v_mov_b32_e32 v25, 0x64
	v_lshl_add_u32 v28, v0, 2, v25
	v_mov_b32_e32 v26, v1
	s_mov_b64 s[8:9], 0
	v_mov_b32_e32 v25, v0
.LBB22_507:                             ; =>This Inner Loop Header: Depth=1
	v_add_co_u32_e32 v25, vcc, 1, v25
	v_addc_co_u32_e32 v26, vcc, 0, v26, vcc
	v_cmp_eq_u32_e32 vcc, 1, v25
	v_cndmask_b32_e32 v30, v2, v3, vcc
	v_cmp_lt_u32_e32 vcc, 15, v25
	v_cmp_eq_u32_e64 s[2:3], 2, v25
	v_cndmask_b32_e64 v30, v30, v4, s[2:3]
	s_or_b64 s[8:9], vcc, s[8:9]
	v_cmp_eq_u32_e32 vcc, 3, v25
	v_cndmask_b32_e32 v30, v30, v5, vcc
	v_cmp_eq_u32_e32 vcc, 4, v25
	v_cndmask_b32_e32 v30, v30, v6, vcc
	;; [unrolled: 2-line block ×15, first 2 shown]
	v_cmp_eq_u32_e32 vcc, 18, v25
	ds_read_b32 v29, v28
	s_waitcnt vmcnt(4)
	v_cndmask_b32_e32 v30, v30, v20, vcc
	v_cmp_eq_u32_e32 vcc, 19, v25
	s_waitcnt vmcnt(3)
	v_cndmask_b32_e32 v30, v30, v21, vcc
	v_cmp_eq_u32_e32 vcc, 20, v25
	;; [unrolled: 3-line block ×4, first 2 shown]
	s_waitcnt vmcnt(0)
	v_cndmask_b32_e32 v30, v30, v24, vcc
	v_add_u32_e32 v28, 4, v28
	s_waitcnt lgkmcnt(0)
	v_fmac_f32_e32 v27, v30, v29
	s_andn2_b64 exec, exec, s[8:9]
	s_cbranch_execnz .LBB22_507
; %bb.508:
	s_or_b64 exec, exec, s[8:9]
.LBB22_509:
	s_or_b64 exec, exec, s[6:7]
	v_mov_b32_e32 v19, 0
	ds_read_b32 v19, v19 offset:68
	s_waitcnt lgkmcnt(0)
	v_mul_f32_e32 v19, v27, v19
.LBB22_510:
	s_or_b64 exec, exec, s[4:5]
	v_cmp_gt_u32_e32 vcc, 18, v0
	s_waitcnt vmcnt(4)
	ds_write_b32 v103, v20
	s_waitcnt lgkmcnt(0)
	; wave barrier
	s_and_saveexec_b64 s[4:5], vcc
	s_cbranch_execz .LBB22_520
; %bb.511:
	s_and_b64 vcc, exec, s[0:1]
	s_cbranch_vccnz .LBB22_513
; %bb.512:
	v_cmp_eq_u32_e32 vcc, 1, v0
	v_cndmask_b32_e32 v25, v2, v3, vcc
	v_cmp_eq_u32_e32 vcc, 2, v0
	v_cndmask_b32_e32 v25, v25, v4, vcc
	;; [unrolled: 2-line block ×18, first 2 shown]
	v_cmp_eq_u32_e32 vcc, 19, v0
	ds_read_b32 v26, v103
	s_waitcnt vmcnt(3)
	v_cndmask_b32_e32 v25, v25, v21, vcc
	v_cmp_eq_u32_e32 vcc, 20, v0
	s_waitcnt vmcnt(2)
	v_cndmask_b32_e32 v25, v25, v22, vcc
	v_cmp_eq_u32_e32 vcc, 21, v0
	s_waitcnt vmcnt(1)
	v_cndmask_b32_e32 v25, v25, v23, vcc
	v_cmp_eq_u32_e32 vcc, 22, v0
	s_waitcnt vmcnt(0)
	v_cndmask_b32_e32 v25, v25, v24, vcc
	s_waitcnt lgkmcnt(0)
	v_mul_f32_e32 v27, v25, v26
	s_cbranch_execz .LBB22_514
	s_branch .LBB22_515
.LBB22_513:
                                        ; implicit-def: $vgpr27
.LBB22_514:
	ds_read_b32 v27, v103
.LBB22_515:
	v_cmp_ne_u32_e32 vcc, 17, v0
	s_and_saveexec_b64 s[6:7], vcc
	s_cbranch_execz .LBB22_519
; %bb.516:
	v_mov_b32_e32 v25, 0x64
	v_lshl_add_u32 v28, v0, 2, v25
	v_mov_b32_e32 v26, v1
	s_mov_b64 s[8:9], 0
	v_mov_b32_e32 v25, v0
.LBB22_517:                             ; =>This Inner Loop Header: Depth=1
	v_add_co_u32_e32 v25, vcc, 1, v25
	v_addc_co_u32_e32 v26, vcc, 0, v26, vcc
	v_cmp_eq_u32_e32 vcc, 1, v25
	v_cndmask_b32_e32 v30, v2, v3, vcc
	v_cmp_lt_u32_e32 vcc, 16, v25
	v_cmp_eq_u32_e64 s[2:3], 2, v25
	v_cndmask_b32_e64 v30, v30, v4, s[2:3]
	s_or_b64 s[8:9], vcc, s[8:9]
	v_cmp_eq_u32_e32 vcc, 3, v25
	v_cndmask_b32_e32 v30, v30, v5, vcc
	v_cmp_eq_u32_e32 vcc, 4, v25
	v_cndmask_b32_e32 v30, v30, v6, vcc
	v_cmp_eq_u32_e32 vcc, 5, v25
	v_cndmask_b32_e32 v30, v30, v7, vcc
	v_cmp_eq_u32_e32 vcc, 6, v25
	v_cndmask_b32_e32 v30, v30, v8, vcc
	v_cmp_eq_u32_e32 vcc, 7, v25
	v_cndmask_b32_e32 v30, v30, v9, vcc
	v_cmp_eq_u32_e32 vcc, 8, v25
	v_cndmask_b32_e32 v30, v30, v10, vcc
	v_cmp_eq_u32_e32 vcc, 9, v25
	v_cndmask_b32_e32 v30, v30, v11, vcc
	v_cmp_eq_u32_e32 vcc, 10, v25
	v_cndmask_b32_e32 v30, v30, v12, vcc
	v_cmp_eq_u32_e32 vcc, 11, v25
	v_cndmask_b32_e32 v30, v30, v13, vcc
	v_cmp_eq_u32_e32 vcc, 12, v25
	v_cndmask_b32_e32 v30, v30, v14, vcc
	v_cmp_eq_u32_e32 vcc, 13, v25
	v_cndmask_b32_e32 v30, v30, v15, vcc
	v_cmp_eq_u32_e32 vcc, 14, v25
	v_cndmask_b32_e32 v30, v30, v16, vcc
	v_cmp_eq_u32_e32 vcc, 15, v25
	v_cndmask_b32_e32 v30, v30, v17, vcc
	v_cmp_eq_u32_e32 vcc, 16, v25
	v_cndmask_b32_e32 v30, v30, v18, vcc
	v_cmp_eq_u32_e32 vcc, 17, v25
	v_cndmask_b32_e32 v30, v30, v19, vcc
	v_cmp_eq_u32_e32 vcc, 18, v25
	ds_read_b32 v29, v28
	v_cndmask_b32_e32 v30, v30, v20, vcc
	v_cmp_eq_u32_e32 vcc, 19, v25
	s_waitcnt vmcnt(3)
	v_cndmask_b32_e32 v30, v30, v21, vcc
	v_cmp_eq_u32_e32 vcc, 20, v25
	s_waitcnt vmcnt(2)
	;; [unrolled: 3-line block ×4, first 2 shown]
	v_cndmask_b32_e32 v30, v30, v24, vcc
	v_add_u32_e32 v28, 4, v28
	s_waitcnt lgkmcnt(0)
	v_fmac_f32_e32 v27, v30, v29
	s_andn2_b64 exec, exec, s[8:9]
	s_cbranch_execnz .LBB22_517
; %bb.518:
	s_or_b64 exec, exec, s[8:9]
.LBB22_519:
	s_or_b64 exec, exec, s[6:7]
	v_mov_b32_e32 v20, 0
	ds_read_b32 v20, v20 offset:72
	s_waitcnt lgkmcnt(0)
	v_mul_f32_e32 v20, v27, v20
.LBB22_520:
	s_or_b64 exec, exec, s[4:5]
	v_cmp_gt_u32_e32 vcc, 19, v0
	s_waitcnt vmcnt(3)
	ds_write_b32 v103, v21
	s_waitcnt lgkmcnt(0)
	; wave barrier
	s_and_saveexec_b64 s[4:5], vcc
	s_cbranch_execz .LBB22_530
; %bb.521:
	s_and_b64 vcc, exec, s[0:1]
	s_cbranch_vccnz .LBB22_523
; %bb.522:
	v_cmp_eq_u32_e32 vcc, 1, v0
	v_cndmask_b32_e32 v25, v2, v3, vcc
	v_cmp_eq_u32_e32 vcc, 2, v0
	v_cndmask_b32_e32 v25, v25, v4, vcc
	;; [unrolled: 2-line block ×18, first 2 shown]
	v_cmp_eq_u32_e32 vcc, 19, v0
	ds_read_b32 v26, v103
	v_cndmask_b32_e32 v25, v25, v21, vcc
	v_cmp_eq_u32_e32 vcc, 20, v0
	s_waitcnt vmcnt(2)
	v_cndmask_b32_e32 v25, v25, v22, vcc
	v_cmp_eq_u32_e32 vcc, 21, v0
	s_waitcnt vmcnt(1)
	;; [unrolled: 3-line block ×3, first 2 shown]
	v_cndmask_b32_e32 v25, v25, v24, vcc
	s_waitcnt lgkmcnt(0)
	v_mul_f32_e32 v27, v25, v26
	s_cbranch_execz .LBB22_524
	s_branch .LBB22_525
.LBB22_523:
                                        ; implicit-def: $vgpr27
.LBB22_524:
	ds_read_b32 v27, v103
.LBB22_525:
	v_cmp_ne_u32_e32 vcc, 18, v0
	s_and_saveexec_b64 s[6:7], vcc
	s_cbranch_execz .LBB22_529
; %bb.526:
	v_mov_b32_e32 v25, 0x64
	v_lshl_add_u32 v28, v0, 2, v25
	v_mov_b32_e32 v26, v1
	s_mov_b64 s[8:9], 0
	v_mov_b32_e32 v25, v0
.LBB22_527:                             ; =>This Inner Loop Header: Depth=1
	v_add_co_u32_e32 v25, vcc, 1, v25
	v_addc_co_u32_e32 v26, vcc, 0, v26, vcc
	v_cmp_eq_u32_e32 vcc, 1, v25
	v_cndmask_b32_e32 v30, v2, v3, vcc
	v_cmp_lt_u32_e32 vcc, 17, v25
	v_cmp_eq_u32_e64 s[2:3], 2, v25
	v_cndmask_b32_e64 v30, v30, v4, s[2:3]
	s_or_b64 s[8:9], vcc, s[8:9]
	v_cmp_eq_u32_e32 vcc, 3, v25
	v_cndmask_b32_e32 v30, v30, v5, vcc
	v_cmp_eq_u32_e32 vcc, 4, v25
	v_cndmask_b32_e32 v30, v30, v6, vcc
	;; [unrolled: 2-line block ×15, first 2 shown]
	v_cmp_eq_u32_e32 vcc, 18, v25
	ds_read_b32 v29, v28
	v_cndmask_b32_e32 v30, v30, v20, vcc
	v_cmp_eq_u32_e32 vcc, 19, v25
	v_cndmask_b32_e32 v30, v30, v21, vcc
	v_cmp_eq_u32_e32 vcc, 20, v25
	s_waitcnt vmcnt(2)
	v_cndmask_b32_e32 v30, v30, v22, vcc
	v_cmp_eq_u32_e32 vcc, 21, v25
	s_waitcnt vmcnt(1)
	;; [unrolled: 3-line block ×3, first 2 shown]
	v_cndmask_b32_e32 v30, v30, v24, vcc
	v_add_u32_e32 v28, 4, v28
	s_waitcnt lgkmcnt(0)
	v_fmac_f32_e32 v27, v30, v29
	s_andn2_b64 exec, exec, s[8:9]
	s_cbranch_execnz .LBB22_527
; %bb.528:
	s_or_b64 exec, exec, s[8:9]
.LBB22_529:
	s_or_b64 exec, exec, s[6:7]
	v_mov_b32_e32 v21, 0
	ds_read_b32 v21, v21 offset:76
	s_waitcnt lgkmcnt(0)
	v_mul_f32_e32 v21, v27, v21
.LBB22_530:
	s_or_b64 exec, exec, s[4:5]
	v_cmp_gt_u32_e32 vcc, 20, v0
	s_waitcnt vmcnt(2)
	ds_write_b32 v103, v22
	s_waitcnt lgkmcnt(0)
	; wave barrier
	s_and_saveexec_b64 s[4:5], vcc
	s_cbranch_execz .LBB22_540
; %bb.531:
	s_and_b64 vcc, exec, s[0:1]
	s_cbranch_vccnz .LBB22_533
; %bb.532:
	v_cmp_eq_u32_e32 vcc, 1, v0
	v_cndmask_b32_e32 v25, v2, v3, vcc
	v_cmp_eq_u32_e32 vcc, 2, v0
	v_cndmask_b32_e32 v25, v25, v4, vcc
	;; [unrolled: 2-line block ×18, first 2 shown]
	v_cmp_eq_u32_e32 vcc, 19, v0
	ds_read_b32 v26, v103
	v_cndmask_b32_e32 v25, v25, v21, vcc
	v_cmp_eq_u32_e32 vcc, 20, v0
	v_cndmask_b32_e32 v25, v25, v22, vcc
	v_cmp_eq_u32_e32 vcc, 21, v0
	s_waitcnt vmcnt(1)
	v_cndmask_b32_e32 v25, v25, v23, vcc
	v_cmp_eq_u32_e32 vcc, 22, v0
	s_waitcnt vmcnt(0)
	v_cndmask_b32_e32 v25, v25, v24, vcc
	s_waitcnt lgkmcnt(0)
	v_mul_f32_e32 v27, v25, v26
	s_cbranch_execz .LBB22_534
	s_branch .LBB22_535
.LBB22_533:
                                        ; implicit-def: $vgpr27
.LBB22_534:
	ds_read_b32 v27, v103
.LBB22_535:
	v_cmp_ne_u32_e32 vcc, 19, v0
	s_and_saveexec_b64 s[6:7], vcc
	s_cbranch_execz .LBB22_539
; %bb.536:
	v_mov_b32_e32 v25, 0x64
	v_lshl_add_u32 v28, v0, 2, v25
	v_mov_b32_e32 v26, v1
	s_mov_b64 s[8:9], 0
	v_mov_b32_e32 v25, v0
.LBB22_537:                             ; =>This Inner Loop Header: Depth=1
	v_add_co_u32_e32 v25, vcc, 1, v25
	v_addc_co_u32_e32 v26, vcc, 0, v26, vcc
	v_cmp_eq_u32_e32 vcc, 1, v25
	v_cndmask_b32_e32 v30, v2, v3, vcc
	v_cmp_lt_u32_e32 vcc, 18, v25
	v_cmp_eq_u32_e64 s[2:3], 2, v25
	v_cndmask_b32_e64 v30, v30, v4, s[2:3]
	s_or_b64 s[8:9], vcc, s[8:9]
	v_cmp_eq_u32_e32 vcc, 3, v25
	v_cndmask_b32_e32 v30, v30, v5, vcc
	v_cmp_eq_u32_e32 vcc, 4, v25
	v_cndmask_b32_e32 v30, v30, v6, vcc
	;; [unrolled: 2-line block ×15, first 2 shown]
	v_cmp_eq_u32_e32 vcc, 18, v25
	ds_read_b32 v29, v28
	v_cndmask_b32_e32 v30, v30, v20, vcc
	v_cmp_eq_u32_e32 vcc, 19, v25
	v_cndmask_b32_e32 v30, v30, v21, vcc
	v_cmp_eq_u32_e32 vcc, 20, v25
	;; [unrolled: 2-line block ×3, first 2 shown]
	s_waitcnt vmcnt(1)
	v_cndmask_b32_e32 v30, v30, v23, vcc
	v_cmp_eq_u32_e32 vcc, 22, v25
	s_waitcnt vmcnt(0)
	v_cndmask_b32_e32 v30, v30, v24, vcc
	v_add_u32_e32 v28, 4, v28
	s_waitcnt lgkmcnt(0)
	v_fmac_f32_e32 v27, v30, v29
	s_andn2_b64 exec, exec, s[8:9]
	s_cbranch_execnz .LBB22_537
; %bb.538:
	s_or_b64 exec, exec, s[8:9]
.LBB22_539:
	s_or_b64 exec, exec, s[6:7]
	v_mov_b32_e32 v22, 0
	ds_read_b32 v22, v22 offset:80
	s_waitcnt lgkmcnt(0)
	v_mul_f32_e32 v22, v27, v22
.LBB22_540:
	s_or_b64 exec, exec, s[4:5]
	v_cmp_gt_u32_e64 s[2:3], 21, v0
	s_waitcnt vmcnt(1)
	ds_write_b32 v103, v23
	s_waitcnt lgkmcnt(0)
	; wave barrier
	s_and_saveexec_b64 s[6:7], s[2:3]
	s_cbranch_execz .LBB22_550
; %bb.541:
	s_and_b64 vcc, exec, s[0:1]
	s_cbranch_vccnz .LBB22_543
; %bb.542:
	v_cmp_eq_u32_e32 vcc, 1, v0
	v_cndmask_b32_e32 v25, v2, v3, vcc
	v_cmp_eq_u32_e32 vcc, 2, v0
	v_cndmask_b32_e32 v25, v25, v4, vcc
	;; [unrolled: 2-line block ×18, first 2 shown]
	v_cmp_eq_u32_e32 vcc, 19, v0
	ds_read_b32 v26, v103
	v_cndmask_b32_e32 v25, v25, v21, vcc
	v_cmp_eq_u32_e32 vcc, 20, v0
	v_cndmask_b32_e32 v25, v25, v22, vcc
	v_cmp_eq_u32_e32 vcc, 21, v0
	;; [unrolled: 2-line block ×3, first 2 shown]
	s_waitcnt vmcnt(0)
	v_cndmask_b32_e32 v25, v25, v24, vcc
	s_waitcnt lgkmcnt(0)
	v_mul_f32_e32 v27, v25, v26
	s_cbranch_execz .LBB22_544
	s_branch .LBB22_545
.LBB22_543:
                                        ; implicit-def: $vgpr27
.LBB22_544:
	ds_read_b32 v27, v103
.LBB22_545:
	v_cmp_ne_u32_e32 vcc, 20, v0
	s_and_saveexec_b64 s[8:9], vcc
	s_cbranch_execz .LBB22_549
; %bb.546:
	v_mov_b32_e32 v25, 0x64
	v_lshl_add_u32 v28, v0, 2, v25
	v_mov_b32_e32 v26, v1
	s_mov_b64 s[10:11], 0
	v_mov_b32_e32 v25, v0
.LBB22_547:                             ; =>This Inner Loop Header: Depth=1
	v_add_co_u32_e32 v25, vcc, 1, v25
	v_addc_co_u32_e32 v26, vcc, 0, v26, vcc
	v_cmp_eq_u32_e32 vcc, 1, v25
	v_cndmask_b32_e32 v30, v2, v3, vcc
	v_cmp_lt_u32_e32 vcc, 19, v25
	v_cmp_eq_u32_e64 s[4:5], 2, v25
	v_cndmask_b32_e64 v30, v30, v4, s[4:5]
	s_or_b64 s[10:11], vcc, s[10:11]
	v_cmp_eq_u32_e32 vcc, 3, v25
	v_cndmask_b32_e32 v30, v30, v5, vcc
	v_cmp_eq_u32_e32 vcc, 4, v25
	v_cndmask_b32_e32 v30, v30, v6, vcc
	v_cmp_eq_u32_e32 vcc, 5, v25
	v_cndmask_b32_e32 v30, v30, v7, vcc
	v_cmp_eq_u32_e32 vcc, 6, v25
	v_cndmask_b32_e32 v30, v30, v8, vcc
	v_cmp_eq_u32_e32 vcc, 7, v25
	v_cndmask_b32_e32 v30, v30, v9, vcc
	v_cmp_eq_u32_e32 vcc, 8, v25
	v_cndmask_b32_e32 v30, v30, v10, vcc
	v_cmp_eq_u32_e32 vcc, 9, v25
	v_cndmask_b32_e32 v30, v30, v11, vcc
	v_cmp_eq_u32_e32 vcc, 10, v25
	v_cndmask_b32_e32 v30, v30, v12, vcc
	v_cmp_eq_u32_e32 vcc, 11, v25
	v_cndmask_b32_e32 v30, v30, v13, vcc
	v_cmp_eq_u32_e32 vcc, 12, v25
	v_cndmask_b32_e32 v30, v30, v14, vcc
	v_cmp_eq_u32_e32 vcc, 13, v25
	v_cndmask_b32_e32 v30, v30, v15, vcc
	v_cmp_eq_u32_e32 vcc, 14, v25
	v_cndmask_b32_e32 v30, v30, v16, vcc
	v_cmp_eq_u32_e32 vcc, 15, v25
	v_cndmask_b32_e32 v30, v30, v17, vcc
	v_cmp_eq_u32_e32 vcc, 16, v25
	v_cndmask_b32_e32 v30, v30, v18, vcc
	v_cmp_eq_u32_e32 vcc, 17, v25
	v_cndmask_b32_e32 v30, v30, v19, vcc
	v_cmp_eq_u32_e32 vcc, 18, v25
	ds_read_b32 v29, v28
	v_cndmask_b32_e32 v30, v30, v20, vcc
	v_cmp_eq_u32_e32 vcc, 19, v25
	v_cndmask_b32_e32 v30, v30, v21, vcc
	v_cmp_eq_u32_e32 vcc, 20, v25
	;; [unrolled: 2-line block ×4, first 2 shown]
	s_waitcnt vmcnt(0)
	v_cndmask_b32_e32 v30, v30, v24, vcc
	v_add_u32_e32 v28, 4, v28
	s_waitcnt lgkmcnt(0)
	v_fmac_f32_e32 v27, v30, v29
	s_andn2_b64 exec, exec, s[10:11]
	s_cbranch_execnz .LBB22_547
; %bb.548:
	s_or_b64 exec, exec, s[10:11]
.LBB22_549:
	s_or_b64 exec, exec, s[8:9]
	v_mov_b32_e32 v23, 0
	ds_read_b32 v23, v23 offset:84
	s_waitcnt lgkmcnt(0)
	v_mul_f32_e32 v23, v27, v23
.LBB22_550:
	s_or_b64 exec, exec, s[6:7]
	v_cmp_ne_u32_e32 vcc, 22, v0
	s_waitcnt vmcnt(0)
	ds_write_b32 v103, v24
	s_waitcnt lgkmcnt(0)
	; wave barrier
	s_and_saveexec_b64 s[4:5], vcc
	s_cbranch_execz .LBB22_560
; %bb.551:
	s_and_b64 vcc, exec, s[0:1]
	s_cbranch_vccnz .LBB22_553
; %bb.552:
	v_cmp_eq_u32_e32 vcc, 1, v0
	v_cndmask_b32_e32 v25, v2, v3, vcc
	v_cmp_eq_u32_e32 vcc, 2, v0
	v_cndmask_b32_e32 v25, v25, v4, vcc
	;; [unrolled: 2-line block ×18, first 2 shown]
	v_cmp_eq_u32_e32 vcc, 19, v0
	ds_read_b32 v26, v103
	v_cndmask_b32_e32 v25, v25, v21, vcc
	v_cmp_eq_u32_e32 vcc, 20, v0
	v_cndmask_b32_e32 v25, v25, v22, vcc
	v_cmp_eq_u32_e32 vcc, 21, v0
	;; [unrolled: 2-line block ×3, first 2 shown]
	v_cndmask_b32_e32 v25, v25, v24, vcc
	s_waitcnt lgkmcnt(0)
	v_mul_f32_e32 v25, v25, v26
	s_cbranch_execz .LBB22_554
	s_branch .LBB22_555
.LBB22_553:
                                        ; implicit-def: $vgpr25
.LBB22_554:
	ds_read_b32 v25, v103
.LBB22_555:
	s_and_saveexec_b64 s[6:7], s[2:3]
	s_cbranch_execz .LBB22_559
; %bb.556:
	v_mov_b32_e32 v26, 0x64
	v_lshl_add_u32 v26, v0, 2, v26
	s_mov_b64 s[2:3], 0
.LBB22_557:                             ; =>This Inner Loop Header: Depth=1
	v_add_co_u32_e32 v0, vcc, 1, v0
	v_addc_co_u32_e32 v1, vcc, 0, v1, vcc
	v_cmp_eq_u32_e32 vcc, 1, v0
	v_cndmask_b32_e32 v28, v2, v3, vcc
	v_cmp_lt_u32_e32 vcc, 20, v0
	v_cmp_eq_u32_e64 s[0:1], 2, v0
	v_cndmask_b32_e64 v28, v28, v4, s[0:1]
	s_or_b64 s[2:3], vcc, s[2:3]
	v_cmp_eq_u32_e32 vcc, 3, v0
	v_cndmask_b32_e32 v28, v28, v5, vcc
	v_cmp_eq_u32_e32 vcc, 4, v0
	v_cndmask_b32_e32 v28, v28, v6, vcc
	;; [unrolled: 2-line block ×15, first 2 shown]
	v_cmp_eq_u32_e32 vcc, 18, v0
	ds_read_b32 v27, v26
	v_cndmask_b32_e32 v28, v28, v20, vcc
	v_cmp_eq_u32_e32 vcc, 19, v0
	v_cndmask_b32_e32 v28, v28, v21, vcc
	v_cmp_eq_u32_e32 vcc, 20, v0
	;; [unrolled: 2-line block ×4, first 2 shown]
	v_cndmask_b32_e32 v28, v28, v24, vcc
	v_add_u32_e32 v26, 4, v26
	s_waitcnt lgkmcnt(0)
	v_fmac_f32_e32 v25, v28, v27
	s_andn2_b64 exec, exec, s[2:3]
	s_cbranch_execnz .LBB22_557
; %bb.558:
	s_or_b64 exec, exec, s[2:3]
.LBB22_559:
	s_or_b64 exec, exec, s[6:7]
	v_mov_b32_e32 v0, 0
	ds_read_b32 v0, v0 offset:88
	s_waitcnt lgkmcnt(0)
	v_mul_f32_e32 v24, v25, v0
.LBB22_560:
	s_or_b64 exec, exec, s[4:5]
	v_mov_b32_e32 v56, v33
	v_mov_b32_e32 v55, v32
	;; [unrolled: 1-line block ×32, first 2 shown]
.LBB22_561:
	global_store_dword v[99:100], v25, off
	global_store_dword v[101:102], v26, off
	;; [unrolled: 1-line block ×23, first 2 shown]
.LBB22_562:
	s_endpgm
	.section	.rodata,"a",@progbits
	.p2align	6, 0x0
	.amdhsa_kernel _ZN9rocsolver6v33100L18trti2_kernel_smallILi23EfPfEEv13rocblas_fill_17rocblas_diagonal_T1_iil
		.amdhsa_group_segment_fixed_size 188
		.amdhsa_private_segment_fixed_size 0
		.amdhsa_kernarg_size 32
		.amdhsa_user_sgpr_count 6
		.amdhsa_user_sgpr_private_segment_buffer 1
		.amdhsa_user_sgpr_dispatch_ptr 0
		.amdhsa_user_sgpr_queue_ptr 0
		.amdhsa_user_sgpr_kernarg_segment_ptr 1
		.amdhsa_user_sgpr_dispatch_id 0
		.amdhsa_user_sgpr_flat_scratch_init 0
		.amdhsa_user_sgpr_private_segment_size 0
		.amdhsa_uses_dynamic_stack 0
		.amdhsa_system_sgpr_private_segment_wavefront_offset 0
		.amdhsa_system_sgpr_workgroup_id_x 1
		.amdhsa_system_sgpr_workgroup_id_y 0
		.amdhsa_system_sgpr_workgroup_id_z 0
		.amdhsa_system_sgpr_workgroup_info 0
		.amdhsa_system_vgpr_workitem_id 0
		.amdhsa_next_free_vgpr 119
		.amdhsa_next_free_sgpr 56
		.amdhsa_reserve_vcc 1
		.amdhsa_reserve_flat_scratch 0
		.amdhsa_float_round_mode_32 0
		.amdhsa_float_round_mode_16_64 0
		.amdhsa_float_denorm_mode_32 3
		.amdhsa_float_denorm_mode_16_64 3
		.amdhsa_dx10_clamp 1
		.amdhsa_ieee_mode 1
		.amdhsa_fp16_overflow 0
		.amdhsa_exception_fp_ieee_invalid_op 0
		.amdhsa_exception_fp_denorm_src 0
		.amdhsa_exception_fp_ieee_div_zero 0
		.amdhsa_exception_fp_ieee_overflow 0
		.amdhsa_exception_fp_ieee_underflow 0
		.amdhsa_exception_fp_ieee_inexact 0
		.amdhsa_exception_int_div_zero 0
	.end_amdhsa_kernel
	.section	.text._ZN9rocsolver6v33100L18trti2_kernel_smallILi23EfPfEEv13rocblas_fill_17rocblas_diagonal_T1_iil,"axG",@progbits,_ZN9rocsolver6v33100L18trti2_kernel_smallILi23EfPfEEv13rocblas_fill_17rocblas_diagonal_T1_iil,comdat
.Lfunc_end22:
	.size	_ZN9rocsolver6v33100L18trti2_kernel_smallILi23EfPfEEv13rocblas_fill_17rocblas_diagonal_T1_iil, .Lfunc_end22-_ZN9rocsolver6v33100L18trti2_kernel_smallILi23EfPfEEv13rocblas_fill_17rocblas_diagonal_T1_iil
                                        ; -- End function
	.set _ZN9rocsolver6v33100L18trti2_kernel_smallILi23EfPfEEv13rocblas_fill_17rocblas_diagonal_T1_iil.num_vgpr, 119
	.set _ZN9rocsolver6v33100L18trti2_kernel_smallILi23EfPfEEv13rocblas_fill_17rocblas_diagonal_T1_iil.num_agpr, 0
	.set _ZN9rocsolver6v33100L18trti2_kernel_smallILi23EfPfEEv13rocblas_fill_17rocblas_diagonal_T1_iil.numbered_sgpr, 56
	.set _ZN9rocsolver6v33100L18trti2_kernel_smallILi23EfPfEEv13rocblas_fill_17rocblas_diagonal_T1_iil.num_named_barrier, 0
	.set _ZN9rocsolver6v33100L18trti2_kernel_smallILi23EfPfEEv13rocblas_fill_17rocblas_diagonal_T1_iil.private_seg_size, 0
	.set _ZN9rocsolver6v33100L18trti2_kernel_smallILi23EfPfEEv13rocblas_fill_17rocblas_diagonal_T1_iil.uses_vcc, 1
	.set _ZN9rocsolver6v33100L18trti2_kernel_smallILi23EfPfEEv13rocblas_fill_17rocblas_diagonal_T1_iil.uses_flat_scratch, 0
	.set _ZN9rocsolver6v33100L18trti2_kernel_smallILi23EfPfEEv13rocblas_fill_17rocblas_diagonal_T1_iil.has_dyn_sized_stack, 0
	.set _ZN9rocsolver6v33100L18trti2_kernel_smallILi23EfPfEEv13rocblas_fill_17rocblas_diagonal_T1_iil.has_recursion, 0
	.set _ZN9rocsolver6v33100L18trti2_kernel_smallILi23EfPfEEv13rocblas_fill_17rocblas_diagonal_T1_iil.has_indirect_call, 0
	.section	.AMDGPU.csdata,"",@progbits
; Kernel info:
; codeLenInByte = 33336
; TotalNumSgprs: 60
; NumVgprs: 119
; ScratchSize: 0
; MemoryBound: 0
; FloatMode: 240
; IeeeMode: 1
; LDSByteSize: 188 bytes/workgroup (compile time only)
; SGPRBlocks: 7
; VGPRBlocks: 29
; NumSGPRsForWavesPerEU: 60
; NumVGPRsForWavesPerEU: 119
; Occupancy: 2
; WaveLimiterHint : 0
; COMPUTE_PGM_RSRC2:SCRATCH_EN: 0
; COMPUTE_PGM_RSRC2:USER_SGPR: 6
; COMPUTE_PGM_RSRC2:TRAP_HANDLER: 0
; COMPUTE_PGM_RSRC2:TGID_X_EN: 1
; COMPUTE_PGM_RSRC2:TGID_Y_EN: 0
; COMPUTE_PGM_RSRC2:TGID_Z_EN: 0
; COMPUTE_PGM_RSRC2:TIDIG_COMP_CNT: 0
	.section	.text._ZN9rocsolver6v33100L18trti2_kernel_smallILi24EfPfEEv13rocblas_fill_17rocblas_diagonal_T1_iil,"axG",@progbits,_ZN9rocsolver6v33100L18trti2_kernel_smallILi24EfPfEEv13rocblas_fill_17rocblas_diagonal_T1_iil,comdat
	.globl	_ZN9rocsolver6v33100L18trti2_kernel_smallILi24EfPfEEv13rocblas_fill_17rocblas_diagonal_T1_iil ; -- Begin function _ZN9rocsolver6v33100L18trti2_kernel_smallILi24EfPfEEv13rocblas_fill_17rocblas_diagonal_T1_iil
	.p2align	8
	.type	_ZN9rocsolver6v33100L18trti2_kernel_smallILi24EfPfEEv13rocblas_fill_17rocblas_diagonal_T1_iil,@function
_ZN9rocsolver6v33100L18trti2_kernel_smallILi24EfPfEEv13rocblas_fill_17rocblas_diagonal_T1_iil: ; @_ZN9rocsolver6v33100L18trti2_kernel_smallILi24EfPfEEv13rocblas_fill_17rocblas_diagonal_T1_iil
; %bb.0:
	v_cmp_gt_u32_e32 vcc, 24, v0
	s_and_saveexec_b64 s[0:1], vcc
	s_cbranch_execz .LBB23_588
; %bb.1:
	s_load_dwordx8 s[52:59], s[4:5], 0x0
	s_ashr_i32 s2, s6, 31
	v_lshlrev_b32_e32 v26, 2, v0
	v_mov_b32_e32 v27, -1.0
	s_waitcnt lgkmcnt(0)
	s_mul_hi_u32 s3, s58, s6
	s_mul_i32 s2, s58, s2
	s_add_i32 s2, s3, s2
	s_mul_i32 s3, s59, s6
	s_add_i32 s3, s2, s3
	s_mul_i32 s2, s58, s6
	s_ashr_i32 s1, s56, 31
	s_lshl_b64 s[2:3], s[2:3], 2
	s_mov_b32 s0, s56
	s_add_u32 s2, s54, s2
	s_addc_u32 s3, s55, s3
	s_lshl_b64 s[0:1], s[0:1], 2
	s_add_u32 s0, s2, s0
	s_addc_u32 s1, s3, s1
	s_add_i32 s2, s57, s57
	v_add_u32_e32 v1, s2, v0
	v_ashrrev_i32_e32 v2, 31, v1
	v_lshlrev_b64 v[2:3], 2, v[1:2]
	v_add_u32_e32 v1, s57, v1
	v_mov_b32_e32 v4, s1
	v_add_co_u32_e32 v58, vcc, s0, v2
	v_ashrrev_i32_e32 v2, 31, v1
	v_addc_co_u32_e32 v59, vcc, v4, v3, vcc
	v_lshlrev_b64 v[2:3], 2, v[1:2]
	v_add_u32_e32 v1, s57, v1
	v_add_co_u32_e32 v60, vcc, s0, v2
	v_ashrrev_i32_e32 v2, 31, v1
	v_addc_co_u32_e32 v61, vcc, v4, v3, vcc
	v_lshlrev_b64 v[2:3], 2, v[1:2]
	v_add_u32_e32 v1, s57, v1
	;; [unrolled: 5-line block ×20, first 2 shown]
	v_add_co_u32_e32 v98, vcc, s0, v2
	v_ashrrev_i32_e32 v2, 31, v1
	v_lshlrev_b64 v[1:2], 2, v[1:2]
	v_addc_co_u32_e32 v99, vcc, v4, v3, vcc
	v_mov_b32_e32 v3, s1
	v_add_co_u32_e32 v100, vcc, s0, v1
	v_addc_co_u32_e32 v101, vcc, v3, v2, vcc
	v_mov_b32_e32 v1, s1
	v_add_co_u32_e32 v102, vcc, s0, v26
	s_ashr_i32 s3, s57, 31
	s_mov_b32 s2, s57
	v_addc_co_u32_e32 v103, vcc, 0, v1, vcc
	s_lshl_b64 s[2:3], s[2:3], 2
	v_mov_b32_e32 v1, s3
	v_add_co_u32_e32 v104, vcc, s2, v102
	v_addc_co_u32_e32 v105, vcc, v103, v1, vcc
	global_load_dword v3, v[104:105], off
	global_load_dword v4, v[58:59], off
	;; [unrolled: 1-line block ×16, first 2 shown]
	global_load_dword v2, v26, s[0:1]
	global_load_dword v19, v[88:89], off
	global_load_dword v20, v[90:91], off
	global_load_dword v21, v[92:93], off
	global_load_dword v22, v[94:95], off
	global_load_dword v23, v[96:97], off
	global_load_dword v24, v[98:99], off
	global_load_dword v25, v[100:101], off
	s_cmpk_lg_i32 s53, 0x84
	v_mov_b32_e32 v1, 0
	s_cselect_b64 s[50:51], -1, 0
	s_cmpk_eq_i32 s53, 0x84
	v_cmp_eq_u32_e64 s[0:1], 0, v0
	s_cbranch_scc1 .LBB23_3
; %bb.2:
	v_cmp_eq_u32_e64 s[2:3], 1, v0
	s_waitcnt vmcnt(7)
	v_cndmask_b32_e64 v27, v2, v3, s[2:3]
	v_cmp_eq_u32_e64 s[4:5], 2, v0
	v_cndmask_b32_e64 v27, v27, v4, s[4:5]
	v_cmp_eq_u32_e64 s[6:7], 3, v0
	;; [unrolled: 2-line block ×16, first 2 shown]
	s_waitcnt vmcnt(6)
	v_cndmask_b32_e64 v27, v27, v19, s[36:37]
	v_cmp_eq_u32_e64 s[38:39], 18, v0
	s_waitcnt vmcnt(5)
	v_cndmask_b32_e64 v27, v27, v20, s[38:39]
	v_cmp_eq_u32_e64 s[40:41], 19, v0
	;; [unrolled: 3-line block ×6, first 2 shown]
	s_waitcnt vmcnt(0)
	v_cndmask_b32_e64 v27, v27, v25, s[48:49]
	v_div_scale_f32 v28, s[54:55], v27, v27, 1.0
	v_div_scale_f32 v29, vcc, 1.0, v27, 1.0
	v_rcp_f32_e32 v30, v28
	v_fma_f32 v31, -v28, v30, 1.0
	v_fmac_f32_e32 v30, v31, v30
	v_mul_f32_e32 v31, v29, v30
	v_fma_f32 v32, -v28, v31, v29
	v_fmac_f32_e32 v31, v32, v30
	v_fma_f32 v28, -v28, v31, v29
	v_div_fmas_f32 v28, v28, v30, v31
	v_div_fixup_f32 v27, v28, v27, 1.0
	v_cndmask_b32_e64 v25, v25, v27, s[48:49]
	v_cndmask_b32_e64 v24, v24, v27, s[46:47]
	;; [unrolled: 1-line block ×24, first 2 shown]
	v_xor_b32_e32 v27, 0x80000000, v27
.LBB23_3:
	s_cmpk_eq_i32 s52, 0x79
	v_add_u32_e32 v106, 0x60, v26
	ds_write_b32 v26, v27
	s_cbranch_scc1 .LBB23_7
; %bb.4:
	s_waitcnt vmcnt(0)
	v_mov_b32_e32 v57, v33
	v_mov_b32_e32 v56, v32
	;; [unrolled: 1-line block ×32, first 2 shown]
	v_cmp_eq_u32_e64 s[0:1], 23, v0
	ds_write_b32 v106, v24
	s_waitcnt lgkmcnt(0)
	; wave barrier
	s_and_saveexec_b64 s[2:3], s[0:1]
	s_cbranch_execz .LBB23_11
; %bb.5:
	s_and_b64 vcc, exec, s[50:51]
	s_cbranch_vccz .LBB23_8
; %bb.6:
	v_cmp_eq_u32_e32 vcc, 1, v0
	v_cndmask_b32_e32 v26, v2, v3, vcc
	v_cmp_eq_u32_e32 vcc, 2, v0
	v_cndmask_b32_e32 v26, v26, v4, vcc
	v_cmp_eq_u32_e32 vcc, 3, v0
	v_cndmask_b32_e32 v26, v26, v5, vcc
	v_cmp_eq_u32_e32 vcc, 4, v0
	v_cndmask_b32_e32 v26, v26, v6, vcc
	v_cmp_eq_u32_e32 vcc, 5, v0
	v_cndmask_b32_e32 v26, v26, v7, vcc
	v_cmp_eq_u32_e32 vcc, 6, v0
	v_cndmask_b32_e32 v26, v26, v8, vcc
	v_cmp_eq_u32_e32 vcc, 7, v0
	v_cndmask_b32_e32 v26, v26, v9, vcc
	v_cmp_eq_u32_e32 vcc, 8, v0
	v_cndmask_b32_e32 v26, v26, v10, vcc
	v_cmp_eq_u32_e32 vcc, 9, v0
	v_cndmask_b32_e32 v26, v26, v11, vcc
	v_cmp_eq_u32_e32 vcc, 10, v0
	v_cndmask_b32_e32 v26, v26, v12, vcc
	v_cmp_eq_u32_e32 vcc, 11, v0
	v_cndmask_b32_e32 v26, v26, v13, vcc
	v_cmp_eq_u32_e32 vcc, 12, v0
	v_cndmask_b32_e32 v26, v26, v14, vcc
	v_cmp_eq_u32_e32 vcc, 13, v0
	v_cndmask_b32_e32 v26, v26, v15, vcc
	v_cmp_eq_u32_e32 vcc, 14, v0
	v_cndmask_b32_e32 v26, v26, v16, vcc
	v_cmp_eq_u32_e32 vcc, 15, v0
	v_cndmask_b32_e32 v26, v26, v17, vcc
	v_cmp_eq_u32_e32 vcc, 16, v0
	v_cndmask_b32_e32 v26, v26, v18, vcc
	v_cmp_eq_u32_e32 vcc, 17, v0
	v_cndmask_b32_e32 v26, v26, v19, vcc
	v_cmp_eq_u32_e32 vcc, 18, v0
	v_cndmask_b32_e32 v26, v26, v20, vcc
	v_cmp_eq_u32_e32 vcc, 19, v0
	v_cndmask_b32_e32 v26, v26, v21, vcc
	v_cmp_eq_u32_e32 vcc, 20, v0
	ds_read_b32 v27, v106
	v_cndmask_b32_e32 v26, v26, v22, vcc
	v_cmp_eq_u32_e32 vcc, 21, v0
	v_cndmask_b32_e32 v26, v26, v23, vcc
	v_cmp_eq_u32_e32 vcc, 22, v0
	v_cndmask_b32_e32 v26, v26, v24, vcc
	v_cmp_eq_u32_e32 vcc, 23, v0
	v_cndmask_b32_e32 v26, v26, v25, vcc
	s_waitcnt lgkmcnt(0)
	v_mul_f32_e32 v30, v26, v27
	s_cbranch_execz .LBB23_9
	s_branch .LBB23_10
.LBB23_7:
                                        ; implicit-def: $vgpr26_vgpr27_vgpr28_vgpr29_vgpr30_vgpr31_vgpr32_vgpr33_vgpr34_vgpr35_vgpr36_vgpr37_vgpr38_vgpr39_vgpr40_vgpr41_vgpr42_vgpr43_vgpr44_vgpr45_vgpr46_vgpr47_vgpr48_vgpr49_vgpr50_vgpr51_vgpr52_vgpr53_vgpr54_vgpr55_vgpr56_vgpr57
	s_cbranch_execnz .LBB23_354
	s_branch .LBB23_587
.LBB23_8:
                                        ; implicit-def: $vgpr30
.LBB23_9:
	ds_read_b32 v30, v106
.LBB23_10:
	v_mov_b32_e32 v26, 0
	ds_read_b32 v31, v26 offset:88
	v_mov_b32_e32 v26, v2
	v_mov_b32_e32 v27, v3
	;; [unrolled: 1-line block ×4, first 2 shown]
	s_waitcnt lgkmcnt(0)
	v_mul_f32_e32 v48, v30, v31
	v_mov_b32_e32 v30, v6
	v_mov_b32_e32 v31, v7
	;; [unrolled: 1-line block ×19, first 2 shown]
.LBB23_11:
	s_or_b64 exec, exec, s[2:3]
	v_cmp_lt_u32_e64 s[2:3], 21, v0
	ds_write_b32 v106, v47
	s_waitcnt lgkmcnt(0)
	; wave barrier
	s_and_saveexec_b64 s[4:5], s[2:3]
	s_cbranch_execz .LBB23_17
; %bb.12:
	s_andn2_b64 vcc, exec, s[50:51]
	s_cbranch_vccnz .LBB23_14
; %bb.13:
	v_cmp_eq_u32_e32 vcc, 1, v0
	v_cndmask_b32_e32 v50, v26, v27, vcc
	v_cmp_eq_u32_e32 vcc, 2, v0
	v_cndmask_b32_e32 v50, v50, v28, vcc
	;; [unrolled: 2-line block ×21, first 2 shown]
	ds_read_b32 v50, v106
	v_cmp_eq_u32_e32 vcc, 22, v0
	v_cndmask_b32_e32 v47, v47, v48, vcc
	v_cmp_eq_u32_e32 vcc, 23, v0
	v_cndmask_b32_e32 v47, v47, v49, vcc
	s_waitcnt lgkmcnt(0)
	v_mul_f32_e32 v47, v47, v50
	s_cbranch_execz .LBB23_15
	s_branch .LBB23_16
.LBB23_14:
                                        ; implicit-def: $vgpr47
.LBB23_15:
	ds_read_b32 v47, v106
.LBB23_16:
	v_mov_b32_e32 v50, 0
	ds_read2_b32 v[50:51], v50 offset0:21 offset1:46
	s_waitcnt lgkmcnt(0)
	v_fma_f32 v51, v48, v51, v47
	v_cndmask_b32_e64 v47, v47, v51, s[0:1]
	v_mul_f32_e32 v47, v47, v50
.LBB23_17:
	s_or_b64 exec, exec, s[4:5]
	v_cmp_lt_u32_e64 s[0:1], 20, v0
	ds_write_b32 v106, v46
	s_waitcnt lgkmcnt(0)
	; wave barrier
	s_and_saveexec_b64 s[4:5], s[0:1]
	s_cbranch_execz .LBB23_33
; %bb.18:
	s_andn2_b64 vcc, exec, s[50:51]
	s_cbranch_vccnz .LBB23_20
; %bb.19:
	v_cmp_eq_u32_e32 vcc, 1, v0
	v_cndmask_b32_e32 v107, v26, v27, vcc
	v_cmp_eq_u32_e32 vcc, 2, v0
	v_cndmask_b32_e32 v107, v107, v28, vcc
	;; [unrolled: 2-line block ×19, first 2 shown]
	v_cmp_eq_u32_e32 vcc, 20, v0
	ds_read_b32 v108, v106
	v_cndmask_b32_e32 v107, v107, v46, vcc
	v_cmp_eq_u32_e32 vcc, 21, v0
	v_cndmask_b32_e32 v107, v107, v47, vcc
	v_cmp_eq_u32_e32 vcc, 22, v0
	v_cndmask_b32_e32 v107, v107, v48, vcc
	v_cmp_eq_u32_e32 vcc, 23, v0
	v_cndmask_b32_e32 v107, v107, v49, vcc
	s_waitcnt lgkmcnt(0)
	v_mul_f32_e32 v107, v107, v108
	s_cbranch_execz .LBB23_21
	s_branch .LBB23_22
.LBB23_20:
                                        ; implicit-def: $vgpr107
.LBB23_21:
	ds_read_b32 v107, v106
.LBB23_22:
	s_and_saveexec_b64 s[6:7], s[2:3]
	s_cbranch_execz .LBB23_32
; %bb.23:
	v_subrev_u32_e32 v110, 22, v0
	v_mov_b32_e32 v108, 21
	v_subrev_u32_e32 v109, 21, v0
	v_cmp_lt_u32_e32 vcc, 6, v110
	s_and_saveexec_b64 s[2:3], vcc
	s_cbranch_execz .LBB23_27
; %bb.24:
	v_and_b32_e32 v108, -8, v109
	v_sub_u32_e32 v110, 0, v108
	s_mov_b64 s[8:9], 28
	s_movk_i32 s12, 0xb4
	s_mov_b64 s[10:11], 0
.LBB23_25:                              ; =>This Inner Loop Header: Depth=1
	s_add_i32 s13, s8, -7
	v_mov_b32_e32 v113, s12
	s_set_gpr_idx_on s13, gpr_idx(SRC0)
	v_mov_b32_e32 v108, v26
	s_set_gpr_idx_off
	ds_read2_b32 v[111:112], v113 offset1:1
	s_add_i32 s13, s8, -6
	s_waitcnt lgkmcnt(0)
	v_fmac_f32_e32 v107, v108, v111
	s_set_gpr_idx_on s13, gpr_idx(SRC0)
	v_mov_b32_e32 v108, v26
	s_set_gpr_idx_off
	s_add_i32 s13, s8, -5
	v_fmac_f32_e32 v107, v108, v112
	s_set_gpr_idx_on s13, gpr_idx(SRC0)
	v_mov_b32_e32 v108, v26
	s_set_gpr_idx_off
	ds_read2_b32 v[111:112], v113 offset0:2 offset1:3
	s_add_i32 s13, s8, -4
	s_waitcnt lgkmcnt(0)
	v_fmac_f32_e32 v107, v108, v111
	s_set_gpr_idx_on s13, gpr_idx(SRC0)
	v_mov_b32_e32 v108, v26
	s_set_gpr_idx_off
	s_add_i32 s13, s8, -3
	v_fmac_f32_e32 v107, v108, v112
	s_set_gpr_idx_on s13, gpr_idx(SRC0)
	v_mov_b32_e32 v108, v26
	s_set_gpr_idx_off
	ds_read2_b32 v[111:112], v113 offset0:4 offset1:5
	;; [unrolled: 12-line block ×3, first 2 shown]
	s_waitcnt lgkmcnt(0)
	v_fmac_f32_e32 v107, v108, v111
	s_set_gpr_idx_on s8, gpr_idx(SRC0)
	v_mov_b32_e32 v108, v26
	s_set_gpr_idx_off
	s_add_u32 s8, s8, 8
	v_fmac_f32_e32 v107, v108, v112
	v_add_u32_e32 v108, s8, v110
	s_addc_u32 s9, s9, 0
	s_add_i32 s12, s12, 32
	v_cmp_eq_u32_e32 vcc, 28, v108
	s_add_i32 s13, s8, -7
	s_or_b64 s[10:11], vcc, s[10:11]
	v_mov_b32_e32 v108, s13
	s_andn2_b64 exec, exec, s[10:11]
	s_cbranch_execnz .LBB23_25
; %bb.26:
	s_or_b64 exec, exec, s[10:11]
.LBB23_27:
	s_or_b64 exec, exec, s[2:3]
	v_and_b32_e32 v50, 7, v109
	v_cmp_ne_u32_e32 vcc, 0, v50
	s_and_saveexec_b64 s[8:9], vcc
	s_cbranch_execz .LBB23_31
; %bb.28:
	v_mov_b32_e32 v51, 0x60
	v_lshl_add_u32 v51, v108, 2, v51
	v_mov_b32_e32 v52, 0
	s_mov_b64 s[10:11], 0
.LBB23_29:                              ; =>This Inner Loop Header: Depth=1
	v_cmp_eq_u32_e32 vcc, 1, v108
	v_cndmask_b32_e32 v53, v26, v27, vcc
	v_add_u32_e32 v50, -1, v50
	v_cmp_eq_u32_e32 vcc, 2, v108
	v_cndmask_b32_e32 v53, v53, v28, vcc
	v_cmp_eq_u32_e32 vcc, 0, v50
	v_cmp_eq_u32_e64 s[2:3], 3, v108
	v_cndmask_b32_e64 v53, v53, v29, s[2:3]
	s_or_b64 s[10:11], vcc, s[10:11]
	v_cmp_eq_u32_e32 vcc, 4, v108
	v_cndmask_b32_e32 v53, v53, v30, vcc
	v_cmp_eq_u32_e32 vcc, 5, v108
	v_cndmask_b32_e32 v53, v53, v31, vcc
	v_cmp_eq_u32_e32 vcc, 6, v108
	v_cndmask_b32_e32 v53, v53, v32, vcc
	v_cmp_eq_u32_e32 vcc, 7, v108
	v_cndmask_b32_e32 v53, v53, v33, vcc
	v_cmp_eq_u32_e32 vcc, 8, v108
	v_cndmask_b32_e32 v53, v53, v34, vcc
	v_cmp_eq_u32_e32 vcc, 9, v108
	v_cndmask_b32_e32 v53, v53, v35, vcc
	v_cmp_eq_u32_e32 vcc, 10, v108
	v_cndmask_b32_e32 v53, v53, v36, vcc
	v_cmp_eq_u32_e32 vcc, 11, v108
	v_cndmask_b32_e32 v53, v53, v37, vcc
	v_cmp_eq_u32_e32 vcc, 12, v108
	v_cndmask_b32_e32 v53, v53, v38, vcc
	v_cmp_eq_u32_e32 vcc, 13, v108
	v_cndmask_b32_e32 v53, v53, v39, vcc
	v_cmp_eq_u32_e32 vcc, 14, v108
	v_cndmask_b32_e32 v53, v53, v40, vcc
	v_cmp_eq_u32_e32 vcc, 15, v108
	v_cndmask_b32_e32 v53, v53, v41, vcc
	v_cmp_eq_u32_e32 vcc, 16, v108
	v_cndmask_b32_e32 v53, v53, v42, vcc
	v_cmp_eq_u32_e32 vcc, 17, v108
	v_cndmask_b32_e32 v53, v53, v43, vcc
	v_cmp_eq_u32_e32 vcc, 18, v108
	v_cndmask_b32_e32 v53, v53, v44, vcc
	v_cmp_eq_u32_e32 vcc, 19, v108
	ds_read_b32 v54, v51
	v_cndmask_b32_e32 v53, v53, v45, vcc
	v_cmp_eq_u32_e32 vcc, 20, v108
	v_cndmask_b32_e32 v53, v53, v46, vcc
	v_cmp_eq_u32_e32 vcc, 21, v108
	;; [unrolled: 2-line block ×4, first 2 shown]
	v_add_co_u32_e64 v108, s[2:3], 1, v108
	v_cndmask_b32_e32 v53, v53, v49, vcc
	v_add_u32_e32 v51, 4, v51
	v_addc_co_u32_e64 v52, s[2:3], 0, v52, s[2:3]
	s_waitcnt lgkmcnt(0)
	v_fmac_f32_e32 v107, v53, v54
	s_andn2_b64 exec, exec, s[10:11]
	s_cbranch_execnz .LBB23_29
; %bb.30:
	s_or_b64 exec, exec, s[10:11]
.LBB23_31:
	s_or_b64 exec, exec, s[8:9]
.LBB23_32:
	s_or_b64 exec, exec, s[6:7]
	v_mov_b32_e32 v46, 0
	ds_read_b32 v46, v46 offset:80
	s_waitcnt lgkmcnt(0)
	v_mul_f32_e32 v46, v107, v46
.LBB23_33:
	s_or_b64 exec, exec, s[4:5]
	v_cmp_lt_u32_e64 s[2:3], 19, v0
	ds_write_b32 v106, v45
	s_waitcnt lgkmcnt(0)
	; wave barrier
	s_and_saveexec_b64 s[4:5], s[2:3]
	s_cbranch_execz .LBB23_49
; %bb.34:
	s_andn2_b64 vcc, exec, s[50:51]
	s_cbranch_vccnz .LBB23_36
; %bb.35:
	v_cmp_eq_u32_e32 vcc, 1, v0
	v_cndmask_b32_e32 v107, v26, v27, vcc
	v_cmp_eq_u32_e32 vcc, 2, v0
	v_cndmask_b32_e32 v107, v107, v28, vcc
	;; [unrolled: 2-line block ×19, first 2 shown]
	v_cmp_eq_u32_e32 vcc, 20, v0
	ds_read_b32 v108, v106
	v_cndmask_b32_e32 v107, v107, v46, vcc
	v_cmp_eq_u32_e32 vcc, 21, v0
	v_cndmask_b32_e32 v107, v107, v47, vcc
	v_cmp_eq_u32_e32 vcc, 22, v0
	;; [unrolled: 2-line block ×3, first 2 shown]
	v_cndmask_b32_e32 v107, v107, v49, vcc
	s_waitcnt lgkmcnt(0)
	v_mul_f32_e32 v107, v107, v108
	s_cbranch_execz .LBB23_37
	s_branch .LBB23_38
.LBB23_36:
                                        ; implicit-def: $vgpr107
.LBB23_37:
	ds_read_b32 v107, v106
.LBB23_38:
	s_and_saveexec_b64 s[6:7], s[0:1]
	s_cbranch_execz .LBB23_48
; %bb.39:
	v_subrev_u32_e32 v110, 21, v0
	v_mov_b32_e32 v108, 20
	v_subrev_u32_e32 v109, 20, v0
	v_cmp_lt_u32_e32 vcc, 6, v110
	s_and_saveexec_b64 s[0:1], vcc
	s_cbranch_execz .LBB23_43
; %bb.40:
	v_and_b32_e32 v108, -8, v109
	v_sub_u32_e32 v110, 0, v108
	s_mov_b64 s[8:9], 27
	s_movk_i32 s12, 0xb0
	s_mov_b64 s[10:11], 0
.LBB23_41:                              ; =>This Inner Loop Header: Depth=1
	s_add_i32 s13, s8, -7
	v_mov_b32_e32 v115, s12
	s_set_gpr_idx_on s13, gpr_idx(SRC0)
	v_mov_b32_e32 v108, v26
	s_set_gpr_idx_off
	ds_read_b128 v[111:114], v115
	ds_read_b128 v[115:118], v115 offset:16
	s_add_i32 s13, s8, -6
	s_waitcnt lgkmcnt(1)
	v_fmac_f32_e32 v107, v108, v111
	s_set_gpr_idx_on s13, gpr_idx(SRC0)
	v_mov_b32_e32 v108, v26
	s_set_gpr_idx_off
	s_add_i32 s13, s8, -5
	v_fmac_f32_e32 v107, v108, v112
	s_set_gpr_idx_on s13, gpr_idx(SRC0)
	v_mov_b32_e32 v108, v26
	s_set_gpr_idx_off
	s_add_i32 s13, s8, -4
	;; [unrolled: 5-line block ×4, first 2 shown]
	s_waitcnt lgkmcnt(0)
	v_fmac_f32_e32 v107, v108, v115
	s_set_gpr_idx_on s13, gpr_idx(SRC0)
	v_mov_b32_e32 v108, v26
	s_set_gpr_idx_off
	s_add_i32 s13, s8, -1
	v_fmac_f32_e32 v107, v108, v116
	s_set_gpr_idx_on s13, gpr_idx(SRC0)
	v_mov_b32_e32 v108, v26
	s_set_gpr_idx_off
	v_fmac_f32_e32 v107, v108, v117
	s_set_gpr_idx_on s8, gpr_idx(SRC0)
	v_mov_b32_e32 v108, v26
	s_set_gpr_idx_off
	s_add_u32 s8, s8, 8
	v_fmac_f32_e32 v107, v108, v118
	v_add_u32_e32 v108, s8, v110
	s_addc_u32 s9, s9, 0
	s_add_i32 s12, s12, 32
	v_cmp_eq_u32_e32 vcc, 27, v108
	s_add_i32 s13, s8, -7
	s_or_b64 s[10:11], vcc, s[10:11]
	v_mov_b32_e32 v108, s13
	s_andn2_b64 exec, exec, s[10:11]
	s_cbranch_execnz .LBB23_41
; %bb.42:
	s_or_b64 exec, exec, s[10:11]
.LBB23_43:
	s_or_b64 exec, exec, s[0:1]
	v_and_b32_e32 v50, 7, v109
	v_cmp_ne_u32_e32 vcc, 0, v50
	s_and_saveexec_b64 s[8:9], vcc
	s_cbranch_execz .LBB23_47
; %bb.44:
	v_mov_b32_e32 v51, 0x60
	v_lshl_add_u32 v51, v108, 2, v51
	v_mov_b32_e32 v52, 0
	s_mov_b64 s[10:11], 0
.LBB23_45:                              ; =>This Inner Loop Header: Depth=1
	v_cmp_eq_u32_e32 vcc, 1, v108
	v_cndmask_b32_e32 v53, v26, v27, vcc
	v_add_u32_e32 v50, -1, v50
	v_cmp_eq_u32_e32 vcc, 2, v108
	v_cndmask_b32_e32 v53, v53, v28, vcc
	v_cmp_eq_u32_e32 vcc, 0, v50
	v_cmp_eq_u32_e64 s[0:1], 3, v108
	v_cndmask_b32_e64 v53, v53, v29, s[0:1]
	s_or_b64 s[10:11], vcc, s[10:11]
	v_cmp_eq_u32_e32 vcc, 4, v108
	v_cndmask_b32_e32 v53, v53, v30, vcc
	v_cmp_eq_u32_e32 vcc, 5, v108
	v_cndmask_b32_e32 v53, v53, v31, vcc
	;; [unrolled: 2-line block ×15, first 2 shown]
	v_cmp_eq_u32_e32 vcc, 19, v108
	ds_read_b32 v54, v51
	v_cndmask_b32_e32 v53, v53, v45, vcc
	v_cmp_eq_u32_e32 vcc, 20, v108
	v_cndmask_b32_e32 v53, v53, v46, vcc
	v_cmp_eq_u32_e32 vcc, 21, v108
	;; [unrolled: 2-line block ×4, first 2 shown]
	v_add_co_u32_e64 v108, s[0:1], 1, v108
	v_cndmask_b32_e32 v53, v53, v49, vcc
	v_add_u32_e32 v51, 4, v51
	v_addc_co_u32_e64 v52, s[0:1], 0, v52, s[0:1]
	s_waitcnt lgkmcnt(0)
	v_fmac_f32_e32 v107, v53, v54
	s_andn2_b64 exec, exec, s[10:11]
	s_cbranch_execnz .LBB23_45
; %bb.46:
	s_or_b64 exec, exec, s[10:11]
.LBB23_47:
	s_or_b64 exec, exec, s[8:9]
.LBB23_48:
	s_or_b64 exec, exec, s[6:7]
	v_mov_b32_e32 v45, 0
	ds_read_b32 v45, v45 offset:76
	s_waitcnt lgkmcnt(0)
	v_mul_f32_e32 v45, v107, v45
.LBB23_49:
	s_or_b64 exec, exec, s[4:5]
	v_cmp_lt_u32_e64 s[0:1], 18, v0
	ds_write_b32 v106, v44
	s_waitcnt lgkmcnt(0)
	; wave barrier
	s_and_saveexec_b64 s[4:5], s[0:1]
	s_cbranch_execz .LBB23_65
; %bb.50:
	s_andn2_b64 vcc, exec, s[50:51]
	s_cbranch_vccnz .LBB23_52
; %bb.51:
	v_cmp_eq_u32_e32 vcc, 1, v0
	v_cndmask_b32_e32 v107, v26, v27, vcc
	v_cmp_eq_u32_e32 vcc, 2, v0
	v_cndmask_b32_e32 v107, v107, v28, vcc
	;; [unrolled: 2-line block ×19, first 2 shown]
	v_cmp_eq_u32_e32 vcc, 20, v0
	ds_read_b32 v108, v106
	v_cndmask_b32_e32 v107, v107, v46, vcc
	v_cmp_eq_u32_e32 vcc, 21, v0
	v_cndmask_b32_e32 v107, v107, v47, vcc
	v_cmp_eq_u32_e32 vcc, 22, v0
	;; [unrolled: 2-line block ×3, first 2 shown]
	v_cndmask_b32_e32 v107, v107, v49, vcc
	s_waitcnt lgkmcnt(0)
	v_mul_f32_e32 v107, v107, v108
	s_cbranch_execz .LBB23_53
	s_branch .LBB23_54
.LBB23_52:
                                        ; implicit-def: $vgpr107
.LBB23_53:
	ds_read_b32 v107, v106
.LBB23_54:
	s_and_saveexec_b64 s[6:7], s[2:3]
	s_cbranch_execz .LBB23_64
; %bb.55:
	v_subrev_u32_e32 v110, 20, v0
	v_mov_b32_e32 v108, 19
	v_subrev_u32_e32 v109, 19, v0
	v_cmp_lt_u32_e32 vcc, 6, v110
	s_and_saveexec_b64 s[2:3], vcc
	s_cbranch_execz .LBB23_59
; %bb.56:
	v_and_b32_e32 v108, -8, v109
	v_sub_u32_e32 v110, 0, v108
	s_mov_b64 s[8:9], 26
	s_movk_i32 s12, 0xac
	s_mov_b64 s[10:11], 0
.LBB23_57:                              ; =>This Inner Loop Header: Depth=1
	s_add_i32 s13, s8, -7
	v_mov_b32_e32 v113, s12
	s_set_gpr_idx_on s13, gpr_idx(SRC0)
	v_mov_b32_e32 v108, v26
	s_set_gpr_idx_off
	ds_read2_b32 v[111:112], v113 offset1:1
	s_add_i32 s13, s8, -6
	s_waitcnt lgkmcnt(0)
	v_fmac_f32_e32 v107, v108, v111
	s_set_gpr_idx_on s13, gpr_idx(SRC0)
	v_mov_b32_e32 v108, v26
	s_set_gpr_idx_off
	s_add_i32 s13, s8, -5
	v_fmac_f32_e32 v107, v108, v112
	s_set_gpr_idx_on s13, gpr_idx(SRC0)
	v_mov_b32_e32 v108, v26
	s_set_gpr_idx_off
	ds_read2_b32 v[111:112], v113 offset0:2 offset1:3
	s_add_i32 s13, s8, -4
	s_waitcnt lgkmcnt(0)
	v_fmac_f32_e32 v107, v108, v111
	s_set_gpr_idx_on s13, gpr_idx(SRC0)
	v_mov_b32_e32 v108, v26
	s_set_gpr_idx_off
	s_add_i32 s13, s8, -3
	v_fmac_f32_e32 v107, v108, v112
	s_set_gpr_idx_on s13, gpr_idx(SRC0)
	v_mov_b32_e32 v108, v26
	s_set_gpr_idx_off
	ds_read2_b32 v[111:112], v113 offset0:4 offset1:5
	;; [unrolled: 12-line block ×3, first 2 shown]
	s_waitcnt lgkmcnt(0)
	v_fmac_f32_e32 v107, v108, v111
	s_set_gpr_idx_on s8, gpr_idx(SRC0)
	v_mov_b32_e32 v108, v26
	s_set_gpr_idx_off
	s_add_u32 s8, s8, 8
	v_fmac_f32_e32 v107, v108, v112
	v_add_u32_e32 v108, s8, v110
	s_addc_u32 s9, s9, 0
	s_add_i32 s12, s12, 32
	v_cmp_eq_u32_e32 vcc, 26, v108
	s_add_i32 s13, s8, -7
	s_or_b64 s[10:11], vcc, s[10:11]
	v_mov_b32_e32 v108, s13
	s_andn2_b64 exec, exec, s[10:11]
	s_cbranch_execnz .LBB23_57
; %bb.58:
	s_or_b64 exec, exec, s[10:11]
.LBB23_59:
	s_or_b64 exec, exec, s[2:3]
	v_and_b32_e32 v50, 7, v109
	v_cmp_ne_u32_e32 vcc, 0, v50
	s_and_saveexec_b64 s[8:9], vcc
	s_cbranch_execz .LBB23_63
; %bb.60:
	v_mov_b32_e32 v51, 0x60
	v_lshl_add_u32 v51, v108, 2, v51
	v_mov_b32_e32 v52, 0
	s_mov_b64 s[10:11], 0
.LBB23_61:                              ; =>This Inner Loop Header: Depth=1
	v_cmp_eq_u32_e32 vcc, 1, v108
	v_cndmask_b32_e32 v53, v26, v27, vcc
	v_add_u32_e32 v50, -1, v50
	v_cmp_eq_u32_e32 vcc, 2, v108
	v_cndmask_b32_e32 v53, v53, v28, vcc
	v_cmp_eq_u32_e32 vcc, 0, v50
	v_cmp_eq_u32_e64 s[2:3], 3, v108
	v_cndmask_b32_e64 v53, v53, v29, s[2:3]
	s_or_b64 s[10:11], vcc, s[10:11]
	v_cmp_eq_u32_e32 vcc, 4, v108
	v_cndmask_b32_e32 v53, v53, v30, vcc
	v_cmp_eq_u32_e32 vcc, 5, v108
	v_cndmask_b32_e32 v53, v53, v31, vcc
	;; [unrolled: 2-line block ×15, first 2 shown]
	v_cmp_eq_u32_e32 vcc, 19, v108
	ds_read_b32 v54, v51
	v_cndmask_b32_e32 v53, v53, v45, vcc
	v_cmp_eq_u32_e32 vcc, 20, v108
	v_cndmask_b32_e32 v53, v53, v46, vcc
	v_cmp_eq_u32_e32 vcc, 21, v108
	;; [unrolled: 2-line block ×4, first 2 shown]
	v_add_co_u32_e64 v108, s[2:3], 1, v108
	v_cndmask_b32_e32 v53, v53, v49, vcc
	v_add_u32_e32 v51, 4, v51
	v_addc_co_u32_e64 v52, s[2:3], 0, v52, s[2:3]
	s_waitcnt lgkmcnt(0)
	v_fmac_f32_e32 v107, v53, v54
	s_andn2_b64 exec, exec, s[10:11]
	s_cbranch_execnz .LBB23_61
; %bb.62:
	s_or_b64 exec, exec, s[10:11]
.LBB23_63:
	s_or_b64 exec, exec, s[8:9]
.LBB23_64:
	s_or_b64 exec, exec, s[6:7]
	v_mov_b32_e32 v44, 0
	ds_read_b32 v44, v44 offset:72
	s_waitcnt lgkmcnt(0)
	v_mul_f32_e32 v44, v107, v44
.LBB23_65:
	s_or_b64 exec, exec, s[4:5]
	v_cmp_lt_u32_e64 s[2:3], 17, v0
	ds_write_b32 v106, v43
	s_waitcnt lgkmcnt(0)
	; wave barrier
	s_and_saveexec_b64 s[4:5], s[2:3]
	s_cbranch_execz .LBB23_81
; %bb.66:
	s_andn2_b64 vcc, exec, s[50:51]
	s_cbranch_vccnz .LBB23_68
; %bb.67:
	v_cmp_eq_u32_e32 vcc, 1, v0
	v_cndmask_b32_e32 v107, v26, v27, vcc
	v_cmp_eq_u32_e32 vcc, 2, v0
	v_cndmask_b32_e32 v107, v107, v28, vcc
	;; [unrolled: 2-line block ×19, first 2 shown]
	v_cmp_eq_u32_e32 vcc, 20, v0
	ds_read_b32 v108, v106
	v_cndmask_b32_e32 v107, v107, v46, vcc
	v_cmp_eq_u32_e32 vcc, 21, v0
	v_cndmask_b32_e32 v107, v107, v47, vcc
	v_cmp_eq_u32_e32 vcc, 22, v0
	;; [unrolled: 2-line block ×3, first 2 shown]
	v_cndmask_b32_e32 v107, v107, v49, vcc
	s_waitcnt lgkmcnt(0)
	v_mul_f32_e32 v107, v107, v108
	s_cbranch_execz .LBB23_69
	s_branch .LBB23_70
.LBB23_68:
                                        ; implicit-def: $vgpr107
.LBB23_69:
	ds_read_b32 v107, v106
.LBB23_70:
	s_and_saveexec_b64 s[6:7], s[0:1]
	s_cbranch_execz .LBB23_80
; %bb.71:
	v_subrev_u32_e32 v110, 19, v0
	v_mov_b32_e32 v108, 18
	v_subrev_u32_e32 v109, 18, v0
	v_cmp_lt_u32_e32 vcc, 6, v110
	s_and_saveexec_b64 s[0:1], vcc
	s_cbranch_execz .LBB23_75
; %bb.72:
	v_and_b32_e32 v108, -8, v109
	v_sub_u32_e32 v110, 0, v108
	s_mov_b64 s[8:9], 25
	s_movk_i32 s12, 0xa8
	s_mov_b64 s[10:11], 0
.LBB23_73:                              ; =>This Inner Loop Header: Depth=1
	s_add_i32 s13, s8, -7
	v_mov_b32_e32 v115, s12
	s_set_gpr_idx_on s13, gpr_idx(SRC0)
	v_mov_b32_e32 v108, v26
	s_set_gpr_idx_off
	ds_read2_b64 v[111:114], v115 offset1:1
	s_add_i32 s13, s8, -6
	s_waitcnt lgkmcnt(0)
	v_fmac_f32_e32 v107, v108, v111
	s_set_gpr_idx_on s13, gpr_idx(SRC0)
	v_mov_b32_e32 v108, v26
	s_set_gpr_idx_off
	s_add_i32 s13, s8, -5
	v_fmac_f32_e32 v107, v108, v112
	s_set_gpr_idx_on s13, gpr_idx(SRC0)
	v_mov_b32_e32 v108, v26
	s_set_gpr_idx_off
	s_add_i32 s13, s8, -4
	;; [unrolled: 5-line block ×3, first 2 shown]
	v_fmac_f32_e32 v107, v108, v114
	s_set_gpr_idx_on s13, gpr_idx(SRC0)
	v_mov_b32_e32 v108, v26
	s_set_gpr_idx_off
	ds_read2_b64 v[111:114], v115 offset0:2 offset1:3
	s_add_i32 s13, s8, -2
	s_waitcnt lgkmcnt(0)
	v_fmac_f32_e32 v107, v108, v111
	s_set_gpr_idx_on s13, gpr_idx(SRC0)
	v_mov_b32_e32 v108, v26
	s_set_gpr_idx_off
	s_add_i32 s13, s8, -1
	v_fmac_f32_e32 v107, v108, v112
	s_set_gpr_idx_on s13, gpr_idx(SRC0)
	v_mov_b32_e32 v108, v26
	s_set_gpr_idx_off
	v_fmac_f32_e32 v107, v108, v113
	s_set_gpr_idx_on s8, gpr_idx(SRC0)
	v_mov_b32_e32 v108, v26
	s_set_gpr_idx_off
	s_add_u32 s8, s8, 8
	v_fmac_f32_e32 v107, v108, v114
	v_add_u32_e32 v108, s8, v110
	s_addc_u32 s9, s9, 0
	s_add_i32 s12, s12, 32
	v_cmp_eq_u32_e32 vcc, 25, v108
	s_add_i32 s13, s8, -7
	s_or_b64 s[10:11], vcc, s[10:11]
	v_mov_b32_e32 v108, s13
	s_andn2_b64 exec, exec, s[10:11]
	s_cbranch_execnz .LBB23_73
; %bb.74:
	s_or_b64 exec, exec, s[10:11]
.LBB23_75:
	s_or_b64 exec, exec, s[0:1]
	v_and_b32_e32 v50, 7, v109
	v_cmp_ne_u32_e32 vcc, 0, v50
	s_and_saveexec_b64 s[8:9], vcc
	s_cbranch_execz .LBB23_79
; %bb.76:
	v_mov_b32_e32 v51, 0x60
	v_lshl_add_u32 v51, v108, 2, v51
	v_mov_b32_e32 v52, 0
	s_mov_b64 s[10:11], 0
.LBB23_77:                              ; =>This Inner Loop Header: Depth=1
	v_cmp_eq_u32_e32 vcc, 1, v108
	v_cndmask_b32_e32 v53, v26, v27, vcc
	v_add_u32_e32 v50, -1, v50
	v_cmp_eq_u32_e32 vcc, 2, v108
	v_cndmask_b32_e32 v53, v53, v28, vcc
	v_cmp_eq_u32_e32 vcc, 0, v50
	v_cmp_eq_u32_e64 s[0:1], 3, v108
	v_cndmask_b32_e64 v53, v53, v29, s[0:1]
	s_or_b64 s[10:11], vcc, s[10:11]
	v_cmp_eq_u32_e32 vcc, 4, v108
	v_cndmask_b32_e32 v53, v53, v30, vcc
	v_cmp_eq_u32_e32 vcc, 5, v108
	v_cndmask_b32_e32 v53, v53, v31, vcc
	;; [unrolled: 2-line block ×15, first 2 shown]
	v_cmp_eq_u32_e32 vcc, 19, v108
	ds_read_b32 v54, v51
	v_cndmask_b32_e32 v53, v53, v45, vcc
	v_cmp_eq_u32_e32 vcc, 20, v108
	v_cndmask_b32_e32 v53, v53, v46, vcc
	v_cmp_eq_u32_e32 vcc, 21, v108
	;; [unrolled: 2-line block ×4, first 2 shown]
	v_add_co_u32_e64 v108, s[0:1], 1, v108
	v_cndmask_b32_e32 v53, v53, v49, vcc
	v_add_u32_e32 v51, 4, v51
	v_addc_co_u32_e64 v52, s[0:1], 0, v52, s[0:1]
	s_waitcnt lgkmcnt(0)
	v_fmac_f32_e32 v107, v53, v54
	s_andn2_b64 exec, exec, s[10:11]
	s_cbranch_execnz .LBB23_77
; %bb.78:
	s_or_b64 exec, exec, s[10:11]
.LBB23_79:
	s_or_b64 exec, exec, s[8:9]
.LBB23_80:
	s_or_b64 exec, exec, s[6:7]
	v_mov_b32_e32 v43, 0
	ds_read_b32 v43, v43 offset:68
	s_waitcnt lgkmcnt(0)
	v_mul_f32_e32 v43, v107, v43
.LBB23_81:
	s_or_b64 exec, exec, s[4:5]
	v_cmp_lt_u32_e64 s[0:1], 16, v0
	ds_write_b32 v106, v42
	s_waitcnt lgkmcnt(0)
	; wave barrier
	s_and_saveexec_b64 s[4:5], s[0:1]
	s_cbranch_execz .LBB23_97
; %bb.82:
	s_andn2_b64 vcc, exec, s[50:51]
	s_cbranch_vccnz .LBB23_84
; %bb.83:
	v_cmp_eq_u32_e32 vcc, 1, v0
	v_cndmask_b32_e32 v107, v26, v27, vcc
	v_cmp_eq_u32_e32 vcc, 2, v0
	v_cndmask_b32_e32 v107, v107, v28, vcc
	;; [unrolled: 2-line block ×19, first 2 shown]
	v_cmp_eq_u32_e32 vcc, 20, v0
	ds_read_b32 v108, v106
	v_cndmask_b32_e32 v107, v107, v46, vcc
	v_cmp_eq_u32_e32 vcc, 21, v0
	v_cndmask_b32_e32 v107, v107, v47, vcc
	v_cmp_eq_u32_e32 vcc, 22, v0
	;; [unrolled: 2-line block ×3, first 2 shown]
	v_cndmask_b32_e32 v107, v107, v49, vcc
	s_waitcnt lgkmcnt(0)
	v_mul_f32_e32 v107, v107, v108
	s_cbranch_execz .LBB23_85
	s_branch .LBB23_86
.LBB23_84:
                                        ; implicit-def: $vgpr107
.LBB23_85:
	ds_read_b32 v107, v106
.LBB23_86:
	s_and_saveexec_b64 s[6:7], s[2:3]
	s_cbranch_execz .LBB23_96
; %bb.87:
	v_subrev_u32_e32 v110, 18, v0
	v_mov_b32_e32 v108, 17
	v_subrev_u32_e32 v109, 17, v0
	v_cmp_lt_u32_e32 vcc, 6, v110
	s_and_saveexec_b64 s[2:3], vcc
	s_cbranch_execz .LBB23_91
; %bb.88:
	v_and_b32_e32 v108, -8, v109
	v_sub_u32_e32 v110, 0, v108
	s_mov_b64 s[8:9], 24
	s_movk_i32 s12, 0xa4
	s_mov_b64 s[10:11], 0
.LBB23_89:                              ; =>This Inner Loop Header: Depth=1
	s_add_i32 s13, s8, -7
	v_mov_b32_e32 v113, s12
	s_set_gpr_idx_on s13, gpr_idx(SRC0)
	v_mov_b32_e32 v108, v26
	s_set_gpr_idx_off
	ds_read2_b32 v[111:112], v113 offset1:1
	s_add_i32 s13, s8, -6
	s_waitcnt lgkmcnt(0)
	v_fmac_f32_e32 v107, v108, v111
	s_set_gpr_idx_on s13, gpr_idx(SRC0)
	v_mov_b32_e32 v108, v26
	s_set_gpr_idx_off
	s_add_i32 s13, s8, -5
	v_fmac_f32_e32 v107, v108, v112
	s_set_gpr_idx_on s13, gpr_idx(SRC0)
	v_mov_b32_e32 v108, v26
	s_set_gpr_idx_off
	ds_read2_b32 v[111:112], v113 offset0:2 offset1:3
	s_add_i32 s13, s8, -4
	s_waitcnt lgkmcnt(0)
	v_fmac_f32_e32 v107, v108, v111
	s_set_gpr_idx_on s13, gpr_idx(SRC0)
	v_mov_b32_e32 v108, v26
	s_set_gpr_idx_off
	s_add_i32 s13, s8, -3
	v_fmac_f32_e32 v107, v108, v112
	s_set_gpr_idx_on s13, gpr_idx(SRC0)
	v_mov_b32_e32 v108, v26
	s_set_gpr_idx_off
	ds_read2_b32 v[111:112], v113 offset0:4 offset1:5
	;; [unrolled: 12-line block ×3, first 2 shown]
	s_waitcnt lgkmcnt(0)
	v_fmac_f32_e32 v107, v108, v111
	s_set_gpr_idx_on s8, gpr_idx(SRC0)
	v_mov_b32_e32 v108, v26
	s_set_gpr_idx_off
	s_add_u32 s8, s8, 8
	v_fmac_f32_e32 v107, v108, v112
	v_add_u32_e32 v108, s8, v110
	s_addc_u32 s9, s9, 0
	s_add_i32 s12, s12, 32
	v_cmp_eq_u32_e32 vcc, 24, v108
	s_add_i32 s13, s8, -7
	s_or_b64 s[10:11], vcc, s[10:11]
	v_mov_b32_e32 v108, s13
	s_andn2_b64 exec, exec, s[10:11]
	s_cbranch_execnz .LBB23_89
; %bb.90:
	s_or_b64 exec, exec, s[10:11]
.LBB23_91:
	s_or_b64 exec, exec, s[2:3]
	v_and_b32_e32 v50, 7, v109
	v_cmp_ne_u32_e32 vcc, 0, v50
	s_and_saveexec_b64 s[8:9], vcc
	s_cbranch_execz .LBB23_95
; %bb.92:
	v_mov_b32_e32 v51, 0x60
	v_lshl_add_u32 v51, v108, 2, v51
	v_mov_b32_e32 v52, 0
	s_mov_b64 s[10:11], 0
.LBB23_93:                              ; =>This Inner Loop Header: Depth=1
	v_cmp_eq_u32_e32 vcc, 1, v108
	v_cndmask_b32_e32 v53, v26, v27, vcc
	v_add_u32_e32 v50, -1, v50
	v_cmp_eq_u32_e32 vcc, 2, v108
	v_cndmask_b32_e32 v53, v53, v28, vcc
	v_cmp_eq_u32_e32 vcc, 0, v50
	v_cmp_eq_u32_e64 s[2:3], 3, v108
	v_cndmask_b32_e64 v53, v53, v29, s[2:3]
	s_or_b64 s[10:11], vcc, s[10:11]
	v_cmp_eq_u32_e32 vcc, 4, v108
	v_cndmask_b32_e32 v53, v53, v30, vcc
	v_cmp_eq_u32_e32 vcc, 5, v108
	v_cndmask_b32_e32 v53, v53, v31, vcc
	;; [unrolled: 2-line block ×15, first 2 shown]
	v_cmp_eq_u32_e32 vcc, 19, v108
	ds_read_b32 v54, v51
	v_cndmask_b32_e32 v53, v53, v45, vcc
	v_cmp_eq_u32_e32 vcc, 20, v108
	v_cndmask_b32_e32 v53, v53, v46, vcc
	v_cmp_eq_u32_e32 vcc, 21, v108
	;; [unrolled: 2-line block ×4, first 2 shown]
	v_add_co_u32_e64 v108, s[2:3], 1, v108
	v_cndmask_b32_e32 v53, v53, v49, vcc
	v_add_u32_e32 v51, 4, v51
	v_addc_co_u32_e64 v52, s[2:3], 0, v52, s[2:3]
	s_waitcnt lgkmcnt(0)
	v_fmac_f32_e32 v107, v53, v54
	s_andn2_b64 exec, exec, s[10:11]
	s_cbranch_execnz .LBB23_93
; %bb.94:
	s_or_b64 exec, exec, s[10:11]
.LBB23_95:
	s_or_b64 exec, exec, s[8:9]
.LBB23_96:
	s_or_b64 exec, exec, s[6:7]
	v_mov_b32_e32 v42, 0
	ds_read_b32 v42, v42 offset:64
	s_waitcnt lgkmcnt(0)
	v_mul_f32_e32 v42, v107, v42
.LBB23_97:
	s_or_b64 exec, exec, s[4:5]
	v_cmp_lt_u32_e64 s[2:3], 15, v0
	ds_write_b32 v106, v41
	s_waitcnt lgkmcnt(0)
	; wave barrier
	s_and_saveexec_b64 s[4:5], s[2:3]
	s_cbranch_execz .LBB23_113
; %bb.98:
	s_andn2_b64 vcc, exec, s[50:51]
	s_cbranch_vccnz .LBB23_100
; %bb.99:
	v_cmp_eq_u32_e32 vcc, 1, v0
	v_cndmask_b32_e32 v107, v26, v27, vcc
	v_cmp_eq_u32_e32 vcc, 2, v0
	v_cndmask_b32_e32 v107, v107, v28, vcc
	;; [unrolled: 2-line block ×19, first 2 shown]
	v_cmp_eq_u32_e32 vcc, 20, v0
	ds_read_b32 v108, v106
	v_cndmask_b32_e32 v107, v107, v46, vcc
	v_cmp_eq_u32_e32 vcc, 21, v0
	v_cndmask_b32_e32 v107, v107, v47, vcc
	v_cmp_eq_u32_e32 vcc, 22, v0
	;; [unrolled: 2-line block ×3, first 2 shown]
	v_cndmask_b32_e32 v107, v107, v49, vcc
	s_waitcnt lgkmcnt(0)
	v_mul_f32_e32 v107, v107, v108
	s_cbranch_execz .LBB23_101
	s_branch .LBB23_102
.LBB23_100:
                                        ; implicit-def: $vgpr107
.LBB23_101:
	ds_read_b32 v107, v106
.LBB23_102:
	s_and_saveexec_b64 s[6:7], s[0:1]
	s_cbranch_execz .LBB23_112
; %bb.103:
	v_subrev_u32_e32 v108, 17, v0
	v_cmp_lt_u32_e32 vcc, 6, v108
	v_mov_b32_e32 v108, 16
	s_and_saveexec_b64 s[0:1], vcc
	s_cbranch_execz .LBB23_107
; %bb.104:
	v_and_b32_e32 v108, 24, v0
	v_sub_u32_e32 v109, 0, v108
	s_mov_b64 s[8:9], 23
	s_movk_i32 s12, 0xa0
	s_mov_b64 s[10:11], 0
.LBB23_105:                             ; =>This Inner Loop Header: Depth=1
	s_add_i32 s13, s8, -7
	v_mov_b32_e32 v114, s12
	s_set_gpr_idx_on s13, gpr_idx(SRC0)
	v_mov_b32_e32 v108, v26
	s_set_gpr_idx_off
	ds_read_b128 v[110:113], v114
	ds_read_b128 v[114:117], v114 offset:16
	s_add_i32 s13, s8, -6
	s_waitcnt lgkmcnt(1)
	v_fmac_f32_e32 v107, v108, v110
	s_set_gpr_idx_on s13, gpr_idx(SRC0)
	v_mov_b32_e32 v108, v26
	s_set_gpr_idx_off
	s_add_i32 s13, s8, -5
	v_fmac_f32_e32 v107, v108, v111
	s_set_gpr_idx_on s13, gpr_idx(SRC0)
	v_mov_b32_e32 v108, v26
	s_set_gpr_idx_off
	s_add_i32 s13, s8, -4
	;; [unrolled: 5-line block ×4, first 2 shown]
	s_waitcnt lgkmcnt(0)
	v_fmac_f32_e32 v107, v108, v114
	s_set_gpr_idx_on s13, gpr_idx(SRC0)
	v_mov_b32_e32 v108, v26
	s_set_gpr_idx_off
	s_add_i32 s13, s8, -1
	v_fmac_f32_e32 v107, v108, v115
	s_set_gpr_idx_on s13, gpr_idx(SRC0)
	v_mov_b32_e32 v108, v26
	s_set_gpr_idx_off
	v_fmac_f32_e32 v107, v108, v116
	s_set_gpr_idx_on s8, gpr_idx(SRC0)
	v_mov_b32_e32 v108, v26
	s_set_gpr_idx_off
	s_add_u32 s8, s8, 8
	v_fmac_f32_e32 v107, v108, v117
	v_add_u32_e32 v108, s8, v109
	s_addc_u32 s9, s9, 0
	s_add_i32 s12, s12, 32
	v_cmp_eq_u32_e32 vcc, 7, v108
	s_add_i32 s13, s8, -7
	s_or_b64 s[10:11], vcc, s[10:11]
	v_mov_b32_e32 v108, s13
	s_andn2_b64 exec, exec, s[10:11]
	s_cbranch_execnz .LBB23_105
; %bb.106:
	s_or_b64 exec, exec, s[10:11]
.LBB23_107:
	s_or_b64 exec, exec, s[0:1]
	v_and_b32_e32 v50, 7, v0
	v_cmp_ne_u32_e32 vcc, 0, v50
	s_and_saveexec_b64 s[8:9], vcc
	s_cbranch_execz .LBB23_111
; %bb.108:
	v_mov_b32_e32 v51, 0x60
	v_lshl_add_u32 v51, v108, 2, v51
	v_mov_b32_e32 v52, 0
	s_mov_b64 s[10:11], 0
.LBB23_109:                             ; =>This Inner Loop Header: Depth=1
	v_cmp_eq_u32_e32 vcc, 1, v108
	v_cndmask_b32_e32 v53, v26, v27, vcc
	v_add_u32_e32 v50, -1, v50
	v_cmp_eq_u32_e32 vcc, 2, v108
	v_cndmask_b32_e32 v53, v53, v28, vcc
	v_cmp_eq_u32_e32 vcc, 0, v50
	v_cmp_eq_u32_e64 s[0:1], 3, v108
	v_cndmask_b32_e64 v53, v53, v29, s[0:1]
	s_or_b64 s[10:11], vcc, s[10:11]
	v_cmp_eq_u32_e32 vcc, 4, v108
	v_cndmask_b32_e32 v53, v53, v30, vcc
	v_cmp_eq_u32_e32 vcc, 5, v108
	v_cndmask_b32_e32 v53, v53, v31, vcc
	v_cmp_eq_u32_e32 vcc, 6, v108
	v_cndmask_b32_e32 v53, v53, v32, vcc
	v_cmp_eq_u32_e32 vcc, 7, v108
	v_cndmask_b32_e32 v53, v53, v33, vcc
	v_cmp_eq_u32_e32 vcc, 8, v108
	v_cndmask_b32_e32 v53, v53, v34, vcc
	v_cmp_eq_u32_e32 vcc, 9, v108
	v_cndmask_b32_e32 v53, v53, v35, vcc
	v_cmp_eq_u32_e32 vcc, 10, v108
	v_cndmask_b32_e32 v53, v53, v36, vcc
	v_cmp_eq_u32_e32 vcc, 11, v108
	v_cndmask_b32_e32 v53, v53, v37, vcc
	v_cmp_eq_u32_e32 vcc, 12, v108
	v_cndmask_b32_e32 v53, v53, v38, vcc
	v_cmp_eq_u32_e32 vcc, 13, v108
	v_cndmask_b32_e32 v53, v53, v39, vcc
	v_cmp_eq_u32_e32 vcc, 14, v108
	v_cndmask_b32_e32 v53, v53, v40, vcc
	v_cmp_eq_u32_e32 vcc, 15, v108
	v_cndmask_b32_e32 v53, v53, v41, vcc
	v_cmp_eq_u32_e32 vcc, 16, v108
	v_cndmask_b32_e32 v53, v53, v42, vcc
	v_cmp_eq_u32_e32 vcc, 17, v108
	v_cndmask_b32_e32 v53, v53, v43, vcc
	v_cmp_eq_u32_e32 vcc, 18, v108
	v_cndmask_b32_e32 v53, v53, v44, vcc
	v_cmp_eq_u32_e32 vcc, 19, v108
	ds_read_b32 v54, v51
	v_cndmask_b32_e32 v53, v53, v45, vcc
	v_cmp_eq_u32_e32 vcc, 20, v108
	v_cndmask_b32_e32 v53, v53, v46, vcc
	v_cmp_eq_u32_e32 vcc, 21, v108
	;; [unrolled: 2-line block ×4, first 2 shown]
	v_add_co_u32_e64 v108, s[0:1], 1, v108
	v_cndmask_b32_e32 v53, v53, v49, vcc
	v_add_u32_e32 v51, 4, v51
	v_addc_co_u32_e64 v52, s[0:1], 0, v52, s[0:1]
	s_waitcnt lgkmcnt(0)
	v_fmac_f32_e32 v107, v53, v54
	s_andn2_b64 exec, exec, s[10:11]
	s_cbranch_execnz .LBB23_109
; %bb.110:
	s_or_b64 exec, exec, s[10:11]
.LBB23_111:
	s_or_b64 exec, exec, s[8:9]
.LBB23_112:
	s_or_b64 exec, exec, s[6:7]
	v_mov_b32_e32 v41, 0
	ds_read_b32 v41, v41 offset:60
	s_waitcnt lgkmcnt(0)
	v_mul_f32_e32 v41, v107, v41
.LBB23_113:
	s_or_b64 exec, exec, s[4:5]
	v_cmp_lt_u32_e64 s[0:1], 14, v0
	ds_write_b32 v106, v40
	s_waitcnt lgkmcnt(0)
	; wave barrier
	s_and_saveexec_b64 s[4:5], s[0:1]
	s_cbranch_execz .LBB23_129
; %bb.114:
	s_andn2_b64 vcc, exec, s[50:51]
	s_cbranch_vccnz .LBB23_116
; %bb.115:
	v_cmp_eq_u32_e32 vcc, 1, v0
	v_cndmask_b32_e32 v107, v26, v27, vcc
	v_cmp_eq_u32_e32 vcc, 2, v0
	v_cndmask_b32_e32 v107, v107, v28, vcc
	;; [unrolled: 2-line block ×19, first 2 shown]
	v_cmp_eq_u32_e32 vcc, 20, v0
	ds_read_b32 v108, v106
	v_cndmask_b32_e32 v107, v107, v46, vcc
	v_cmp_eq_u32_e32 vcc, 21, v0
	v_cndmask_b32_e32 v107, v107, v47, vcc
	v_cmp_eq_u32_e32 vcc, 22, v0
	;; [unrolled: 2-line block ×3, first 2 shown]
	v_cndmask_b32_e32 v107, v107, v49, vcc
	s_waitcnt lgkmcnt(0)
	v_mul_f32_e32 v107, v107, v108
	s_cbranch_execz .LBB23_117
	s_branch .LBB23_118
.LBB23_116:
                                        ; implicit-def: $vgpr107
.LBB23_117:
	ds_read_b32 v107, v106
.LBB23_118:
	s_and_saveexec_b64 s[6:7], s[2:3]
	s_cbranch_execz .LBB23_128
; %bb.119:
	v_add_u32_e32 v108, -16, v0
	v_add_u32_e32 v109, -15, v0
	v_cmp_lt_u32_e32 vcc, 6, v108
	v_mov_b32_e32 v108, 15
	s_and_saveexec_b64 s[2:3], vcc
	s_cbranch_execz .LBB23_123
; %bb.120:
	v_and_b32_e32 v108, -8, v109
	v_sub_u32_e32 v110, 0, v108
	s_mov_b64 s[8:9], 22
	s_movk_i32 s12, 0x9c
	s_mov_b64 s[10:11], 0
.LBB23_121:                             ; =>This Inner Loop Header: Depth=1
	s_add_i32 s13, s8, -7
	v_mov_b32_e32 v113, s12
	s_set_gpr_idx_on s13, gpr_idx(SRC0)
	v_mov_b32_e32 v108, v26
	s_set_gpr_idx_off
	ds_read2_b32 v[111:112], v113 offset1:1
	s_add_i32 s13, s8, -6
	s_waitcnt lgkmcnt(0)
	v_fmac_f32_e32 v107, v108, v111
	s_set_gpr_idx_on s13, gpr_idx(SRC0)
	v_mov_b32_e32 v108, v26
	s_set_gpr_idx_off
	s_add_i32 s13, s8, -5
	v_fmac_f32_e32 v107, v108, v112
	s_set_gpr_idx_on s13, gpr_idx(SRC0)
	v_mov_b32_e32 v108, v26
	s_set_gpr_idx_off
	ds_read2_b32 v[111:112], v113 offset0:2 offset1:3
	s_add_i32 s13, s8, -4
	s_waitcnt lgkmcnt(0)
	v_fmac_f32_e32 v107, v108, v111
	s_set_gpr_idx_on s13, gpr_idx(SRC0)
	v_mov_b32_e32 v108, v26
	s_set_gpr_idx_off
	s_add_i32 s13, s8, -3
	v_fmac_f32_e32 v107, v108, v112
	s_set_gpr_idx_on s13, gpr_idx(SRC0)
	v_mov_b32_e32 v108, v26
	s_set_gpr_idx_off
	ds_read2_b32 v[111:112], v113 offset0:4 offset1:5
	;; [unrolled: 12-line block ×3, first 2 shown]
	s_waitcnt lgkmcnt(0)
	v_fmac_f32_e32 v107, v108, v111
	s_set_gpr_idx_on s8, gpr_idx(SRC0)
	v_mov_b32_e32 v108, v26
	s_set_gpr_idx_off
	s_add_u32 s8, s8, 8
	v_fmac_f32_e32 v107, v108, v112
	v_add_u32_e32 v108, s8, v110
	s_addc_u32 s9, s9, 0
	s_add_i32 s12, s12, 32
	v_cmp_eq_u32_e32 vcc, 22, v108
	s_add_i32 s13, s8, -7
	s_or_b64 s[10:11], vcc, s[10:11]
	v_mov_b32_e32 v108, s13
	s_andn2_b64 exec, exec, s[10:11]
	s_cbranch_execnz .LBB23_121
; %bb.122:
	s_or_b64 exec, exec, s[10:11]
.LBB23_123:
	s_or_b64 exec, exec, s[2:3]
	v_and_b32_e32 v50, 7, v109
	v_cmp_ne_u32_e32 vcc, 0, v50
	s_and_saveexec_b64 s[8:9], vcc
	s_cbranch_execz .LBB23_127
; %bb.124:
	v_mov_b32_e32 v51, 0x60
	v_lshl_add_u32 v51, v108, 2, v51
	v_mov_b32_e32 v52, 0
	s_mov_b64 s[10:11], 0
.LBB23_125:                             ; =>This Inner Loop Header: Depth=1
	v_cmp_eq_u32_e32 vcc, 1, v108
	v_cndmask_b32_e32 v53, v26, v27, vcc
	v_add_u32_e32 v50, -1, v50
	v_cmp_eq_u32_e32 vcc, 2, v108
	v_cndmask_b32_e32 v53, v53, v28, vcc
	v_cmp_eq_u32_e32 vcc, 0, v50
	v_cmp_eq_u32_e64 s[2:3], 3, v108
	v_cndmask_b32_e64 v53, v53, v29, s[2:3]
	s_or_b64 s[10:11], vcc, s[10:11]
	v_cmp_eq_u32_e32 vcc, 4, v108
	v_cndmask_b32_e32 v53, v53, v30, vcc
	v_cmp_eq_u32_e32 vcc, 5, v108
	v_cndmask_b32_e32 v53, v53, v31, vcc
	;; [unrolled: 2-line block ×15, first 2 shown]
	v_cmp_eq_u32_e32 vcc, 19, v108
	ds_read_b32 v54, v51
	v_cndmask_b32_e32 v53, v53, v45, vcc
	v_cmp_eq_u32_e32 vcc, 20, v108
	v_cndmask_b32_e32 v53, v53, v46, vcc
	v_cmp_eq_u32_e32 vcc, 21, v108
	;; [unrolled: 2-line block ×4, first 2 shown]
	v_add_co_u32_e64 v108, s[2:3], 1, v108
	v_cndmask_b32_e32 v53, v53, v49, vcc
	v_add_u32_e32 v51, 4, v51
	v_addc_co_u32_e64 v52, s[2:3], 0, v52, s[2:3]
	s_waitcnt lgkmcnt(0)
	v_fmac_f32_e32 v107, v53, v54
	s_andn2_b64 exec, exec, s[10:11]
	s_cbranch_execnz .LBB23_125
; %bb.126:
	s_or_b64 exec, exec, s[10:11]
.LBB23_127:
	s_or_b64 exec, exec, s[8:9]
.LBB23_128:
	s_or_b64 exec, exec, s[6:7]
	v_mov_b32_e32 v40, 0
	ds_read_b32 v40, v40 offset:56
	s_waitcnt lgkmcnt(0)
	v_mul_f32_e32 v40, v107, v40
.LBB23_129:
	s_or_b64 exec, exec, s[4:5]
	v_cmp_lt_u32_e64 s[2:3], 13, v0
	ds_write_b32 v106, v39
	s_waitcnt lgkmcnt(0)
	; wave barrier
	s_and_saveexec_b64 s[4:5], s[2:3]
	s_cbranch_execz .LBB23_145
; %bb.130:
	s_andn2_b64 vcc, exec, s[50:51]
	s_cbranch_vccnz .LBB23_132
; %bb.131:
	v_cmp_eq_u32_e32 vcc, 1, v0
	v_cndmask_b32_e32 v107, v26, v27, vcc
	v_cmp_eq_u32_e32 vcc, 2, v0
	v_cndmask_b32_e32 v107, v107, v28, vcc
	;; [unrolled: 2-line block ×19, first 2 shown]
	v_cmp_eq_u32_e32 vcc, 20, v0
	ds_read_b32 v108, v106
	v_cndmask_b32_e32 v107, v107, v46, vcc
	v_cmp_eq_u32_e32 vcc, 21, v0
	v_cndmask_b32_e32 v107, v107, v47, vcc
	v_cmp_eq_u32_e32 vcc, 22, v0
	;; [unrolled: 2-line block ×3, first 2 shown]
	v_cndmask_b32_e32 v107, v107, v49, vcc
	s_waitcnt lgkmcnt(0)
	v_mul_f32_e32 v107, v107, v108
	s_cbranch_execz .LBB23_133
	s_branch .LBB23_134
.LBB23_132:
                                        ; implicit-def: $vgpr107
.LBB23_133:
	ds_read_b32 v107, v106
.LBB23_134:
	s_and_saveexec_b64 s[6:7], s[0:1]
	s_cbranch_execz .LBB23_144
; %bb.135:
	v_add_u32_e32 v108, -15, v0
	v_add_u32_e32 v109, -14, v0
	v_cmp_lt_u32_e32 vcc, 6, v108
	v_mov_b32_e32 v108, 14
	s_and_saveexec_b64 s[0:1], vcc
	s_cbranch_execz .LBB23_139
; %bb.136:
	v_and_b32_e32 v108, -8, v109
	v_sub_u32_e32 v110, 0, v108
	s_mov_b64 s[8:9], 21
	s_movk_i32 s12, 0x98
	s_mov_b64 s[10:11], 0
.LBB23_137:                             ; =>This Inner Loop Header: Depth=1
	s_add_i32 s13, s8, -7
	v_mov_b32_e32 v115, s12
	s_set_gpr_idx_on s13, gpr_idx(SRC0)
	v_mov_b32_e32 v108, v26
	s_set_gpr_idx_off
	ds_read2_b64 v[111:114], v115 offset1:1
	s_add_i32 s13, s8, -6
	s_waitcnt lgkmcnt(0)
	v_fmac_f32_e32 v107, v108, v111
	s_set_gpr_idx_on s13, gpr_idx(SRC0)
	v_mov_b32_e32 v108, v26
	s_set_gpr_idx_off
	s_add_i32 s13, s8, -5
	v_fmac_f32_e32 v107, v108, v112
	s_set_gpr_idx_on s13, gpr_idx(SRC0)
	v_mov_b32_e32 v108, v26
	s_set_gpr_idx_off
	s_add_i32 s13, s8, -4
	v_fmac_f32_e32 v107, v108, v113
	s_set_gpr_idx_on s13, gpr_idx(SRC0)
	v_mov_b32_e32 v108, v26
	s_set_gpr_idx_off
	s_add_i32 s13, s8, -3
	v_fmac_f32_e32 v107, v108, v114
	s_set_gpr_idx_on s13, gpr_idx(SRC0)
	v_mov_b32_e32 v108, v26
	s_set_gpr_idx_off
	ds_read2_b64 v[111:114], v115 offset0:2 offset1:3
	s_add_i32 s13, s8, -2
	s_waitcnt lgkmcnt(0)
	v_fmac_f32_e32 v107, v108, v111
	s_set_gpr_idx_on s13, gpr_idx(SRC0)
	v_mov_b32_e32 v108, v26
	s_set_gpr_idx_off
	s_add_i32 s13, s8, -1
	v_fmac_f32_e32 v107, v108, v112
	s_set_gpr_idx_on s13, gpr_idx(SRC0)
	v_mov_b32_e32 v108, v26
	s_set_gpr_idx_off
	v_fmac_f32_e32 v107, v108, v113
	s_set_gpr_idx_on s8, gpr_idx(SRC0)
	v_mov_b32_e32 v108, v26
	s_set_gpr_idx_off
	s_add_u32 s8, s8, 8
	v_fmac_f32_e32 v107, v108, v114
	v_add_u32_e32 v108, s8, v110
	s_addc_u32 s9, s9, 0
	s_add_i32 s12, s12, 32
	v_cmp_eq_u32_e32 vcc, 21, v108
	s_add_i32 s13, s8, -7
	s_or_b64 s[10:11], vcc, s[10:11]
	v_mov_b32_e32 v108, s13
	s_andn2_b64 exec, exec, s[10:11]
	s_cbranch_execnz .LBB23_137
; %bb.138:
	s_or_b64 exec, exec, s[10:11]
.LBB23_139:
	s_or_b64 exec, exec, s[0:1]
	v_and_b32_e32 v50, 7, v109
	v_cmp_ne_u32_e32 vcc, 0, v50
	s_and_saveexec_b64 s[8:9], vcc
	s_cbranch_execz .LBB23_143
; %bb.140:
	v_mov_b32_e32 v51, 0x60
	v_lshl_add_u32 v51, v108, 2, v51
	v_mov_b32_e32 v52, 0
	s_mov_b64 s[10:11], 0
.LBB23_141:                             ; =>This Inner Loop Header: Depth=1
	v_cmp_eq_u32_e32 vcc, 1, v108
	v_cndmask_b32_e32 v53, v26, v27, vcc
	v_add_u32_e32 v50, -1, v50
	v_cmp_eq_u32_e32 vcc, 2, v108
	v_cndmask_b32_e32 v53, v53, v28, vcc
	v_cmp_eq_u32_e32 vcc, 0, v50
	v_cmp_eq_u32_e64 s[0:1], 3, v108
	v_cndmask_b32_e64 v53, v53, v29, s[0:1]
	s_or_b64 s[10:11], vcc, s[10:11]
	v_cmp_eq_u32_e32 vcc, 4, v108
	v_cndmask_b32_e32 v53, v53, v30, vcc
	v_cmp_eq_u32_e32 vcc, 5, v108
	v_cndmask_b32_e32 v53, v53, v31, vcc
	;; [unrolled: 2-line block ×15, first 2 shown]
	v_cmp_eq_u32_e32 vcc, 19, v108
	ds_read_b32 v54, v51
	v_cndmask_b32_e32 v53, v53, v45, vcc
	v_cmp_eq_u32_e32 vcc, 20, v108
	v_cndmask_b32_e32 v53, v53, v46, vcc
	v_cmp_eq_u32_e32 vcc, 21, v108
	;; [unrolled: 2-line block ×4, first 2 shown]
	v_add_co_u32_e64 v108, s[0:1], 1, v108
	v_cndmask_b32_e32 v53, v53, v49, vcc
	v_add_u32_e32 v51, 4, v51
	v_addc_co_u32_e64 v52, s[0:1], 0, v52, s[0:1]
	s_waitcnt lgkmcnt(0)
	v_fmac_f32_e32 v107, v53, v54
	s_andn2_b64 exec, exec, s[10:11]
	s_cbranch_execnz .LBB23_141
; %bb.142:
	s_or_b64 exec, exec, s[10:11]
.LBB23_143:
	s_or_b64 exec, exec, s[8:9]
.LBB23_144:
	s_or_b64 exec, exec, s[6:7]
	v_mov_b32_e32 v39, 0
	ds_read_b32 v39, v39 offset:52
	s_waitcnt lgkmcnt(0)
	v_mul_f32_e32 v39, v107, v39
.LBB23_145:
	s_or_b64 exec, exec, s[4:5]
	v_cmp_lt_u32_e64 s[0:1], 12, v0
	ds_write_b32 v106, v38
	s_waitcnt lgkmcnt(0)
	; wave barrier
	s_and_saveexec_b64 s[4:5], s[0:1]
	s_cbranch_execz .LBB23_161
; %bb.146:
	s_andn2_b64 vcc, exec, s[50:51]
	s_cbranch_vccnz .LBB23_148
; %bb.147:
	v_cmp_eq_u32_e32 vcc, 1, v0
	v_cndmask_b32_e32 v107, v26, v27, vcc
	v_cmp_eq_u32_e32 vcc, 2, v0
	v_cndmask_b32_e32 v107, v107, v28, vcc
	;; [unrolled: 2-line block ×19, first 2 shown]
	v_cmp_eq_u32_e32 vcc, 20, v0
	ds_read_b32 v108, v106
	v_cndmask_b32_e32 v107, v107, v46, vcc
	v_cmp_eq_u32_e32 vcc, 21, v0
	v_cndmask_b32_e32 v107, v107, v47, vcc
	v_cmp_eq_u32_e32 vcc, 22, v0
	;; [unrolled: 2-line block ×3, first 2 shown]
	v_cndmask_b32_e32 v107, v107, v49, vcc
	s_waitcnt lgkmcnt(0)
	v_mul_f32_e32 v107, v107, v108
	s_cbranch_execz .LBB23_149
	s_branch .LBB23_150
.LBB23_148:
                                        ; implicit-def: $vgpr107
.LBB23_149:
	ds_read_b32 v107, v106
.LBB23_150:
	s_and_saveexec_b64 s[6:7], s[2:3]
	s_cbranch_execz .LBB23_160
; %bb.151:
	v_add_u32_e32 v108, -14, v0
	v_add_u32_e32 v109, -13, v0
	v_cmp_lt_u32_e32 vcc, 6, v108
	v_mov_b32_e32 v108, 13
	s_and_saveexec_b64 s[2:3], vcc
	s_cbranch_execz .LBB23_155
; %bb.152:
	v_and_b32_e32 v108, -8, v109
	v_sub_u32_e32 v110, 0, v108
	s_mov_b64 s[8:9], 20
	s_movk_i32 s12, 0x94
	s_mov_b64 s[10:11], 0
.LBB23_153:                             ; =>This Inner Loop Header: Depth=1
	s_add_i32 s13, s8, -7
	v_mov_b32_e32 v113, s12
	s_set_gpr_idx_on s13, gpr_idx(SRC0)
	v_mov_b32_e32 v108, v26
	s_set_gpr_idx_off
	ds_read2_b32 v[111:112], v113 offset1:1
	s_add_i32 s13, s8, -6
	s_waitcnt lgkmcnt(0)
	v_fmac_f32_e32 v107, v108, v111
	s_set_gpr_idx_on s13, gpr_idx(SRC0)
	v_mov_b32_e32 v108, v26
	s_set_gpr_idx_off
	s_add_i32 s13, s8, -5
	v_fmac_f32_e32 v107, v108, v112
	s_set_gpr_idx_on s13, gpr_idx(SRC0)
	v_mov_b32_e32 v108, v26
	s_set_gpr_idx_off
	ds_read2_b32 v[111:112], v113 offset0:2 offset1:3
	s_add_i32 s13, s8, -4
	s_waitcnt lgkmcnt(0)
	v_fmac_f32_e32 v107, v108, v111
	s_set_gpr_idx_on s13, gpr_idx(SRC0)
	v_mov_b32_e32 v108, v26
	s_set_gpr_idx_off
	s_add_i32 s13, s8, -3
	v_fmac_f32_e32 v107, v108, v112
	s_set_gpr_idx_on s13, gpr_idx(SRC0)
	v_mov_b32_e32 v108, v26
	s_set_gpr_idx_off
	ds_read2_b32 v[111:112], v113 offset0:4 offset1:5
	;; [unrolled: 12-line block ×3, first 2 shown]
	s_waitcnt lgkmcnt(0)
	v_fmac_f32_e32 v107, v108, v111
	s_set_gpr_idx_on s8, gpr_idx(SRC0)
	v_mov_b32_e32 v108, v26
	s_set_gpr_idx_off
	s_add_u32 s8, s8, 8
	v_fmac_f32_e32 v107, v108, v112
	v_add_u32_e32 v108, s8, v110
	s_addc_u32 s9, s9, 0
	s_add_i32 s12, s12, 32
	v_cmp_eq_u32_e32 vcc, 20, v108
	s_add_i32 s13, s8, -7
	s_or_b64 s[10:11], vcc, s[10:11]
	v_mov_b32_e32 v108, s13
	s_andn2_b64 exec, exec, s[10:11]
	s_cbranch_execnz .LBB23_153
; %bb.154:
	s_or_b64 exec, exec, s[10:11]
.LBB23_155:
	s_or_b64 exec, exec, s[2:3]
	v_and_b32_e32 v50, 7, v109
	v_cmp_ne_u32_e32 vcc, 0, v50
	s_and_saveexec_b64 s[8:9], vcc
	s_cbranch_execz .LBB23_159
; %bb.156:
	v_mov_b32_e32 v51, 0x60
	v_lshl_add_u32 v51, v108, 2, v51
	v_mov_b32_e32 v52, 0
	s_mov_b64 s[10:11], 0
.LBB23_157:                             ; =>This Inner Loop Header: Depth=1
	v_cmp_eq_u32_e32 vcc, 1, v108
	v_cndmask_b32_e32 v53, v26, v27, vcc
	v_add_u32_e32 v50, -1, v50
	v_cmp_eq_u32_e32 vcc, 2, v108
	v_cndmask_b32_e32 v53, v53, v28, vcc
	v_cmp_eq_u32_e32 vcc, 0, v50
	v_cmp_eq_u32_e64 s[2:3], 3, v108
	v_cndmask_b32_e64 v53, v53, v29, s[2:3]
	s_or_b64 s[10:11], vcc, s[10:11]
	v_cmp_eq_u32_e32 vcc, 4, v108
	v_cndmask_b32_e32 v53, v53, v30, vcc
	v_cmp_eq_u32_e32 vcc, 5, v108
	v_cndmask_b32_e32 v53, v53, v31, vcc
	;; [unrolled: 2-line block ×15, first 2 shown]
	v_cmp_eq_u32_e32 vcc, 19, v108
	ds_read_b32 v54, v51
	v_cndmask_b32_e32 v53, v53, v45, vcc
	v_cmp_eq_u32_e32 vcc, 20, v108
	v_cndmask_b32_e32 v53, v53, v46, vcc
	v_cmp_eq_u32_e32 vcc, 21, v108
	;; [unrolled: 2-line block ×4, first 2 shown]
	v_add_co_u32_e64 v108, s[2:3], 1, v108
	v_cndmask_b32_e32 v53, v53, v49, vcc
	v_add_u32_e32 v51, 4, v51
	v_addc_co_u32_e64 v52, s[2:3], 0, v52, s[2:3]
	s_waitcnt lgkmcnt(0)
	v_fmac_f32_e32 v107, v53, v54
	s_andn2_b64 exec, exec, s[10:11]
	s_cbranch_execnz .LBB23_157
; %bb.158:
	s_or_b64 exec, exec, s[10:11]
.LBB23_159:
	s_or_b64 exec, exec, s[8:9]
.LBB23_160:
	s_or_b64 exec, exec, s[6:7]
	v_mov_b32_e32 v38, 0
	ds_read_b32 v38, v38 offset:48
	s_waitcnt lgkmcnt(0)
	v_mul_f32_e32 v38, v107, v38
.LBB23_161:
	s_or_b64 exec, exec, s[4:5]
	v_cmp_lt_u32_e64 s[2:3], 11, v0
	ds_write_b32 v106, v37
	s_waitcnt lgkmcnt(0)
	; wave barrier
	s_and_saveexec_b64 s[4:5], s[2:3]
	s_cbranch_execz .LBB23_177
; %bb.162:
	s_andn2_b64 vcc, exec, s[50:51]
	s_cbranch_vccnz .LBB23_164
; %bb.163:
	v_cmp_eq_u32_e32 vcc, 1, v0
	v_cndmask_b32_e32 v107, v26, v27, vcc
	v_cmp_eq_u32_e32 vcc, 2, v0
	v_cndmask_b32_e32 v107, v107, v28, vcc
	;; [unrolled: 2-line block ×19, first 2 shown]
	v_cmp_eq_u32_e32 vcc, 20, v0
	ds_read_b32 v108, v106
	v_cndmask_b32_e32 v107, v107, v46, vcc
	v_cmp_eq_u32_e32 vcc, 21, v0
	v_cndmask_b32_e32 v107, v107, v47, vcc
	v_cmp_eq_u32_e32 vcc, 22, v0
	;; [unrolled: 2-line block ×3, first 2 shown]
	v_cndmask_b32_e32 v107, v107, v49, vcc
	s_waitcnt lgkmcnt(0)
	v_mul_f32_e32 v107, v107, v108
	s_cbranch_execz .LBB23_165
	s_branch .LBB23_166
.LBB23_164:
                                        ; implicit-def: $vgpr107
.LBB23_165:
	ds_read_b32 v107, v106
.LBB23_166:
	s_and_saveexec_b64 s[6:7], s[0:1]
	s_cbranch_execz .LBB23_176
; %bb.167:
	v_add_u32_e32 v108, -13, v0
	v_add_u32_e32 v109, -12, v0
	v_cmp_lt_u32_e32 vcc, 6, v108
	v_mov_b32_e32 v108, 12
	s_and_saveexec_b64 s[0:1], vcc
	s_cbranch_execz .LBB23_171
; %bb.168:
	v_and_b32_e32 v108, -8, v109
	v_sub_u32_e32 v110, 0, v108
	s_mov_b64 s[8:9], 19
	s_movk_i32 s12, 0x90
	s_mov_b64 s[10:11], 0
.LBB23_169:                             ; =>This Inner Loop Header: Depth=1
	s_add_i32 s13, s8, -7
	v_mov_b32_e32 v115, s12
	s_set_gpr_idx_on s13, gpr_idx(SRC0)
	v_mov_b32_e32 v108, v26
	s_set_gpr_idx_off
	ds_read_b128 v[111:114], v115
	ds_read_b128 v[115:118], v115 offset:16
	s_add_i32 s13, s8, -6
	s_waitcnt lgkmcnt(1)
	v_fmac_f32_e32 v107, v108, v111
	s_set_gpr_idx_on s13, gpr_idx(SRC0)
	v_mov_b32_e32 v108, v26
	s_set_gpr_idx_off
	s_add_i32 s13, s8, -5
	v_fmac_f32_e32 v107, v108, v112
	s_set_gpr_idx_on s13, gpr_idx(SRC0)
	v_mov_b32_e32 v108, v26
	s_set_gpr_idx_off
	s_add_i32 s13, s8, -4
	;; [unrolled: 5-line block ×4, first 2 shown]
	s_waitcnt lgkmcnt(0)
	v_fmac_f32_e32 v107, v108, v115
	s_set_gpr_idx_on s13, gpr_idx(SRC0)
	v_mov_b32_e32 v108, v26
	s_set_gpr_idx_off
	s_add_i32 s13, s8, -1
	v_fmac_f32_e32 v107, v108, v116
	s_set_gpr_idx_on s13, gpr_idx(SRC0)
	v_mov_b32_e32 v108, v26
	s_set_gpr_idx_off
	v_fmac_f32_e32 v107, v108, v117
	s_set_gpr_idx_on s8, gpr_idx(SRC0)
	v_mov_b32_e32 v108, v26
	s_set_gpr_idx_off
	s_add_u32 s8, s8, 8
	v_fmac_f32_e32 v107, v108, v118
	v_add_u32_e32 v108, s8, v110
	s_addc_u32 s9, s9, 0
	s_add_i32 s12, s12, 32
	v_cmp_eq_u32_e32 vcc, 19, v108
	s_add_i32 s13, s8, -7
	s_or_b64 s[10:11], vcc, s[10:11]
	v_mov_b32_e32 v108, s13
	s_andn2_b64 exec, exec, s[10:11]
	s_cbranch_execnz .LBB23_169
; %bb.170:
	s_or_b64 exec, exec, s[10:11]
.LBB23_171:
	s_or_b64 exec, exec, s[0:1]
	v_and_b32_e32 v50, 7, v109
	v_cmp_ne_u32_e32 vcc, 0, v50
	s_and_saveexec_b64 s[8:9], vcc
	s_cbranch_execz .LBB23_175
; %bb.172:
	v_mov_b32_e32 v51, 0x60
	v_lshl_add_u32 v51, v108, 2, v51
	v_mov_b32_e32 v52, 0
	s_mov_b64 s[10:11], 0
.LBB23_173:                             ; =>This Inner Loop Header: Depth=1
	v_cmp_eq_u32_e32 vcc, 1, v108
	v_cndmask_b32_e32 v53, v26, v27, vcc
	v_add_u32_e32 v50, -1, v50
	v_cmp_eq_u32_e32 vcc, 2, v108
	v_cndmask_b32_e32 v53, v53, v28, vcc
	v_cmp_eq_u32_e32 vcc, 0, v50
	v_cmp_eq_u32_e64 s[0:1], 3, v108
	v_cndmask_b32_e64 v53, v53, v29, s[0:1]
	s_or_b64 s[10:11], vcc, s[10:11]
	v_cmp_eq_u32_e32 vcc, 4, v108
	v_cndmask_b32_e32 v53, v53, v30, vcc
	v_cmp_eq_u32_e32 vcc, 5, v108
	v_cndmask_b32_e32 v53, v53, v31, vcc
	;; [unrolled: 2-line block ×15, first 2 shown]
	v_cmp_eq_u32_e32 vcc, 19, v108
	ds_read_b32 v54, v51
	v_cndmask_b32_e32 v53, v53, v45, vcc
	v_cmp_eq_u32_e32 vcc, 20, v108
	v_cndmask_b32_e32 v53, v53, v46, vcc
	v_cmp_eq_u32_e32 vcc, 21, v108
	;; [unrolled: 2-line block ×4, first 2 shown]
	v_add_co_u32_e64 v108, s[0:1], 1, v108
	v_cndmask_b32_e32 v53, v53, v49, vcc
	v_add_u32_e32 v51, 4, v51
	v_addc_co_u32_e64 v52, s[0:1], 0, v52, s[0:1]
	s_waitcnt lgkmcnt(0)
	v_fmac_f32_e32 v107, v53, v54
	s_andn2_b64 exec, exec, s[10:11]
	s_cbranch_execnz .LBB23_173
; %bb.174:
	s_or_b64 exec, exec, s[10:11]
.LBB23_175:
	s_or_b64 exec, exec, s[8:9]
.LBB23_176:
	s_or_b64 exec, exec, s[6:7]
	v_mov_b32_e32 v37, 0
	ds_read_b32 v37, v37 offset:44
	s_waitcnt lgkmcnt(0)
	v_mul_f32_e32 v37, v107, v37
.LBB23_177:
	s_or_b64 exec, exec, s[4:5]
	v_cmp_lt_u32_e64 s[0:1], 10, v0
	ds_write_b32 v106, v36
	s_waitcnt lgkmcnt(0)
	; wave barrier
	s_and_saveexec_b64 s[4:5], s[0:1]
	s_cbranch_execz .LBB23_193
; %bb.178:
	s_andn2_b64 vcc, exec, s[50:51]
	s_cbranch_vccnz .LBB23_180
; %bb.179:
	v_cmp_eq_u32_e32 vcc, 1, v0
	v_cndmask_b32_e32 v107, v26, v27, vcc
	v_cmp_eq_u32_e32 vcc, 2, v0
	v_cndmask_b32_e32 v107, v107, v28, vcc
	v_cmp_eq_u32_e32 vcc, 3, v0
	v_cndmask_b32_e32 v107, v107, v29, vcc
	v_cmp_eq_u32_e32 vcc, 4, v0
	v_cndmask_b32_e32 v107, v107, v30, vcc
	v_cmp_eq_u32_e32 vcc, 5, v0
	v_cndmask_b32_e32 v107, v107, v31, vcc
	v_cmp_eq_u32_e32 vcc, 6, v0
	v_cndmask_b32_e32 v107, v107, v32, vcc
	v_cmp_eq_u32_e32 vcc, 7, v0
	v_cndmask_b32_e32 v107, v107, v33, vcc
	v_cmp_eq_u32_e32 vcc, 8, v0
	v_cndmask_b32_e32 v107, v107, v34, vcc
	v_cmp_eq_u32_e32 vcc, 9, v0
	v_cndmask_b32_e32 v107, v107, v35, vcc
	v_cmp_eq_u32_e32 vcc, 10, v0
	v_cndmask_b32_e32 v107, v107, v36, vcc
	v_cmp_eq_u32_e32 vcc, 11, v0
	v_cndmask_b32_e32 v107, v107, v37, vcc
	v_cmp_eq_u32_e32 vcc, 12, v0
	v_cndmask_b32_e32 v107, v107, v38, vcc
	v_cmp_eq_u32_e32 vcc, 13, v0
	v_cndmask_b32_e32 v107, v107, v39, vcc
	v_cmp_eq_u32_e32 vcc, 14, v0
	v_cndmask_b32_e32 v107, v107, v40, vcc
	v_cmp_eq_u32_e32 vcc, 15, v0
	v_cndmask_b32_e32 v107, v107, v41, vcc
	v_cmp_eq_u32_e32 vcc, 16, v0
	v_cndmask_b32_e32 v107, v107, v42, vcc
	v_cmp_eq_u32_e32 vcc, 17, v0
	v_cndmask_b32_e32 v107, v107, v43, vcc
	v_cmp_eq_u32_e32 vcc, 18, v0
	v_cndmask_b32_e32 v107, v107, v44, vcc
	v_cmp_eq_u32_e32 vcc, 19, v0
	v_cndmask_b32_e32 v107, v107, v45, vcc
	v_cmp_eq_u32_e32 vcc, 20, v0
	ds_read_b32 v108, v106
	v_cndmask_b32_e32 v107, v107, v46, vcc
	v_cmp_eq_u32_e32 vcc, 21, v0
	v_cndmask_b32_e32 v107, v107, v47, vcc
	v_cmp_eq_u32_e32 vcc, 22, v0
	;; [unrolled: 2-line block ×3, first 2 shown]
	v_cndmask_b32_e32 v107, v107, v49, vcc
	s_waitcnt lgkmcnt(0)
	v_mul_f32_e32 v107, v107, v108
	s_cbranch_execz .LBB23_181
	s_branch .LBB23_182
.LBB23_180:
                                        ; implicit-def: $vgpr107
.LBB23_181:
	ds_read_b32 v107, v106
.LBB23_182:
	s_and_saveexec_b64 s[6:7], s[2:3]
	s_cbranch_execz .LBB23_192
; %bb.183:
	v_add_u32_e32 v108, -12, v0
	v_add_u32_e32 v109, -11, v0
	v_cmp_lt_u32_e32 vcc, 6, v108
	v_mov_b32_e32 v108, 11
	s_and_saveexec_b64 s[2:3], vcc
	s_cbranch_execz .LBB23_187
; %bb.184:
	v_and_b32_e32 v108, -8, v109
	v_sub_u32_e32 v110, 0, v108
	s_mov_b64 s[8:9], 18
	s_movk_i32 s12, 0x8c
	s_mov_b64 s[10:11], 0
.LBB23_185:                             ; =>This Inner Loop Header: Depth=1
	s_add_i32 s13, s8, -7
	v_mov_b32_e32 v113, s12
	s_set_gpr_idx_on s13, gpr_idx(SRC0)
	v_mov_b32_e32 v108, v26
	s_set_gpr_idx_off
	ds_read2_b32 v[111:112], v113 offset1:1
	s_add_i32 s13, s8, -6
	s_waitcnt lgkmcnt(0)
	v_fmac_f32_e32 v107, v108, v111
	s_set_gpr_idx_on s13, gpr_idx(SRC0)
	v_mov_b32_e32 v108, v26
	s_set_gpr_idx_off
	s_add_i32 s13, s8, -5
	v_fmac_f32_e32 v107, v108, v112
	s_set_gpr_idx_on s13, gpr_idx(SRC0)
	v_mov_b32_e32 v108, v26
	s_set_gpr_idx_off
	ds_read2_b32 v[111:112], v113 offset0:2 offset1:3
	s_add_i32 s13, s8, -4
	s_waitcnt lgkmcnt(0)
	v_fmac_f32_e32 v107, v108, v111
	s_set_gpr_idx_on s13, gpr_idx(SRC0)
	v_mov_b32_e32 v108, v26
	s_set_gpr_idx_off
	s_add_i32 s13, s8, -3
	v_fmac_f32_e32 v107, v108, v112
	s_set_gpr_idx_on s13, gpr_idx(SRC0)
	v_mov_b32_e32 v108, v26
	s_set_gpr_idx_off
	ds_read2_b32 v[111:112], v113 offset0:4 offset1:5
	;; [unrolled: 12-line block ×3, first 2 shown]
	s_waitcnt lgkmcnt(0)
	v_fmac_f32_e32 v107, v108, v111
	s_set_gpr_idx_on s8, gpr_idx(SRC0)
	v_mov_b32_e32 v108, v26
	s_set_gpr_idx_off
	s_add_u32 s8, s8, 8
	v_fmac_f32_e32 v107, v108, v112
	v_add_u32_e32 v108, s8, v110
	s_addc_u32 s9, s9, 0
	s_add_i32 s12, s12, 32
	v_cmp_eq_u32_e32 vcc, 18, v108
	s_add_i32 s13, s8, -7
	s_or_b64 s[10:11], vcc, s[10:11]
	v_mov_b32_e32 v108, s13
	s_andn2_b64 exec, exec, s[10:11]
	s_cbranch_execnz .LBB23_185
; %bb.186:
	s_or_b64 exec, exec, s[10:11]
.LBB23_187:
	s_or_b64 exec, exec, s[2:3]
	v_and_b32_e32 v50, 7, v109
	v_cmp_ne_u32_e32 vcc, 0, v50
	s_and_saveexec_b64 s[8:9], vcc
	s_cbranch_execz .LBB23_191
; %bb.188:
	v_mov_b32_e32 v51, 0x60
	v_lshl_add_u32 v51, v108, 2, v51
	v_mov_b32_e32 v52, 0
	s_mov_b64 s[10:11], 0
.LBB23_189:                             ; =>This Inner Loop Header: Depth=1
	v_cmp_eq_u32_e32 vcc, 1, v108
	v_cndmask_b32_e32 v53, v26, v27, vcc
	v_add_u32_e32 v50, -1, v50
	v_cmp_eq_u32_e32 vcc, 2, v108
	v_cndmask_b32_e32 v53, v53, v28, vcc
	v_cmp_eq_u32_e32 vcc, 0, v50
	v_cmp_eq_u32_e64 s[2:3], 3, v108
	v_cndmask_b32_e64 v53, v53, v29, s[2:3]
	s_or_b64 s[10:11], vcc, s[10:11]
	v_cmp_eq_u32_e32 vcc, 4, v108
	v_cndmask_b32_e32 v53, v53, v30, vcc
	v_cmp_eq_u32_e32 vcc, 5, v108
	v_cndmask_b32_e32 v53, v53, v31, vcc
	;; [unrolled: 2-line block ×15, first 2 shown]
	v_cmp_eq_u32_e32 vcc, 19, v108
	ds_read_b32 v54, v51
	v_cndmask_b32_e32 v53, v53, v45, vcc
	v_cmp_eq_u32_e32 vcc, 20, v108
	v_cndmask_b32_e32 v53, v53, v46, vcc
	v_cmp_eq_u32_e32 vcc, 21, v108
	;; [unrolled: 2-line block ×4, first 2 shown]
	v_add_co_u32_e64 v108, s[2:3], 1, v108
	v_cndmask_b32_e32 v53, v53, v49, vcc
	v_add_u32_e32 v51, 4, v51
	v_addc_co_u32_e64 v52, s[2:3], 0, v52, s[2:3]
	s_waitcnt lgkmcnt(0)
	v_fmac_f32_e32 v107, v53, v54
	s_andn2_b64 exec, exec, s[10:11]
	s_cbranch_execnz .LBB23_189
; %bb.190:
	s_or_b64 exec, exec, s[10:11]
.LBB23_191:
	s_or_b64 exec, exec, s[8:9]
.LBB23_192:
	s_or_b64 exec, exec, s[6:7]
	v_mov_b32_e32 v36, 0
	ds_read_b32 v36, v36 offset:40
	s_waitcnt lgkmcnt(0)
	v_mul_f32_e32 v36, v107, v36
.LBB23_193:
	s_or_b64 exec, exec, s[4:5]
	v_cmp_lt_u32_e64 s[2:3], 9, v0
	ds_write_b32 v106, v35
	s_waitcnt lgkmcnt(0)
	; wave barrier
	s_and_saveexec_b64 s[4:5], s[2:3]
	s_cbranch_execz .LBB23_209
; %bb.194:
	s_andn2_b64 vcc, exec, s[50:51]
	s_cbranch_vccnz .LBB23_196
; %bb.195:
	v_cmp_eq_u32_e32 vcc, 1, v0
	v_cndmask_b32_e32 v107, v26, v27, vcc
	v_cmp_eq_u32_e32 vcc, 2, v0
	v_cndmask_b32_e32 v107, v107, v28, vcc
	;; [unrolled: 2-line block ×19, first 2 shown]
	v_cmp_eq_u32_e32 vcc, 20, v0
	ds_read_b32 v108, v106
	v_cndmask_b32_e32 v107, v107, v46, vcc
	v_cmp_eq_u32_e32 vcc, 21, v0
	v_cndmask_b32_e32 v107, v107, v47, vcc
	v_cmp_eq_u32_e32 vcc, 22, v0
	;; [unrolled: 2-line block ×3, first 2 shown]
	v_cndmask_b32_e32 v107, v107, v49, vcc
	s_waitcnt lgkmcnt(0)
	v_mul_f32_e32 v107, v107, v108
	s_cbranch_execz .LBB23_197
	s_branch .LBB23_198
.LBB23_196:
                                        ; implicit-def: $vgpr107
.LBB23_197:
	ds_read_b32 v107, v106
.LBB23_198:
	s_and_saveexec_b64 s[6:7], s[0:1]
	s_cbranch_execz .LBB23_208
; %bb.199:
	v_add_u32_e32 v108, -11, v0
	v_add_u32_e32 v109, -10, v0
	v_cmp_lt_u32_e32 vcc, 6, v108
	v_mov_b32_e32 v108, 10
	s_and_saveexec_b64 s[0:1], vcc
	s_cbranch_execz .LBB23_203
; %bb.200:
	v_and_b32_e32 v108, -8, v109
	v_sub_u32_e32 v110, 0, v108
	s_mov_b64 s[8:9], 17
	s_movk_i32 s12, 0x88
	s_mov_b64 s[10:11], 0
.LBB23_201:                             ; =>This Inner Loop Header: Depth=1
	s_add_i32 s13, s8, -7
	v_mov_b32_e32 v115, s12
	s_set_gpr_idx_on s13, gpr_idx(SRC0)
	v_mov_b32_e32 v108, v26
	s_set_gpr_idx_off
	ds_read2_b64 v[111:114], v115 offset1:1
	s_add_i32 s13, s8, -6
	s_waitcnt lgkmcnt(0)
	v_fmac_f32_e32 v107, v108, v111
	s_set_gpr_idx_on s13, gpr_idx(SRC0)
	v_mov_b32_e32 v108, v26
	s_set_gpr_idx_off
	s_add_i32 s13, s8, -5
	v_fmac_f32_e32 v107, v108, v112
	s_set_gpr_idx_on s13, gpr_idx(SRC0)
	v_mov_b32_e32 v108, v26
	s_set_gpr_idx_off
	s_add_i32 s13, s8, -4
	;; [unrolled: 5-line block ×3, first 2 shown]
	v_fmac_f32_e32 v107, v108, v114
	s_set_gpr_idx_on s13, gpr_idx(SRC0)
	v_mov_b32_e32 v108, v26
	s_set_gpr_idx_off
	ds_read2_b64 v[111:114], v115 offset0:2 offset1:3
	s_add_i32 s13, s8, -2
	s_waitcnt lgkmcnt(0)
	v_fmac_f32_e32 v107, v108, v111
	s_set_gpr_idx_on s13, gpr_idx(SRC0)
	v_mov_b32_e32 v108, v26
	s_set_gpr_idx_off
	s_add_i32 s13, s8, -1
	v_fmac_f32_e32 v107, v108, v112
	s_set_gpr_idx_on s13, gpr_idx(SRC0)
	v_mov_b32_e32 v108, v26
	s_set_gpr_idx_off
	v_fmac_f32_e32 v107, v108, v113
	s_set_gpr_idx_on s8, gpr_idx(SRC0)
	v_mov_b32_e32 v108, v26
	s_set_gpr_idx_off
	s_add_u32 s8, s8, 8
	v_fmac_f32_e32 v107, v108, v114
	v_add_u32_e32 v108, s8, v110
	s_addc_u32 s9, s9, 0
	s_add_i32 s12, s12, 32
	v_cmp_eq_u32_e32 vcc, 17, v108
	s_add_i32 s13, s8, -7
	s_or_b64 s[10:11], vcc, s[10:11]
	v_mov_b32_e32 v108, s13
	s_andn2_b64 exec, exec, s[10:11]
	s_cbranch_execnz .LBB23_201
; %bb.202:
	s_or_b64 exec, exec, s[10:11]
.LBB23_203:
	s_or_b64 exec, exec, s[0:1]
	v_and_b32_e32 v50, 7, v109
	v_cmp_ne_u32_e32 vcc, 0, v50
	s_and_saveexec_b64 s[8:9], vcc
	s_cbranch_execz .LBB23_207
; %bb.204:
	v_mov_b32_e32 v51, 0x60
	v_lshl_add_u32 v51, v108, 2, v51
	v_mov_b32_e32 v52, 0
	s_mov_b64 s[10:11], 0
.LBB23_205:                             ; =>This Inner Loop Header: Depth=1
	v_cmp_eq_u32_e32 vcc, 1, v108
	v_cndmask_b32_e32 v53, v26, v27, vcc
	v_add_u32_e32 v50, -1, v50
	v_cmp_eq_u32_e32 vcc, 2, v108
	v_cndmask_b32_e32 v53, v53, v28, vcc
	v_cmp_eq_u32_e32 vcc, 0, v50
	v_cmp_eq_u32_e64 s[0:1], 3, v108
	v_cndmask_b32_e64 v53, v53, v29, s[0:1]
	s_or_b64 s[10:11], vcc, s[10:11]
	v_cmp_eq_u32_e32 vcc, 4, v108
	v_cndmask_b32_e32 v53, v53, v30, vcc
	v_cmp_eq_u32_e32 vcc, 5, v108
	v_cndmask_b32_e32 v53, v53, v31, vcc
	;; [unrolled: 2-line block ×15, first 2 shown]
	v_cmp_eq_u32_e32 vcc, 19, v108
	ds_read_b32 v54, v51
	v_cndmask_b32_e32 v53, v53, v45, vcc
	v_cmp_eq_u32_e32 vcc, 20, v108
	v_cndmask_b32_e32 v53, v53, v46, vcc
	v_cmp_eq_u32_e32 vcc, 21, v108
	;; [unrolled: 2-line block ×4, first 2 shown]
	v_add_co_u32_e64 v108, s[0:1], 1, v108
	v_cndmask_b32_e32 v53, v53, v49, vcc
	v_add_u32_e32 v51, 4, v51
	v_addc_co_u32_e64 v52, s[0:1], 0, v52, s[0:1]
	s_waitcnt lgkmcnt(0)
	v_fmac_f32_e32 v107, v53, v54
	s_andn2_b64 exec, exec, s[10:11]
	s_cbranch_execnz .LBB23_205
; %bb.206:
	s_or_b64 exec, exec, s[10:11]
.LBB23_207:
	s_or_b64 exec, exec, s[8:9]
.LBB23_208:
	s_or_b64 exec, exec, s[6:7]
	v_mov_b32_e32 v35, 0
	ds_read_b32 v35, v35 offset:36
	s_waitcnt lgkmcnt(0)
	v_mul_f32_e32 v35, v107, v35
.LBB23_209:
	s_or_b64 exec, exec, s[4:5]
	v_cmp_lt_u32_e64 s[0:1], 8, v0
	ds_write_b32 v106, v34
	s_waitcnt lgkmcnt(0)
	; wave barrier
	s_and_saveexec_b64 s[4:5], s[0:1]
	s_cbranch_execz .LBB23_225
; %bb.210:
	s_andn2_b64 vcc, exec, s[50:51]
	s_cbranch_vccnz .LBB23_212
; %bb.211:
	v_cmp_eq_u32_e32 vcc, 1, v0
	v_cndmask_b32_e32 v107, v26, v27, vcc
	v_cmp_eq_u32_e32 vcc, 2, v0
	v_cndmask_b32_e32 v107, v107, v28, vcc
	;; [unrolled: 2-line block ×19, first 2 shown]
	v_cmp_eq_u32_e32 vcc, 20, v0
	ds_read_b32 v108, v106
	v_cndmask_b32_e32 v107, v107, v46, vcc
	v_cmp_eq_u32_e32 vcc, 21, v0
	v_cndmask_b32_e32 v107, v107, v47, vcc
	v_cmp_eq_u32_e32 vcc, 22, v0
	;; [unrolled: 2-line block ×3, first 2 shown]
	v_cndmask_b32_e32 v107, v107, v49, vcc
	s_waitcnt lgkmcnt(0)
	v_mul_f32_e32 v107, v107, v108
	s_cbranch_execz .LBB23_213
	s_branch .LBB23_214
.LBB23_212:
                                        ; implicit-def: $vgpr107
.LBB23_213:
	ds_read_b32 v107, v106
.LBB23_214:
	s_and_saveexec_b64 s[6:7], s[2:3]
	s_cbranch_execz .LBB23_224
; %bb.215:
	v_add_u32_e32 v108, -10, v0
	v_add_u32_e32 v109, -9, v0
	v_cmp_lt_u32_e32 vcc, 6, v108
	v_mov_b32_e32 v108, 9
	s_and_saveexec_b64 s[2:3], vcc
	s_cbranch_execz .LBB23_219
; %bb.216:
	v_and_b32_e32 v108, -8, v109
	v_sub_u32_e32 v110, 0, v108
	s_mov_b64 s[8:9], 16
	s_movk_i32 s12, 0x84
	s_mov_b64 s[10:11], 0
.LBB23_217:                             ; =>This Inner Loop Header: Depth=1
	s_add_i32 s13, s8, -7
	v_mov_b32_e32 v113, s12
	s_set_gpr_idx_on s13, gpr_idx(SRC0)
	v_mov_b32_e32 v108, v26
	s_set_gpr_idx_off
	ds_read2_b32 v[111:112], v113 offset1:1
	s_add_i32 s13, s8, -6
	s_waitcnt lgkmcnt(0)
	v_fmac_f32_e32 v107, v108, v111
	s_set_gpr_idx_on s13, gpr_idx(SRC0)
	v_mov_b32_e32 v108, v26
	s_set_gpr_idx_off
	s_add_i32 s13, s8, -5
	v_fmac_f32_e32 v107, v108, v112
	s_set_gpr_idx_on s13, gpr_idx(SRC0)
	v_mov_b32_e32 v108, v26
	s_set_gpr_idx_off
	ds_read2_b32 v[111:112], v113 offset0:2 offset1:3
	s_add_i32 s13, s8, -4
	s_waitcnt lgkmcnt(0)
	v_fmac_f32_e32 v107, v108, v111
	s_set_gpr_idx_on s13, gpr_idx(SRC0)
	v_mov_b32_e32 v108, v26
	s_set_gpr_idx_off
	s_add_i32 s13, s8, -3
	v_fmac_f32_e32 v107, v108, v112
	s_set_gpr_idx_on s13, gpr_idx(SRC0)
	v_mov_b32_e32 v108, v26
	s_set_gpr_idx_off
	ds_read2_b32 v[111:112], v113 offset0:4 offset1:5
	s_add_i32 s13, s8, -2
	s_waitcnt lgkmcnt(0)
	v_fmac_f32_e32 v107, v108, v111
	s_set_gpr_idx_on s13, gpr_idx(SRC0)
	v_mov_b32_e32 v108, v26
	s_set_gpr_idx_off
	s_add_i32 s13, s8, -1
	v_fmac_f32_e32 v107, v108, v112
	s_set_gpr_idx_on s13, gpr_idx(SRC0)
	v_mov_b32_e32 v108, v26
	s_set_gpr_idx_off
	ds_read2_b32 v[111:112], v113 offset0:6 offset1:7
	s_waitcnt lgkmcnt(0)
	v_fmac_f32_e32 v107, v108, v111
	s_set_gpr_idx_on s8, gpr_idx(SRC0)
	v_mov_b32_e32 v108, v26
	s_set_gpr_idx_off
	s_add_u32 s8, s8, 8
	v_fmac_f32_e32 v107, v108, v112
	v_add_u32_e32 v108, s8, v110
	s_addc_u32 s9, s9, 0
	s_add_i32 s12, s12, 32
	v_cmp_eq_u32_e32 vcc, 16, v108
	s_add_i32 s13, s8, -7
	s_or_b64 s[10:11], vcc, s[10:11]
	v_mov_b32_e32 v108, s13
	s_andn2_b64 exec, exec, s[10:11]
	s_cbranch_execnz .LBB23_217
; %bb.218:
	s_or_b64 exec, exec, s[10:11]
.LBB23_219:
	s_or_b64 exec, exec, s[2:3]
	v_and_b32_e32 v50, 7, v109
	v_cmp_ne_u32_e32 vcc, 0, v50
	s_and_saveexec_b64 s[8:9], vcc
	s_cbranch_execz .LBB23_223
; %bb.220:
	v_mov_b32_e32 v51, 0x60
	v_lshl_add_u32 v51, v108, 2, v51
	v_mov_b32_e32 v52, 0
	s_mov_b64 s[10:11], 0
.LBB23_221:                             ; =>This Inner Loop Header: Depth=1
	v_cmp_eq_u32_e32 vcc, 1, v108
	v_cndmask_b32_e32 v53, v26, v27, vcc
	v_add_u32_e32 v50, -1, v50
	v_cmp_eq_u32_e32 vcc, 2, v108
	v_cndmask_b32_e32 v53, v53, v28, vcc
	v_cmp_eq_u32_e32 vcc, 0, v50
	v_cmp_eq_u32_e64 s[2:3], 3, v108
	v_cndmask_b32_e64 v53, v53, v29, s[2:3]
	s_or_b64 s[10:11], vcc, s[10:11]
	v_cmp_eq_u32_e32 vcc, 4, v108
	v_cndmask_b32_e32 v53, v53, v30, vcc
	v_cmp_eq_u32_e32 vcc, 5, v108
	v_cndmask_b32_e32 v53, v53, v31, vcc
	;; [unrolled: 2-line block ×15, first 2 shown]
	v_cmp_eq_u32_e32 vcc, 19, v108
	ds_read_b32 v54, v51
	v_cndmask_b32_e32 v53, v53, v45, vcc
	v_cmp_eq_u32_e32 vcc, 20, v108
	v_cndmask_b32_e32 v53, v53, v46, vcc
	v_cmp_eq_u32_e32 vcc, 21, v108
	;; [unrolled: 2-line block ×4, first 2 shown]
	v_add_co_u32_e64 v108, s[2:3], 1, v108
	v_cndmask_b32_e32 v53, v53, v49, vcc
	v_add_u32_e32 v51, 4, v51
	v_addc_co_u32_e64 v52, s[2:3], 0, v52, s[2:3]
	s_waitcnt lgkmcnt(0)
	v_fmac_f32_e32 v107, v53, v54
	s_andn2_b64 exec, exec, s[10:11]
	s_cbranch_execnz .LBB23_221
; %bb.222:
	s_or_b64 exec, exec, s[10:11]
.LBB23_223:
	s_or_b64 exec, exec, s[8:9]
.LBB23_224:
	s_or_b64 exec, exec, s[6:7]
	v_mov_b32_e32 v34, 0
	ds_read_b32 v34, v34 offset:32
	s_waitcnt lgkmcnt(0)
	v_mul_f32_e32 v34, v107, v34
.LBB23_225:
	s_or_b64 exec, exec, s[4:5]
	v_cmp_lt_u32_e64 s[2:3], 7, v0
	ds_write_b32 v106, v33
	s_waitcnt lgkmcnt(0)
	; wave barrier
	s_and_saveexec_b64 s[4:5], s[2:3]
	s_cbranch_execz .LBB23_241
; %bb.226:
	s_andn2_b64 vcc, exec, s[50:51]
	s_cbranch_vccnz .LBB23_228
; %bb.227:
	v_cmp_eq_u32_e32 vcc, 1, v0
	v_cndmask_b32_e32 v107, v26, v27, vcc
	v_cmp_eq_u32_e32 vcc, 2, v0
	v_cndmask_b32_e32 v107, v107, v28, vcc
	v_cmp_eq_u32_e32 vcc, 3, v0
	v_cndmask_b32_e32 v107, v107, v29, vcc
	v_cmp_eq_u32_e32 vcc, 4, v0
	v_cndmask_b32_e32 v107, v107, v30, vcc
	v_cmp_eq_u32_e32 vcc, 5, v0
	v_cndmask_b32_e32 v107, v107, v31, vcc
	v_cmp_eq_u32_e32 vcc, 6, v0
	v_cndmask_b32_e32 v107, v107, v32, vcc
	v_cmp_eq_u32_e32 vcc, 7, v0
	v_cndmask_b32_e32 v107, v107, v33, vcc
	v_cmp_eq_u32_e32 vcc, 8, v0
	v_cndmask_b32_e32 v107, v107, v34, vcc
	v_cmp_eq_u32_e32 vcc, 9, v0
	v_cndmask_b32_e32 v107, v107, v35, vcc
	v_cmp_eq_u32_e32 vcc, 10, v0
	v_cndmask_b32_e32 v107, v107, v36, vcc
	v_cmp_eq_u32_e32 vcc, 11, v0
	v_cndmask_b32_e32 v107, v107, v37, vcc
	v_cmp_eq_u32_e32 vcc, 12, v0
	v_cndmask_b32_e32 v107, v107, v38, vcc
	v_cmp_eq_u32_e32 vcc, 13, v0
	v_cndmask_b32_e32 v107, v107, v39, vcc
	v_cmp_eq_u32_e32 vcc, 14, v0
	v_cndmask_b32_e32 v107, v107, v40, vcc
	v_cmp_eq_u32_e32 vcc, 15, v0
	v_cndmask_b32_e32 v107, v107, v41, vcc
	v_cmp_eq_u32_e32 vcc, 16, v0
	v_cndmask_b32_e32 v107, v107, v42, vcc
	v_cmp_eq_u32_e32 vcc, 17, v0
	v_cndmask_b32_e32 v107, v107, v43, vcc
	v_cmp_eq_u32_e32 vcc, 18, v0
	v_cndmask_b32_e32 v107, v107, v44, vcc
	v_cmp_eq_u32_e32 vcc, 19, v0
	v_cndmask_b32_e32 v107, v107, v45, vcc
	v_cmp_eq_u32_e32 vcc, 20, v0
	ds_read_b32 v108, v106
	v_cndmask_b32_e32 v107, v107, v46, vcc
	v_cmp_eq_u32_e32 vcc, 21, v0
	v_cndmask_b32_e32 v107, v107, v47, vcc
	v_cmp_eq_u32_e32 vcc, 22, v0
	;; [unrolled: 2-line block ×3, first 2 shown]
	v_cndmask_b32_e32 v107, v107, v49, vcc
	s_waitcnt lgkmcnt(0)
	v_mul_f32_e32 v107, v107, v108
	s_cbranch_execz .LBB23_229
	s_branch .LBB23_230
.LBB23_228:
                                        ; implicit-def: $vgpr107
.LBB23_229:
	ds_read_b32 v107, v106
.LBB23_230:
	s_and_saveexec_b64 s[6:7], s[0:1]
	s_cbranch_execz .LBB23_240
; %bb.231:
	v_add_u32_e32 v108, -9, v0
	v_cmp_lt_u32_e32 vcc, 6, v108
	v_mov_b32_e32 v108, 8
	s_and_saveexec_b64 s[0:1], vcc
	s_cbranch_execz .LBB23_235
; %bb.232:
	v_and_b32_e32 v108, 24, v0
	v_sub_u32_e32 v109, 0, v108
	s_mov_b64 s[8:9], 15
	s_movk_i32 s12, 0x80
	s_mov_b64 s[10:11], 0
.LBB23_233:                             ; =>This Inner Loop Header: Depth=1
	s_add_i32 s13, s8, -7
	v_mov_b32_e32 v114, s12
	s_set_gpr_idx_on s13, gpr_idx(SRC0)
	v_mov_b32_e32 v108, v26
	s_set_gpr_idx_off
	ds_read_b128 v[110:113], v114
	ds_read_b128 v[114:117], v114 offset:16
	s_add_i32 s13, s8, -6
	s_waitcnt lgkmcnt(1)
	v_fmac_f32_e32 v107, v108, v110
	s_set_gpr_idx_on s13, gpr_idx(SRC0)
	v_mov_b32_e32 v108, v26
	s_set_gpr_idx_off
	s_add_i32 s13, s8, -5
	v_fmac_f32_e32 v107, v108, v111
	s_set_gpr_idx_on s13, gpr_idx(SRC0)
	v_mov_b32_e32 v108, v26
	s_set_gpr_idx_off
	s_add_i32 s13, s8, -4
	;; [unrolled: 5-line block ×4, first 2 shown]
	s_waitcnt lgkmcnt(0)
	v_fmac_f32_e32 v107, v108, v114
	s_set_gpr_idx_on s13, gpr_idx(SRC0)
	v_mov_b32_e32 v108, v26
	s_set_gpr_idx_off
	s_add_i32 s13, s8, -1
	v_fmac_f32_e32 v107, v108, v115
	s_set_gpr_idx_on s13, gpr_idx(SRC0)
	v_mov_b32_e32 v108, v26
	s_set_gpr_idx_off
	v_fmac_f32_e32 v107, v108, v116
	s_set_gpr_idx_on s8, gpr_idx(SRC0)
	v_mov_b32_e32 v108, v26
	s_set_gpr_idx_off
	s_add_u32 s8, s8, 8
	v_fmac_f32_e32 v107, v108, v117
	v_add_u32_e32 v108, s8, v109
	s_addc_u32 s9, s9, 0
	s_add_i32 s12, s12, 32
	v_cmp_eq_u32_e32 vcc, 7, v108
	s_add_i32 s13, s8, -7
	s_or_b64 s[10:11], vcc, s[10:11]
	v_mov_b32_e32 v108, s13
	s_andn2_b64 exec, exec, s[10:11]
	s_cbranch_execnz .LBB23_233
; %bb.234:
	s_or_b64 exec, exec, s[10:11]
.LBB23_235:
	s_or_b64 exec, exec, s[0:1]
	v_and_b32_e32 v50, 7, v0
	v_cmp_ne_u32_e32 vcc, 0, v50
	s_and_saveexec_b64 s[8:9], vcc
	s_cbranch_execz .LBB23_239
; %bb.236:
	v_mov_b32_e32 v51, 0x60
	v_lshl_add_u32 v51, v108, 2, v51
	v_mov_b32_e32 v52, 0
	s_mov_b64 s[10:11], 0
.LBB23_237:                             ; =>This Inner Loop Header: Depth=1
	v_cmp_eq_u32_e32 vcc, 1, v108
	v_cndmask_b32_e32 v53, v26, v27, vcc
	v_add_u32_e32 v50, -1, v50
	v_cmp_eq_u32_e32 vcc, 2, v108
	v_cndmask_b32_e32 v53, v53, v28, vcc
	v_cmp_eq_u32_e32 vcc, 0, v50
	v_cmp_eq_u32_e64 s[0:1], 3, v108
	v_cndmask_b32_e64 v53, v53, v29, s[0:1]
	s_or_b64 s[10:11], vcc, s[10:11]
	v_cmp_eq_u32_e32 vcc, 4, v108
	v_cndmask_b32_e32 v53, v53, v30, vcc
	v_cmp_eq_u32_e32 vcc, 5, v108
	v_cndmask_b32_e32 v53, v53, v31, vcc
	;; [unrolled: 2-line block ×15, first 2 shown]
	v_cmp_eq_u32_e32 vcc, 19, v108
	ds_read_b32 v54, v51
	v_cndmask_b32_e32 v53, v53, v45, vcc
	v_cmp_eq_u32_e32 vcc, 20, v108
	v_cndmask_b32_e32 v53, v53, v46, vcc
	v_cmp_eq_u32_e32 vcc, 21, v108
	;; [unrolled: 2-line block ×4, first 2 shown]
	v_add_co_u32_e64 v108, s[0:1], 1, v108
	v_cndmask_b32_e32 v53, v53, v49, vcc
	v_add_u32_e32 v51, 4, v51
	v_addc_co_u32_e64 v52, s[0:1], 0, v52, s[0:1]
	s_waitcnt lgkmcnt(0)
	v_fmac_f32_e32 v107, v53, v54
	s_andn2_b64 exec, exec, s[10:11]
	s_cbranch_execnz .LBB23_237
; %bb.238:
	s_or_b64 exec, exec, s[10:11]
.LBB23_239:
	s_or_b64 exec, exec, s[8:9]
.LBB23_240:
	s_or_b64 exec, exec, s[6:7]
	v_mov_b32_e32 v33, 0
	ds_read_b32 v33, v33 offset:28
	s_waitcnt lgkmcnt(0)
	v_mul_f32_e32 v33, v107, v33
.LBB23_241:
	s_or_b64 exec, exec, s[4:5]
	v_cmp_lt_u32_e64 s[0:1], 6, v0
	ds_write_b32 v106, v32
	s_waitcnt lgkmcnt(0)
	; wave barrier
	s_and_saveexec_b64 s[4:5], s[0:1]
	s_cbranch_execz .LBB23_257
; %bb.242:
	s_andn2_b64 vcc, exec, s[50:51]
	s_cbranch_vccnz .LBB23_244
; %bb.243:
	v_cmp_eq_u32_e32 vcc, 1, v0
	v_cndmask_b32_e32 v107, v26, v27, vcc
	v_cmp_eq_u32_e32 vcc, 2, v0
	v_cndmask_b32_e32 v107, v107, v28, vcc
	;; [unrolled: 2-line block ×19, first 2 shown]
	v_cmp_eq_u32_e32 vcc, 20, v0
	ds_read_b32 v108, v106
	v_cndmask_b32_e32 v107, v107, v46, vcc
	v_cmp_eq_u32_e32 vcc, 21, v0
	v_cndmask_b32_e32 v107, v107, v47, vcc
	v_cmp_eq_u32_e32 vcc, 22, v0
	;; [unrolled: 2-line block ×3, first 2 shown]
	v_cndmask_b32_e32 v107, v107, v49, vcc
	s_waitcnt lgkmcnt(0)
	v_mul_f32_e32 v107, v107, v108
	s_cbranch_execz .LBB23_245
	s_branch .LBB23_246
.LBB23_244:
                                        ; implicit-def: $vgpr107
.LBB23_245:
	ds_read_b32 v107, v106
.LBB23_246:
	s_and_saveexec_b64 s[6:7], s[2:3]
	s_cbranch_execz .LBB23_256
; %bb.247:
	v_add_u32_e32 v108, -8, v0
	v_add_u32_e32 v109, -7, v0
	v_cmp_lt_u32_e32 vcc, 6, v108
	v_mov_b32_e32 v108, 7
	s_and_saveexec_b64 s[2:3], vcc
	s_cbranch_execz .LBB23_251
; %bb.248:
	v_and_b32_e32 v108, -8, v109
	v_sub_u32_e32 v110, 0, v108
	s_mov_b64 s[8:9], 14
	s_movk_i32 s12, 0x7c
	s_mov_b64 s[10:11], 0
.LBB23_249:                             ; =>This Inner Loop Header: Depth=1
	s_add_i32 s13, s8, -7
	v_mov_b32_e32 v113, s12
	s_set_gpr_idx_on s13, gpr_idx(SRC0)
	v_mov_b32_e32 v108, v26
	s_set_gpr_idx_off
	ds_read2_b32 v[111:112], v113 offset1:1
	s_add_i32 s13, s8, -6
	s_waitcnt lgkmcnt(0)
	v_fmac_f32_e32 v107, v108, v111
	s_set_gpr_idx_on s13, gpr_idx(SRC0)
	v_mov_b32_e32 v108, v26
	s_set_gpr_idx_off
	s_add_i32 s13, s8, -5
	v_fmac_f32_e32 v107, v108, v112
	s_set_gpr_idx_on s13, gpr_idx(SRC0)
	v_mov_b32_e32 v108, v26
	s_set_gpr_idx_off
	ds_read2_b32 v[111:112], v113 offset0:2 offset1:3
	s_add_i32 s13, s8, -4
	s_waitcnt lgkmcnt(0)
	v_fmac_f32_e32 v107, v108, v111
	s_set_gpr_idx_on s13, gpr_idx(SRC0)
	v_mov_b32_e32 v108, v26
	s_set_gpr_idx_off
	s_add_i32 s13, s8, -3
	v_fmac_f32_e32 v107, v108, v112
	s_set_gpr_idx_on s13, gpr_idx(SRC0)
	v_mov_b32_e32 v108, v26
	s_set_gpr_idx_off
	ds_read2_b32 v[111:112], v113 offset0:4 offset1:5
	;; [unrolled: 12-line block ×3, first 2 shown]
	s_waitcnt lgkmcnt(0)
	v_fmac_f32_e32 v107, v108, v111
	s_set_gpr_idx_on s8, gpr_idx(SRC0)
	v_mov_b32_e32 v108, v26
	s_set_gpr_idx_off
	s_add_u32 s8, s8, 8
	v_fmac_f32_e32 v107, v108, v112
	v_add_u32_e32 v108, s8, v110
	s_addc_u32 s9, s9, 0
	s_add_i32 s12, s12, 32
	v_cmp_eq_u32_e32 vcc, 14, v108
	s_add_i32 s13, s8, -7
	s_or_b64 s[10:11], vcc, s[10:11]
	v_mov_b32_e32 v108, s13
	s_andn2_b64 exec, exec, s[10:11]
	s_cbranch_execnz .LBB23_249
; %bb.250:
	s_or_b64 exec, exec, s[10:11]
.LBB23_251:
	s_or_b64 exec, exec, s[2:3]
	v_and_b32_e32 v50, 7, v109
	v_cmp_ne_u32_e32 vcc, 0, v50
	s_and_saveexec_b64 s[8:9], vcc
	s_cbranch_execz .LBB23_255
; %bb.252:
	v_mov_b32_e32 v51, 0x60
	v_lshl_add_u32 v51, v108, 2, v51
	v_mov_b32_e32 v52, 0
	s_mov_b64 s[10:11], 0
.LBB23_253:                             ; =>This Inner Loop Header: Depth=1
	v_cmp_eq_u32_e32 vcc, 1, v108
	v_cndmask_b32_e32 v53, v26, v27, vcc
	v_add_u32_e32 v50, -1, v50
	v_cmp_eq_u32_e32 vcc, 2, v108
	v_cndmask_b32_e32 v53, v53, v28, vcc
	v_cmp_eq_u32_e32 vcc, 0, v50
	v_cmp_eq_u32_e64 s[2:3], 3, v108
	v_cndmask_b32_e64 v53, v53, v29, s[2:3]
	s_or_b64 s[10:11], vcc, s[10:11]
	v_cmp_eq_u32_e32 vcc, 4, v108
	v_cndmask_b32_e32 v53, v53, v30, vcc
	v_cmp_eq_u32_e32 vcc, 5, v108
	v_cndmask_b32_e32 v53, v53, v31, vcc
	;; [unrolled: 2-line block ×15, first 2 shown]
	v_cmp_eq_u32_e32 vcc, 19, v108
	ds_read_b32 v54, v51
	v_cndmask_b32_e32 v53, v53, v45, vcc
	v_cmp_eq_u32_e32 vcc, 20, v108
	v_cndmask_b32_e32 v53, v53, v46, vcc
	v_cmp_eq_u32_e32 vcc, 21, v108
	;; [unrolled: 2-line block ×4, first 2 shown]
	v_add_co_u32_e64 v108, s[2:3], 1, v108
	v_cndmask_b32_e32 v53, v53, v49, vcc
	v_add_u32_e32 v51, 4, v51
	v_addc_co_u32_e64 v52, s[2:3], 0, v52, s[2:3]
	s_waitcnt lgkmcnt(0)
	v_fmac_f32_e32 v107, v53, v54
	s_andn2_b64 exec, exec, s[10:11]
	s_cbranch_execnz .LBB23_253
; %bb.254:
	s_or_b64 exec, exec, s[10:11]
.LBB23_255:
	s_or_b64 exec, exec, s[8:9]
.LBB23_256:
	s_or_b64 exec, exec, s[6:7]
	v_mov_b32_e32 v32, 0
	ds_read_b32 v32, v32 offset:24
	s_waitcnt lgkmcnt(0)
	v_mul_f32_e32 v32, v107, v32
.LBB23_257:
	s_or_b64 exec, exec, s[4:5]
	v_cmp_lt_u32_e64 s[2:3], 5, v0
	ds_write_b32 v106, v31
	s_waitcnt lgkmcnt(0)
	; wave barrier
	s_and_saveexec_b64 s[4:5], s[2:3]
	s_cbranch_execz .LBB23_273
; %bb.258:
	s_andn2_b64 vcc, exec, s[50:51]
	s_cbranch_vccnz .LBB23_260
; %bb.259:
	v_cmp_eq_u32_e32 vcc, 1, v0
	v_cndmask_b32_e32 v107, v26, v27, vcc
	v_cmp_eq_u32_e32 vcc, 2, v0
	v_cndmask_b32_e32 v107, v107, v28, vcc
	;; [unrolled: 2-line block ×19, first 2 shown]
	v_cmp_eq_u32_e32 vcc, 20, v0
	ds_read_b32 v108, v106
	v_cndmask_b32_e32 v107, v107, v46, vcc
	v_cmp_eq_u32_e32 vcc, 21, v0
	v_cndmask_b32_e32 v107, v107, v47, vcc
	v_cmp_eq_u32_e32 vcc, 22, v0
	;; [unrolled: 2-line block ×3, first 2 shown]
	v_cndmask_b32_e32 v107, v107, v49, vcc
	s_waitcnt lgkmcnt(0)
	v_mul_f32_e32 v107, v107, v108
	s_cbranch_execz .LBB23_261
	s_branch .LBB23_262
.LBB23_260:
                                        ; implicit-def: $vgpr107
.LBB23_261:
	ds_read_b32 v107, v106
.LBB23_262:
	s_and_saveexec_b64 s[6:7], s[0:1]
	s_cbranch_execz .LBB23_272
; %bb.263:
	v_add_u32_e32 v110, -7, v0
	v_add_u32_e32 v109, -6, v0
	v_mov_b32_e32 v108, 6
	v_cmp_lt_u32_e32 vcc, 6, v110
	s_and_saveexec_b64 s[0:1], vcc
	s_cbranch_execz .LBB23_267
; %bb.264:
	v_and_b32_e32 v108, -8, v109
	v_sub_u32_e32 v110, 0, v108
	s_mov_b64 s[8:9], 13
	s_movk_i32 s12, 0x78
	s_mov_b64 s[10:11], 0
.LBB23_265:                             ; =>This Inner Loop Header: Depth=1
	s_add_i32 s13, s8, -7
	v_mov_b32_e32 v115, s12
	s_set_gpr_idx_on s13, gpr_idx(SRC0)
	v_mov_b32_e32 v108, v26
	s_set_gpr_idx_off
	ds_read2_b64 v[111:114], v115 offset1:1
	s_add_i32 s13, s8, -6
	s_waitcnt lgkmcnt(0)
	v_fmac_f32_e32 v107, v108, v111
	s_set_gpr_idx_on s13, gpr_idx(SRC0)
	v_mov_b32_e32 v108, v26
	s_set_gpr_idx_off
	s_add_i32 s13, s8, -5
	v_fmac_f32_e32 v107, v108, v112
	s_set_gpr_idx_on s13, gpr_idx(SRC0)
	v_mov_b32_e32 v108, v26
	s_set_gpr_idx_off
	s_add_i32 s13, s8, -4
	;; [unrolled: 5-line block ×3, first 2 shown]
	v_fmac_f32_e32 v107, v108, v114
	s_set_gpr_idx_on s13, gpr_idx(SRC0)
	v_mov_b32_e32 v108, v26
	s_set_gpr_idx_off
	ds_read2_b64 v[111:114], v115 offset0:2 offset1:3
	s_add_i32 s13, s8, -2
	s_waitcnt lgkmcnt(0)
	v_fmac_f32_e32 v107, v108, v111
	s_set_gpr_idx_on s13, gpr_idx(SRC0)
	v_mov_b32_e32 v108, v26
	s_set_gpr_idx_off
	s_add_i32 s13, s8, -1
	v_fmac_f32_e32 v107, v108, v112
	s_set_gpr_idx_on s13, gpr_idx(SRC0)
	v_mov_b32_e32 v108, v26
	s_set_gpr_idx_off
	v_fmac_f32_e32 v107, v108, v113
	s_set_gpr_idx_on s8, gpr_idx(SRC0)
	v_mov_b32_e32 v108, v26
	s_set_gpr_idx_off
	s_add_u32 s8, s8, 8
	v_fmac_f32_e32 v107, v108, v114
	v_add_u32_e32 v108, s8, v110
	s_addc_u32 s9, s9, 0
	s_add_i32 s12, s12, 32
	v_cmp_eq_u32_e32 vcc, 13, v108
	s_add_i32 s13, s8, -7
	s_or_b64 s[10:11], vcc, s[10:11]
	v_mov_b32_e32 v108, s13
	s_andn2_b64 exec, exec, s[10:11]
	s_cbranch_execnz .LBB23_265
; %bb.266:
	s_or_b64 exec, exec, s[10:11]
.LBB23_267:
	s_or_b64 exec, exec, s[0:1]
	v_and_b32_e32 v50, 7, v109
	v_cmp_ne_u32_e32 vcc, 0, v50
	s_and_saveexec_b64 s[8:9], vcc
	s_cbranch_execz .LBB23_271
; %bb.268:
	v_mov_b32_e32 v51, 0x60
	v_lshl_add_u32 v51, v108, 2, v51
	v_mov_b32_e32 v52, 0
	s_mov_b64 s[10:11], 0
.LBB23_269:                             ; =>This Inner Loop Header: Depth=1
	v_cmp_eq_u32_e32 vcc, 1, v108
	v_cndmask_b32_e32 v53, v26, v27, vcc
	v_add_u32_e32 v50, -1, v50
	v_cmp_eq_u32_e32 vcc, 2, v108
	v_cndmask_b32_e32 v53, v53, v28, vcc
	v_cmp_eq_u32_e32 vcc, 0, v50
	v_cmp_eq_u32_e64 s[0:1], 3, v108
	v_cndmask_b32_e64 v53, v53, v29, s[0:1]
	s_or_b64 s[10:11], vcc, s[10:11]
	v_cmp_eq_u32_e32 vcc, 4, v108
	v_cndmask_b32_e32 v53, v53, v30, vcc
	v_cmp_eq_u32_e32 vcc, 5, v108
	v_cndmask_b32_e32 v53, v53, v31, vcc
	;; [unrolled: 2-line block ×15, first 2 shown]
	v_cmp_eq_u32_e32 vcc, 19, v108
	ds_read_b32 v54, v51
	v_cndmask_b32_e32 v53, v53, v45, vcc
	v_cmp_eq_u32_e32 vcc, 20, v108
	v_cndmask_b32_e32 v53, v53, v46, vcc
	v_cmp_eq_u32_e32 vcc, 21, v108
	;; [unrolled: 2-line block ×4, first 2 shown]
	v_add_co_u32_e64 v108, s[0:1], 1, v108
	v_cndmask_b32_e32 v53, v53, v49, vcc
	v_add_u32_e32 v51, 4, v51
	v_addc_co_u32_e64 v52, s[0:1], 0, v52, s[0:1]
	s_waitcnt lgkmcnt(0)
	v_fmac_f32_e32 v107, v53, v54
	s_andn2_b64 exec, exec, s[10:11]
	s_cbranch_execnz .LBB23_269
; %bb.270:
	s_or_b64 exec, exec, s[10:11]
.LBB23_271:
	s_or_b64 exec, exec, s[8:9]
.LBB23_272:
	s_or_b64 exec, exec, s[6:7]
	v_mov_b32_e32 v31, 0
	ds_read_b32 v31, v31 offset:20
	s_waitcnt lgkmcnt(0)
	v_mul_f32_e32 v31, v107, v31
.LBB23_273:
	s_or_b64 exec, exec, s[4:5]
	v_cmp_lt_u32_e64 s[0:1], 4, v0
	ds_write_b32 v106, v30
	s_waitcnt lgkmcnt(0)
	; wave barrier
	s_and_saveexec_b64 s[4:5], s[0:1]
	s_cbranch_execz .LBB23_289
; %bb.274:
	s_andn2_b64 vcc, exec, s[50:51]
	s_cbranch_vccnz .LBB23_276
; %bb.275:
	v_cmp_eq_u32_e32 vcc, 1, v0
	v_cndmask_b32_e32 v107, v26, v27, vcc
	v_cmp_eq_u32_e32 vcc, 2, v0
	v_cndmask_b32_e32 v107, v107, v28, vcc
	;; [unrolled: 2-line block ×19, first 2 shown]
	v_cmp_eq_u32_e32 vcc, 20, v0
	ds_read_b32 v108, v106
	v_cndmask_b32_e32 v107, v107, v46, vcc
	v_cmp_eq_u32_e32 vcc, 21, v0
	v_cndmask_b32_e32 v107, v107, v47, vcc
	v_cmp_eq_u32_e32 vcc, 22, v0
	v_cndmask_b32_e32 v107, v107, v48, vcc
	v_cmp_eq_u32_e32 vcc, 23, v0
	v_cndmask_b32_e32 v107, v107, v49, vcc
	s_waitcnt lgkmcnt(0)
	v_mul_f32_e32 v107, v107, v108
	s_cbranch_execz .LBB23_277
	s_branch .LBB23_278
.LBB23_276:
                                        ; implicit-def: $vgpr107
.LBB23_277:
	ds_read_b32 v107, v106
.LBB23_278:
	s_and_saveexec_b64 s[6:7], s[2:3]
	s_cbranch_execz .LBB23_288
; %bb.279:
	v_add_u32_e32 v108, -6, v0
	v_add_u32_e32 v109, -5, v0
	v_cmp_lt_u32_e32 vcc, 6, v108
	v_mov_b32_e32 v108, 5
	s_and_saveexec_b64 s[2:3], vcc
	s_cbranch_execz .LBB23_283
; %bb.280:
	v_and_b32_e32 v108, -8, v109
	v_sub_u32_e32 v110, 0, v108
	s_mov_b64 s[8:9], 12
	s_movk_i32 s12, 0x74
	s_mov_b64 s[10:11], 0
.LBB23_281:                             ; =>This Inner Loop Header: Depth=1
	s_add_i32 s13, s8, -7
	v_mov_b32_e32 v113, s12
	s_set_gpr_idx_on s13, gpr_idx(SRC0)
	v_mov_b32_e32 v108, v26
	s_set_gpr_idx_off
	ds_read2_b32 v[111:112], v113 offset1:1
	s_add_i32 s13, s8, -6
	s_waitcnt lgkmcnt(0)
	v_fmac_f32_e32 v107, v108, v111
	s_set_gpr_idx_on s13, gpr_idx(SRC0)
	v_mov_b32_e32 v108, v26
	s_set_gpr_idx_off
	s_add_i32 s13, s8, -5
	v_fmac_f32_e32 v107, v108, v112
	s_set_gpr_idx_on s13, gpr_idx(SRC0)
	v_mov_b32_e32 v108, v26
	s_set_gpr_idx_off
	ds_read2_b32 v[111:112], v113 offset0:2 offset1:3
	s_add_i32 s13, s8, -4
	s_waitcnt lgkmcnt(0)
	v_fmac_f32_e32 v107, v108, v111
	s_set_gpr_idx_on s13, gpr_idx(SRC0)
	v_mov_b32_e32 v108, v26
	s_set_gpr_idx_off
	s_add_i32 s13, s8, -3
	v_fmac_f32_e32 v107, v108, v112
	s_set_gpr_idx_on s13, gpr_idx(SRC0)
	v_mov_b32_e32 v108, v26
	s_set_gpr_idx_off
	ds_read2_b32 v[111:112], v113 offset0:4 offset1:5
	;; [unrolled: 12-line block ×3, first 2 shown]
	s_waitcnt lgkmcnt(0)
	v_fmac_f32_e32 v107, v108, v111
	s_set_gpr_idx_on s8, gpr_idx(SRC0)
	v_mov_b32_e32 v108, v26
	s_set_gpr_idx_off
	s_add_u32 s8, s8, 8
	v_fmac_f32_e32 v107, v108, v112
	v_add_u32_e32 v108, s8, v110
	s_addc_u32 s9, s9, 0
	s_add_i32 s12, s12, 32
	v_cmp_eq_u32_e32 vcc, 12, v108
	s_add_i32 s13, s8, -7
	s_or_b64 s[10:11], vcc, s[10:11]
	v_mov_b32_e32 v108, s13
	s_andn2_b64 exec, exec, s[10:11]
	s_cbranch_execnz .LBB23_281
; %bb.282:
	s_or_b64 exec, exec, s[10:11]
.LBB23_283:
	s_or_b64 exec, exec, s[2:3]
	v_and_b32_e32 v50, 7, v109
	v_cmp_ne_u32_e32 vcc, 0, v50
	s_and_saveexec_b64 s[8:9], vcc
	s_cbranch_execz .LBB23_287
; %bb.284:
	v_mov_b32_e32 v51, 0x60
	v_lshl_add_u32 v51, v108, 2, v51
	v_mov_b32_e32 v52, 0
	s_mov_b64 s[10:11], 0
.LBB23_285:                             ; =>This Inner Loop Header: Depth=1
	v_cmp_eq_u32_e32 vcc, 1, v108
	v_cndmask_b32_e32 v53, v26, v27, vcc
	v_add_u32_e32 v50, -1, v50
	v_cmp_eq_u32_e32 vcc, 2, v108
	v_cndmask_b32_e32 v53, v53, v28, vcc
	v_cmp_eq_u32_e32 vcc, 0, v50
	v_cmp_eq_u32_e64 s[2:3], 3, v108
	v_cndmask_b32_e64 v53, v53, v29, s[2:3]
	s_or_b64 s[10:11], vcc, s[10:11]
	v_cmp_eq_u32_e32 vcc, 4, v108
	v_cndmask_b32_e32 v53, v53, v30, vcc
	v_cmp_eq_u32_e32 vcc, 5, v108
	v_cndmask_b32_e32 v53, v53, v31, vcc
	;; [unrolled: 2-line block ×15, first 2 shown]
	v_cmp_eq_u32_e32 vcc, 19, v108
	ds_read_b32 v54, v51
	v_cndmask_b32_e32 v53, v53, v45, vcc
	v_cmp_eq_u32_e32 vcc, 20, v108
	v_cndmask_b32_e32 v53, v53, v46, vcc
	v_cmp_eq_u32_e32 vcc, 21, v108
	v_cndmask_b32_e32 v53, v53, v47, vcc
	v_cmp_eq_u32_e32 vcc, 22, v108
	v_cndmask_b32_e32 v53, v53, v48, vcc
	v_cmp_eq_u32_e32 vcc, 23, v108
	v_add_co_u32_e64 v108, s[2:3], 1, v108
	v_cndmask_b32_e32 v53, v53, v49, vcc
	v_add_u32_e32 v51, 4, v51
	v_addc_co_u32_e64 v52, s[2:3], 0, v52, s[2:3]
	s_waitcnt lgkmcnt(0)
	v_fmac_f32_e32 v107, v53, v54
	s_andn2_b64 exec, exec, s[10:11]
	s_cbranch_execnz .LBB23_285
; %bb.286:
	s_or_b64 exec, exec, s[10:11]
.LBB23_287:
	s_or_b64 exec, exec, s[8:9]
.LBB23_288:
	s_or_b64 exec, exec, s[6:7]
	v_mov_b32_e32 v30, 0
	ds_read_b32 v30, v30 offset:16
	s_waitcnt lgkmcnt(0)
	v_mul_f32_e32 v30, v107, v30
.LBB23_289:
	s_or_b64 exec, exec, s[4:5]
	v_cmp_lt_u32_e64 s[2:3], 3, v0
	ds_write_b32 v106, v29
	s_waitcnt lgkmcnt(0)
	; wave barrier
	s_and_saveexec_b64 s[4:5], s[2:3]
	s_cbranch_execz .LBB23_305
; %bb.290:
	s_andn2_b64 vcc, exec, s[50:51]
	s_cbranch_vccnz .LBB23_292
; %bb.291:
	v_cmp_eq_u32_e32 vcc, 1, v0
	v_cndmask_b32_e32 v107, v26, v27, vcc
	v_cmp_eq_u32_e32 vcc, 2, v0
	v_cndmask_b32_e32 v107, v107, v28, vcc
	;; [unrolled: 2-line block ×19, first 2 shown]
	v_cmp_eq_u32_e32 vcc, 20, v0
	ds_read_b32 v108, v106
	v_cndmask_b32_e32 v107, v107, v46, vcc
	v_cmp_eq_u32_e32 vcc, 21, v0
	v_cndmask_b32_e32 v107, v107, v47, vcc
	v_cmp_eq_u32_e32 vcc, 22, v0
	;; [unrolled: 2-line block ×3, first 2 shown]
	v_cndmask_b32_e32 v107, v107, v49, vcc
	s_waitcnt lgkmcnt(0)
	v_mul_f32_e32 v107, v107, v108
	s_cbranch_execz .LBB23_293
	s_branch .LBB23_294
.LBB23_292:
                                        ; implicit-def: $vgpr107
.LBB23_293:
	ds_read_b32 v107, v106
.LBB23_294:
	s_and_saveexec_b64 s[6:7], s[0:1]
	s_cbranch_execz .LBB23_304
; %bb.295:
	v_add_u32_e32 v108, -5, v0
	v_add_u32_e32 v109, -4, v0
	v_cmp_lt_u32_e32 vcc, 6, v108
	v_mov_b32_e32 v108, 4
	s_and_saveexec_b64 s[0:1], vcc
	s_cbranch_execz .LBB23_299
; %bb.296:
	v_and_b32_e32 v108, -8, v109
	v_sub_u32_e32 v110, 0, v108
	s_mov_b64 s[8:9], 5
	s_movk_i32 s12, 0x70
	s_mov_b64 s[10:11], 0
.LBB23_297:                             ; =>This Inner Loop Header: Depth=1
	s_add_i32 s13, s8, -1
	v_mov_b32_e32 v115, s12
	s_set_gpr_idx_on s13, gpr_idx(SRC0)
	v_mov_b32_e32 v108, v26
	s_set_gpr_idx_off
	ds_read_b128 v[111:114], v115
	ds_read_b128 v[115:118], v115 offset:16
	s_add_i32 s13, s8, 1
	s_waitcnt lgkmcnt(1)
	v_fmac_f32_e32 v107, v108, v111
	s_set_gpr_idx_on s8, gpr_idx(SRC0)
	v_mov_b32_e32 v108, v26
	s_set_gpr_idx_off
	v_fmac_f32_e32 v107, v108, v112
	s_set_gpr_idx_on s13, gpr_idx(SRC0)
	v_mov_b32_e32 v108, v26
	s_set_gpr_idx_off
	s_add_i32 s13, s8, 2
	v_fmac_f32_e32 v107, v108, v113
	s_set_gpr_idx_on s13, gpr_idx(SRC0)
	v_mov_b32_e32 v108, v26
	s_set_gpr_idx_off
	s_add_i32 s13, s8, 3
	;; [unrolled: 5-line block ×3, first 2 shown]
	s_waitcnt lgkmcnt(0)
	v_fmac_f32_e32 v107, v108, v115
	s_set_gpr_idx_on s13, gpr_idx(SRC0)
	v_mov_b32_e32 v108, v26
	s_set_gpr_idx_off
	s_add_i32 s13, s8, 5
	v_fmac_f32_e32 v107, v108, v116
	s_set_gpr_idx_on s13, gpr_idx(SRC0)
	v_mov_b32_e32 v108, v26
	s_set_gpr_idx_off
	s_add_i32 s13, s8, 6
	v_fmac_f32_e32 v107, v108, v117
	s_set_gpr_idx_on s13, gpr_idx(SRC0)
	v_mov_b32_e32 v108, v26
	s_set_gpr_idx_off
	s_add_u32 s8, s8, 8
	v_fmac_f32_e32 v107, v108, v118
	v_add_u32_e32 v108, s8, v110
	s_addc_u32 s9, s9, 0
	s_add_i32 s12, s12, 32
	v_cmp_eq_u32_e32 vcc, 5, v108
	s_add_i32 s13, s8, -1
	s_or_b64 s[10:11], vcc, s[10:11]
	v_mov_b32_e32 v108, s13
	s_andn2_b64 exec, exec, s[10:11]
	s_cbranch_execnz .LBB23_297
; %bb.298:
	s_or_b64 exec, exec, s[10:11]
.LBB23_299:
	s_or_b64 exec, exec, s[0:1]
	v_and_b32_e32 v50, 7, v109
	v_cmp_ne_u32_e32 vcc, 0, v50
	s_and_saveexec_b64 s[8:9], vcc
	s_cbranch_execz .LBB23_303
; %bb.300:
	v_mov_b32_e32 v51, 0x60
	v_lshl_add_u32 v51, v108, 2, v51
	v_mov_b32_e32 v52, 0
	s_mov_b64 s[10:11], 0
.LBB23_301:                             ; =>This Inner Loop Header: Depth=1
	v_cmp_eq_u32_e32 vcc, 1, v108
	v_cndmask_b32_e32 v53, v26, v27, vcc
	v_add_u32_e32 v50, -1, v50
	v_cmp_eq_u32_e32 vcc, 2, v108
	v_cndmask_b32_e32 v53, v53, v28, vcc
	v_cmp_eq_u32_e32 vcc, 0, v50
	v_cmp_eq_u32_e64 s[0:1], 3, v108
	v_cndmask_b32_e64 v53, v53, v29, s[0:1]
	s_or_b64 s[10:11], vcc, s[10:11]
	v_cmp_eq_u32_e32 vcc, 4, v108
	v_cndmask_b32_e32 v53, v53, v30, vcc
	v_cmp_eq_u32_e32 vcc, 5, v108
	v_cndmask_b32_e32 v53, v53, v31, vcc
	;; [unrolled: 2-line block ×15, first 2 shown]
	v_cmp_eq_u32_e32 vcc, 19, v108
	ds_read_b32 v54, v51
	v_cndmask_b32_e32 v53, v53, v45, vcc
	v_cmp_eq_u32_e32 vcc, 20, v108
	v_cndmask_b32_e32 v53, v53, v46, vcc
	v_cmp_eq_u32_e32 vcc, 21, v108
	;; [unrolled: 2-line block ×4, first 2 shown]
	v_add_co_u32_e64 v108, s[0:1], 1, v108
	v_cndmask_b32_e32 v53, v53, v49, vcc
	v_add_u32_e32 v51, 4, v51
	v_addc_co_u32_e64 v52, s[0:1], 0, v52, s[0:1]
	s_waitcnt lgkmcnt(0)
	v_fmac_f32_e32 v107, v53, v54
	s_andn2_b64 exec, exec, s[10:11]
	s_cbranch_execnz .LBB23_301
; %bb.302:
	s_or_b64 exec, exec, s[10:11]
.LBB23_303:
	s_or_b64 exec, exec, s[8:9]
.LBB23_304:
	s_or_b64 exec, exec, s[6:7]
	v_mov_b32_e32 v29, 0
	ds_read_b32 v29, v29 offset:12
	s_waitcnt lgkmcnt(0)
	v_mul_f32_e32 v29, v107, v29
.LBB23_305:
	s_or_b64 exec, exec, s[4:5]
	v_cmp_lt_u32_e64 s[0:1], 2, v0
	ds_write_b32 v106, v28
	s_waitcnt lgkmcnt(0)
	; wave barrier
	s_and_saveexec_b64 s[4:5], s[0:1]
	s_cbranch_execz .LBB23_321
; %bb.306:
	s_andn2_b64 vcc, exec, s[50:51]
	s_cbranch_vccnz .LBB23_308
; %bb.307:
	v_cmp_eq_u32_e32 vcc, 1, v0
	v_cndmask_b32_e32 v107, v26, v27, vcc
	v_cmp_eq_u32_e32 vcc, 2, v0
	v_cndmask_b32_e32 v107, v107, v28, vcc
	v_cmp_eq_u32_e32 vcc, 3, v0
	v_cndmask_b32_e32 v107, v107, v29, vcc
	v_cmp_eq_u32_e32 vcc, 4, v0
	v_cndmask_b32_e32 v107, v107, v30, vcc
	v_cmp_eq_u32_e32 vcc, 5, v0
	v_cndmask_b32_e32 v107, v107, v31, vcc
	v_cmp_eq_u32_e32 vcc, 6, v0
	v_cndmask_b32_e32 v107, v107, v32, vcc
	v_cmp_eq_u32_e32 vcc, 7, v0
	v_cndmask_b32_e32 v107, v107, v33, vcc
	v_cmp_eq_u32_e32 vcc, 8, v0
	v_cndmask_b32_e32 v107, v107, v34, vcc
	v_cmp_eq_u32_e32 vcc, 9, v0
	v_cndmask_b32_e32 v107, v107, v35, vcc
	v_cmp_eq_u32_e32 vcc, 10, v0
	v_cndmask_b32_e32 v107, v107, v36, vcc
	v_cmp_eq_u32_e32 vcc, 11, v0
	v_cndmask_b32_e32 v107, v107, v37, vcc
	v_cmp_eq_u32_e32 vcc, 12, v0
	v_cndmask_b32_e32 v107, v107, v38, vcc
	v_cmp_eq_u32_e32 vcc, 13, v0
	v_cndmask_b32_e32 v107, v107, v39, vcc
	v_cmp_eq_u32_e32 vcc, 14, v0
	v_cndmask_b32_e32 v107, v107, v40, vcc
	v_cmp_eq_u32_e32 vcc, 15, v0
	v_cndmask_b32_e32 v107, v107, v41, vcc
	v_cmp_eq_u32_e32 vcc, 16, v0
	v_cndmask_b32_e32 v107, v107, v42, vcc
	v_cmp_eq_u32_e32 vcc, 17, v0
	v_cndmask_b32_e32 v107, v107, v43, vcc
	v_cmp_eq_u32_e32 vcc, 18, v0
	v_cndmask_b32_e32 v107, v107, v44, vcc
	v_cmp_eq_u32_e32 vcc, 19, v0
	v_cndmask_b32_e32 v107, v107, v45, vcc
	v_cmp_eq_u32_e32 vcc, 20, v0
	ds_read_b32 v108, v106
	v_cndmask_b32_e32 v107, v107, v46, vcc
	v_cmp_eq_u32_e32 vcc, 21, v0
	v_cndmask_b32_e32 v107, v107, v47, vcc
	v_cmp_eq_u32_e32 vcc, 22, v0
	;; [unrolled: 2-line block ×3, first 2 shown]
	v_cndmask_b32_e32 v107, v107, v49, vcc
	s_waitcnt lgkmcnt(0)
	v_mul_f32_e32 v107, v107, v108
	s_cbranch_execz .LBB23_309
	s_branch .LBB23_310
.LBB23_308:
                                        ; implicit-def: $vgpr107
.LBB23_309:
	ds_read_b32 v107, v106
.LBB23_310:
	s_and_saveexec_b64 s[6:7], s[2:3]
	s_cbranch_execz .LBB23_320
; %bb.311:
	v_add_u32_e32 v108, -4, v0
	v_add_u32_e32 v109, -3, v0
	v_cmp_lt_u32_e32 vcc, 6, v108
	v_mov_b32_e32 v108, 3
	s_and_saveexec_b64 s[2:3], vcc
	s_cbranch_execz .LBB23_315
; %bb.312:
	v_and_b32_e32 v108, -8, v109
	v_sub_u32_e32 v110, 0, v108
	s_mov_b64 s[8:9], 10
	s_movk_i32 s12, 0x6c
	s_mov_b64 s[10:11], 0
.LBB23_313:                             ; =>This Inner Loop Header: Depth=1
	s_add_i32 s13, s8, -7
	v_mov_b32_e32 v113, s12
	s_set_gpr_idx_on s13, gpr_idx(SRC0)
	v_mov_b32_e32 v108, v26
	s_set_gpr_idx_off
	ds_read2_b32 v[111:112], v113 offset1:1
	s_add_i32 s13, s8, -6
	s_waitcnt lgkmcnt(0)
	v_fmac_f32_e32 v107, v108, v111
	s_set_gpr_idx_on s13, gpr_idx(SRC0)
	v_mov_b32_e32 v108, v26
	s_set_gpr_idx_off
	s_add_i32 s13, s8, -5
	v_fmac_f32_e32 v107, v108, v112
	s_set_gpr_idx_on s13, gpr_idx(SRC0)
	v_mov_b32_e32 v108, v26
	s_set_gpr_idx_off
	ds_read2_b32 v[111:112], v113 offset0:2 offset1:3
	s_add_i32 s13, s8, -4
	s_waitcnt lgkmcnt(0)
	v_fmac_f32_e32 v107, v108, v111
	s_set_gpr_idx_on s13, gpr_idx(SRC0)
	v_mov_b32_e32 v108, v26
	s_set_gpr_idx_off
	s_add_i32 s13, s8, -3
	v_fmac_f32_e32 v107, v108, v112
	s_set_gpr_idx_on s13, gpr_idx(SRC0)
	v_mov_b32_e32 v108, v26
	s_set_gpr_idx_off
	ds_read2_b32 v[111:112], v113 offset0:4 offset1:5
	;; [unrolled: 12-line block ×3, first 2 shown]
	s_waitcnt lgkmcnt(0)
	v_fmac_f32_e32 v107, v108, v111
	s_set_gpr_idx_on s8, gpr_idx(SRC0)
	v_mov_b32_e32 v108, v26
	s_set_gpr_idx_off
	s_add_u32 s8, s8, 8
	v_fmac_f32_e32 v107, v108, v112
	v_add_u32_e32 v108, s8, v110
	s_addc_u32 s9, s9, 0
	s_add_i32 s12, s12, 32
	v_cmp_eq_u32_e32 vcc, 10, v108
	s_add_i32 s13, s8, -7
	s_or_b64 s[10:11], vcc, s[10:11]
	v_mov_b32_e32 v108, s13
	s_andn2_b64 exec, exec, s[10:11]
	s_cbranch_execnz .LBB23_313
; %bb.314:
	s_or_b64 exec, exec, s[10:11]
.LBB23_315:
	s_or_b64 exec, exec, s[2:3]
	v_and_b32_e32 v50, 7, v109
	v_cmp_ne_u32_e32 vcc, 0, v50
	s_and_saveexec_b64 s[8:9], vcc
	s_cbranch_execz .LBB23_319
; %bb.316:
	v_mov_b32_e32 v51, 0x60
	v_lshl_add_u32 v51, v108, 2, v51
	v_mov_b32_e32 v52, 0
	s_mov_b64 s[10:11], 0
.LBB23_317:                             ; =>This Inner Loop Header: Depth=1
	v_cmp_eq_u32_e32 vcc, 1, v108
	v_cndmask_b32_e32 v53, v26, v27, vcc
	v_add_u32_e32 v50, -1, v50
	v_cmp_eq_u32_e32 vcc, 2, v108
	v_cndmask_b32_e32 v53, v53, v28, vcc
	v_cmp_eq_u32_e32 vcc, 0, v50
	v_cmp_eq_u32_e64 s[2:3], 3, v108
	v_cndmask_b32_e64 v53, v53, v29, s[2:3]
	s_or_b64 s[10:11], vcc, s[10:11]
	v_cmp_eq_u32_e32 vcc, 4, v108
	v_cndmask_b32_e32 v53, v53, v30, vcc
	v_cmp_eq_u32_e32 vcc, 5, v108
	v_cndmask_b32_e32 v53, v53, v31, vcc
	v_cmp_eq_u32_e32 vcc, 6, v108
	v_cndmask_b32_e32 v53, v53, v32, vcc
	v_cmp_eq_u32_e32 vcc, 7, v108
	v_cndmask_b32_e32 v53, v53, v33, vcc
	v_cmp_eq_u32_e32 vcc, 8, v108
	v_cndmask_b32_e32 v53, v53, v34, vcc
	v_cmp_eq_u32_e32 vcc, 9, v108
	v_cndmask_b32_e32 v53, v53, v35, vcc
	v_cmp_eq_u32_e32 vcc, 10, v108
	v_cndmask_b32_e32 v53, v53, v36, vcc
	v_cmp_eq_u32_e32 vcc, 11, v108
	v_cndmask_b32_e32 v53, v53, v37, vcc
	v_cmp_eq_u32_e32 vcc, 12, v108
	v_cndmask_b32_e32 v53, v53, v38, vcc
	v_cmp_eq_u32_e32 vcc, 13, v108
	v_cndmask_b32_e32 v53, v53, v39, vcc
	v_cmp_eq_u32_e32 vcc, 14, v108
	v_cndmask_b32_e32 v53, v53, v40, vcc
	v_cmp_eq_u32_e32 vcc, 15, v108
	v_cndmask_b32_e32 v53, v53, v41, vcc
	v_cmp_eq_u32_e32 vcc, 16, v108
	v_cndmask_b32_e32 v53, v53, v42, vcc
	v_cmp_eq_u32_e32 vcc, 17, v108
	v_cndmask_b32_e32 v53, v53, v43, vcc
	v_cmp_eq_u32_e32 vcc, 18, v108
	v_cndmask_b32_e32 v53, v53, v44, vcc
	v_cmp_eq_u32_e32 vcc, 19, v108
	ds_read_b32 v54, v51
	v_cndmask_b32_e32 v53, v53, v45, vcc
	v_cmp_eq_u32_e32 vcc, 20, v108
	v_cndmask_b32_e32 v53, v53, v46, vcc
	v_cmp_eq_u32_e32 vcc, 21, v108
	;; [unrolled: 2-line block ×4, first 2 shown]
	v_add_co_u32_e64 v108, s[2:3], 1, v108
	v_cndmask_b32_e32 v53, v53, v49, vcc
	v_add_u32_e32 v51, 4, v51
	v_addc_co_u32_e64 v52, s[2:3], 0, v52, s[2:3]
	s_waitcnt lgkmcnt(0)
	v_fmac_f32_e32 v107, v53, v54
	s_andn2_b64 exec, exec, s[10:11]
	s_cbranch_execnz .LBB23_317
; %bb.318:
	s_or_b64 exec, exec, s[10:11]
.LBB23_319:
	s_or_b64 exec, exec, s[8:9]
.LBB23_320:
	s_or_b64 exec, exec, s[6:7]
	v_mov_b32_e32 v28, 0
	ds_read_b32 v28, v28 offset:8
	s_waitcnt lgkmcnt(0)
	v_mul_f32_e32 v28, v107, v28
.LBB23_321:
	s_or_b64 exec, exec, s[4:5]
	v_cmp_lt_u32_e64 s[2:3], 1, v0
	ds_write_b32 v106, v27
	s_waitcnt lgkmcnt(0)
	; wave barrier
	s_and_saveexec_b64 s[4:5], s[2:3]
	s_cbranch_execz .LBB23_337
; %bb.322:
	s_andn2_b64 vcc, exec, s[50:51]
	s_cbranch_vccnz .LBB23_324
; %bb.323:
	v_cmp_eq_u32_e32 vcc, 1, v0
	v_cndmask_b32_e32 v107, v26, v27, vcc
	v_cmp_eq_u32_e32 vcc, 2, v0
	v_cndmask_b32_e32 v107, v107, v28, vcc
	v_cmp_eq_u32_e32 vcc, 3, v0
	v_cndmask_b32_e32 v107, v107, v29, vcc
	v_cmp_eq_u32_e32 vcc, 4, v0
	v_cndmask_b32_e32 v107, v107, v30, vcc
	v_cmp_eq_u32_e32 vcc, 5, v0
	v_cndmask_b32_e32 v107, v107, v31, vcc
	v_cmp_eq_u32_e32 vcc, 6, v0
	v_cndmask_b32_e32 v107, v107, v32, vcc
	v_cmp_eq_u32_e32 vcc, 7, v0
	v_cndmask_b32_e32 v107, v107, v33, vcc
	v_cmp_eq_u32_e32 vcc, 8, v0
	v_cndmask_b32_e32 v107, v107, v34, vcc
	v_cmp_eq_u32_e32 vcc, 9, v0
	v_cndmask_b32_e32 v107, v107, v35, vcc
	v_cmp_eq_u32_e32 vcc, 10, v0
	v_cndmask_b32_e32 v107, v107, v36, vcc
	v_cmp_eq_u32_e32 vcc, 11, v0
	v_cndmask_b32_e32 v107, v107, v37, vcc
	v_cmp_eq_u32_e32 vcc, 12, v0
	v_cndmask_b32_e32 v107, v107, v38, vcc
	v_cmp_eq_u32_e32 vcc, 13, v0
	v_cndmask_b32_e32 v107, v107, v39, vcc
	v_cmp_eq_u32_e32 vcc, 14, v0
	v_cndmask_b32_e32 v107, v107, v40, vcc
	v_cmp_eq_u32_e32 vcc, 15, v0
	v_cndmask_b32_e32 v107, v107, v41, vcc
	v_cmp_eq_u32_e32 vcc, 16, v0
	v_cndmask_b32_e32 v107, v107, v42, vcc
	v_cmp_eq_u32_e32 vcc, 17, v0
	v_cndmask_b32_e32 v107, v107, v43, vcc
	v_cmp_eq_u32_e32 vcc, 18, v0
	v_cndmask_b32_e32 v107, v107, v44, vcc
	v_cmp_eq_u32_e32 vcc, 19, v0
	v_cndmask_b32_e32 v107, v107, v45, vcc
	v_cmp_eq_u32_e32 vcc, 20, v0
	ds_read_b32 v108, v106
	v_cndmask_b32_e32 v107, v107, v46, vcc
	v_cmp_eq_u32_e32 vcc, 21, v0
	v_cndmask_b32_e32 v107, v107, v47, vcc
	v_cmp_eq_u32_e32 vcc, 22, v0
	v_cndmask_b32_e32 v107, v107, v48, vcc
	v_cmp_eq_u32_e32 vcc, 23, v0
	v_cndmask_b32_e32 v107, v107, v49, vcc
	s_waitcnt lgkmcnt(0)
	v_mul_f32_e32 v107, v107, v108
	s_cbranch_execz .LBB23_325
	s_branch .LBB23_326
.LBB23_324:
                                        ; implicit-def: $vgpr107
.LBB23_325:
	ds_read_b32 v107, v106
.LBB23_326:
	s_and_saveexec_b64 s[6:7], s[0:1]
	s_cbranch_execz .LBB23_336
; %bb.327:
	v_add_u32_e32 v108, -3, v0
	v_add_u32_e32 v109, -2, v0
	v_cmp_lt_u32_e32 vcc, 6, v108
	v_mov_b32_e32 v108, 2
	s_and_saveexec_b64 s[0:1], vcc
	s_cbranch_execz .LBB23_331
; %bb.328:
	v_and_b32_e32 v108, -8, v109
	v_sub_u32_e32 v110, 0, v108
	s_mov_b64 s[8:9], 9
	s_movk_i32 s12, 0x68
	s_mov_b64 s[10:11], 0
.LBB23_329:                             ; =>This Inner Loop Header: Depth=1
	s_add_i32 s13, s8, -7
	v_mov_b32_e32 v115, s12
	s_set_gpr_idx_on s13, gpr_idx(SRC0)
	v_mov_b32_e32 v108, v26
	s_set_gpr_idx_off
	ds_read2_b64 v[111:114], v115 offset1:1
	s_add_i32 s13, s8, -6
	s_waitcnt lgkmcnt(0)
	v_fmac_f32_e32 v107, v108, v111
	s_set_gpr_idx_on s13, gpr_idx(SRC0)
	v_mov_b32_e32 v108, v26
	s_set_gpr_idx_off
	s_add_i32 s13, s8, -5
	v_fmac_f32_e32 v107, v108, v112
	s_set_gpr_idx_on s13, gpr_idx(SRC0)
	v_mov_b32_e32 v108, v26
	s_set_gpr_idx_off
	s_add_i32 s13, s8, -4
	;; [unrolled: 5-line block ×3, first 2 shown]
	v_fmac_f32_e32 v107, v108, v114
	s_set_gpr_idx_on s13, gpr_idx(SRC0)
	v_mov_b32_e32 v108, v26
	s_set_gpr_idx_off
	ds_read2_b64 v[111:114], v115 offset0:2 offset1:3
	s_add_i32 s13, s8, -2
	s_waitcnt lgkmcnt(0)
	v_fmac_f32_e32 v107, v108, v111
	s_set_gpr_idx_on s13, gpr_idx(SRC0)
	v_mov_b32_e32 v108, v26
	s_set_gpr_idx_off
	s_add_i32 s13, s8, -1
	v_fmac_f32_e32 v107, v108, v112
	s_set_gpr_idx_on s13, gpr_idx(SRC0)
	v_mov_b32_e32 v108, v26
	s_set_gpr_idx_off
	v_fmac_f32_e32 v107, v108, v113
	s_set_gpr_idx_on s8, gpr_idx(SRC0)
	v_mov_b32_e32 v108, v26
	s_set_gpr_idx_off
	s_add_u32 s8, s8, 8
	v_fmac_f32_e32 v107, v108, v114
	v_add_u32_e32 v108, s8, v110
	s_addc_u32 s9, s9, 0
	s_add_i32 s12, s12, 32
	v_cmp_eq_u32_e32 vcc, 9, v108
	s_add_i32 s13, s8, -7
	s_or_b64 s[10:11], vcc, s[10:11]
	v_mov_b32_e32 v108, s13
	s_andn2_b64 exec, exec, s[10:11]
	s_cbranch_execnz .LBB23_329
; %bb.330:
	s_or_b64 exec, exec, s[10:11]
.LBB23_331:
	s_or_b64 exec, exec, s[0:1]
	v_and_b32_e32 v50, 7, v109
	v_cmp_ne_u32_e32 vcc, 0, v50
	s_and_saveexec_b64 s[8:9], vcc
	s_cbranch_execz .LBB23_335
; %bb.332:
	v_mov_b32_e32 v51, 0x60
	v_lshl_add_u32 v51, v108, 2, v51
	v_mov_b32_e32 v52, 0
	s_mov_b64 s[10:11], 0
.LBB23_333:                             ; =>This Inner Loop Header: Depth=1
	v_cmp_eq_u32_e32 vcc, 1, v108
	v_cndmask_b32_e32 v53, v26, v27, vcc
	v_add_u32_e32 v50, -1, v50
	v_cmp_eq_u32_e32 vcc, 2, v108
	v_cndmask_b32_e32 v53, v53, v28, vcc
	v_cmp_eq_u32_e32 vcc, 0, v50
	v_cmp_eq_u32_e64 s[0:1], 3, v108
	v_cndmask_b32_e64 v53, v53, v29, s[0:1]
	s_or_b64 s[10:11], vcc, s[10:11]
	v_cmp_eq_u32_e32 vcc, 4, v108
	v_cndmask_b32_e32 v53, v53, v30, vcc
	v_cmp_eq_u32_e32 vcc, 5, v108
	v_cndmask_b32_e32 v53, v53, v31, vcc
	v_cmp_eq_u32_e32 vcc, 6, v108
	v_cndmask_b32_e32 v53, v53, v32, vcc
	v_cmp_eq_u32_e32 vcc, 7, v108
	v_cndmask_b32_e32 v53, v53, v33, vcc
	v_cmp_eq_u32_e32 vcc, 8, v108
	v_cndmask_b32_e32 v53, v53, v34, vcc
	v_cmp_eq_u32_e32 vcc, 9, v108
	v_cndmask_b32_e32 v53, v53, v35, vcc
	v_cmp_eq_u32_e32 vcc, 10, v108
	v_cndmask_b32_e32 v53, v53, v36, vcc
	v_cmp_eq_u32_e32 vcc, 11, v108
	v_cndmask_b32_e32 v53, v53, v37, vcc
	v_cmp_eq_u32_e32 vcc, 12, v108
	v_cndmask_b32_e32 v53, v53, v38, vcc
	v_cmp_eq_u32_e32 vcc, 13, v108
	v_cndmask_b32_e32 v53, v53, v39, vcc
	v_cmp_eq_u32_e32 vcc, 14, v108
	v_cndmask_b32_e32 v53, v53, v40, vcc
	v_cmp_eq_u32_e32 vcc, 15, v108
	v_cndmask_b32_e32 v53, v53, v41, vcc
	v_cmp_eq_u32_e32 vcc, 16, v108
	v_cndmask_b32_e32 v53, v53, v42, vcc
	v_cmp_eq_u32_e32 vcc, 17, v108
	v_cndmask_b32_e32 v53, v53, v43, vcc
	v_cmp_eq_u32_e32 vcc, 18, v108
	v_cndmask_b32_e32 v53, v53, v44, vcc
	v_cmp_eq_u32_e32 vcc, 19, v108
	ds_read_b32 v54, v51
	v_cndmask_b32_e32 v53, v53, v45, vcc
	v_cmp_eq_u32_e32 vcc, 20, v108
	v_cndmask_b32_e32 v53, v53, v46, vcc
	v_cmp_eq_u32_e32 vcc, 21, v108
	;; [unrolled: 2-line block ×4, first 2 shown]
	v_add_co_u32_e64 v108, s[0:1], 1, v108
	v_cndmask_b32_e32 v53, v53, v49, vcc
	v_add_u32_e32 v51, 4, v51
	v_addc_co_u32_e64 v52, s[0:1], 0, v52, s[0:1]
	s_waitcnt lgkmcnt(0)
	v_fmac_f32_e32 v107, v53, v54
	s_andn2_b64 exec, exec, s[10:11]
	s_cbranch_execnz .LBB23_333
; %bb.334:
	s_or_b64 exec, exec, s[10:11]
.LBB23_335:
	s_or_b64 exec, exec, s[8:9]
.LBB23_336:
	s_or_b64 exec, exec, s[6:7]
	v_mov_b32_e32 v27, 0
	ds_read_b32 v27, v27 offset:4
	s_waitcnt lgkmcnt(0)
	v_mul_f32_e32 v27, v107, v27
.LBB23_337:
	s_or_b64 exec, exec, s[4:5]
	v_cmp_ne_u32_e32 vcc, 0, v0
	ds_write_b32 v106, v26
	s_waitcnt lgkmcnt(0)
	; wave barrier
	s_and_saveexec_b64 s[4:5], vcc
	s_cbranch_execz .LBB23_353
; %bb.338:
	s_andn2_b64 vcc, exec, s[50:51]
	s_cbranch_vccnz .LBB23_340
; %bb.339:
	v_cmp_eq_u32_e32 vcc, 1, v0
	v_cndmask_b32_e32 v107, v26, v27, vcc
	v_cmp_eq_u32_e32 vcc, 2, v0
	v_cndmask_b32_e32 v107, v107, v28, vcc
	;; [unrolled: 2-line block ×19, first 2 shown]
	v_cmp_eq_u32_e32 vcc, 20, v0
	ds_read_b32 v108, v106
	v_cndmask_b32_e32 v107, v107, v46, vcc
	v_cmp_eq_u32_e32 vcc, 21, v0
	v_cndmask_b32_e32 v107, v107, v47, vcc
	v_cmp_eq_u32_e32 vcc, 22, v0
	;; [unrolled: 2-line block ×3, first 2 shown]
	v_cndmask_b32_e32 v107, v107, v49, vcc
	s_waitcnt lgkmcnt(0)
	v_mul_f32_e32 v107, v107, v108
	s_cbranch_execz .LBB23_341
	s_branch .LBB23_342
.LBB23_340:
                                        ; implicit-def: $vgpr107
.LBB23_341:
	ds_read_b32 v107, v106
.LBB23_342:
	s_and_saveexec_b64 s[6:7], s[2:3]
	s_cbranch_execz .LBB23_352
; %bb.343:
	v_add_u32_e32 v108, -2, v0
	v_add_u32_e32 v109, -1, v0
	v_cmp_lt_u32_e32 vcc, 6, v108
	v_mov_b32_e32 v108, 1
	s_and_saveexec_b64 s[0:1], vcc
	s_cbranch_execz .LBB23_347
; %bb.344:
	v_and_b32_e32 v108, -8, v109
	v_sub_u32_e32 v110, 0, v108
	s_mov_b64 s[2:3], 8
	s_movk_i32 s10, 0x64
	s_mov_b64 s[8:9], 0
.LBB23_345:                             ; =>This Inner Loop Header: Depth=1
	s_add_i32 s11, s2, -7
	v_mov_b32_e32 v113, s10
	s_set_gpr_idx_on s11, gpr_idx(SRC0)
	v_mov_b32_e32 v108, v26
	s_set_gpr_idx_off
	ds_read2_b32 v[111:112], v113 offset1:1
	s_add_i32 s11, s2, -6
	s_waitcnt lgkmcnt(0)
	v_fmac_f32_e32 v107, v108, v111
	s_set_gpr_idx_on s11, gpr_idx(SRC0)
	v_mov_b32_e32 v108, v26
	s_set_gpr_idx_off
	s_add_i32 s11, s2, -5
	v_fmac_f32_e32 v107, v108, v112
	s_set_gpr_idx_on s11, gpr_idx(SRC0)
	v_mov_b32_e32 v108, v26
	s_set_gpr_idx_off
	ds_read2_b32 v[111:112], v113 offset0:2 offset1:3
	s_add_i32 s11, s2, -4
	s_waitcnt lgkmcnt(0)
	v_fmac_f32_e32 v107, v108, v111
	s_set_gpr_idx_on s11, gpr_idx(SRC0)
	v_mov_b32_e32 v108, v26
	s_set_gpr_idx_off
	s_add_i32 s11, s2, -3
	v_fmac_f32_e32 v107, v108, v112
	s_set_gpr_idx_on s11, gpr_idx(SRC0)
	v_mov_b32_e32 v108, v26
	s_set_gpr_idx_off
	ds_read2_b32 v[111:112], v113 offset0:4 offset1:5
	;; [unrolled: 12-line block ×3, first 2 shown]
	s_waitcnt lgkmcnt(0)
	v_fmac_f32_e32 v107, v108, v111
	s_set_gpr_idx_on s2, gpr_idx(SRC0)
	v_mov_b32_e32 v108, v26
	s_set_gpr_idx_off
	s_add_u32 s2, s2, 8
	v_fmac_f32_e32 v107, v108, v112
	v_add_u32_e32 v108, s2, v110
	s_addc_u32 s3, s3, 0
	s_add_i32 s10, s10, 32
	v_cmp_eq_u32_e32 vcc, 8, v108
	s_add_i32 s11, s2, -7
	s_or_b64 s[8:9], vcc, s[8:9]
	v_mov_b32_e32 v108, s11
	s_andn2_b64 exec, exec, s[8:9]
	s_cbranch_execnz .LBB23_345
; %bb.346:
	s_or_b64 exec, exec, s[8:9]
.LBB23_347:
	s_or_b64 exec, exec, s[0:1]
	v_and_b32_e32 v50, 7, v109
	v_cmp_ne_u32_e32 vcc, 0, v50
	s_and_saveexec_b64 s[2:3], vcc
	s_cbranch_execz .LBB23_351
; %bb.348:
	v_mov_b32_e32 v51, 0x60
	v_lshl_add_u32 v51, v108, 2, v51
	v_mov_b32_e32 v52, 0
	s_mov_b64 s[8:9], 0
.LBB23_349:                             ; =>This Inner Loop Header: Depth=1
	v_cmp_eq_u32_e32 vcc, 1, v108
	v_cndmask_b32_e32 v53, v26, v27, vcc
	v_add_u32_e32 v50, -1, v50
	v_cmp_eq_u32_e32 vcc, 2, v108
	v_cndmask_b32_e32 v53, v53, v28, vcc
	v_cmp_eq_u32_e32 vcc, 0, v50
	v_cmp_eq_u32_e64 s[0:1], 3, v108
	v_cndmask_b32_e64 v53, v53, v29, s[0:1]
	s_or_b64 s[8:9], vcc, s[8:9]
	v_cmp_eq_u32_e32 vcc, 4, v108
	v_cndmask_b32_e32 v53, v53, v30, vcc
	v_cmp_eq_u32_e32 vcc, 5, v108
	v_cndmask_b32_e32 v53, v53, v31, vcc
	;; [unrolled: 2-line block ×15, first 2 shown]
	v_cmp_eq_u32_e32 vcc, 19, v108
	ds_read_b32 v54, v51
	v_cndmask_b32_e32 v53, v53, v45, vcc
	v_cmp_eq_u32_e32 vcc, 20, v108
	v_cndmask_b32_e32 v53, v53, v46, vcc
	v_cmp_eq_u32_e32 vcc, 21, v108
	;; [unrolled: 2-line block ×4, first 2 shown]
	v_add_co_u32_e64 v108, s[0:1], 1, v108
	v_cndmask_b32_e32 v53, v53, v49, vcc
	v_add_u32_e32 v51, 4, v51
	v_addc_co_u32_e64 v52, s[0:1], 0, v52, s[0:1]
	s_waitcnt lgkmcnt(0)
	v_fmac_f32_e32 v107, v53, v54
	s_andn2_b64 exec, exec, s[8:9]
	s_cbranch_execnz .LBB23_349
; %bb.350:
	s_or_b64 exec, exec, s[8:9]
.LBB23_351:
	s_or_b64 exec, exec, s[2:3]
.LBB23_352:
	s_or_b64 exec, exec, s[6:7]
	v_mov_b32_e32 v26, 0
	ds_read_b32 v26, v26
	s_waitcnt lgkmcnt(0)
	v_mul_f32_e32 v26, v107, v26
.LBB23_353:
	s_or_b64 exec, exec, s[4:5]
	s_branch .LBB23_587
.LBB23_354:
	v_cmp_eq_u32_e64 s[2:3], 0, v0
	s_waitcnt vmcnt(23)
	ds_write_b32 v106, v3
	s_waitcnt lgkmcnt(0)
	; wave barrier
	s_and_saveexec_b64 s[0:1], s[2:3]
	s_cbranch_execz .LBB23_360
; %bb.355:
	s_and_b64 vcc, exec, s[50:51]
	s_cbranch_vccz .LBB23_357
; %bb.356:
	v_cmp_eq_u32_e32 vcc, 1, v0
	s_waitcnt vmcnt(7)
	v_cndmask_b32_e32 v3, v2, v3, vcc
	v_cmp_eq_u32_e32 vcc, 2, v0
	v_cndmask_b32_e32 v3, v3, v4, vcc
	v_cmp_eq_u32_e32 vcc, 3, v0
	;; [unrolled: 2-line block ×16, first 2 shown]
	s_waitcnt vmcnt(6)
	v_cndmask_b32_e32 v3, v3, v19, vcc
	v_cmp_eq_u32_e32 vcc, 18, v0
	s_waitcnt vmcnt(5)
	v_cndmask_b32_e32 v3, v3, v20, vcc
	v_cmp_eq_u32_e32 vcc, 19, v0
	;; [unrolled: 3-line block ×3, first 2 shown]
	ds_read_b32 v26, v106
	s_waitcnt vmcnt(3)
	v_cndmask_b32_e32 v3, v3, v22, vcc
	v_cmp_eq_u32_e32 vcc, 21, v0
	s_waitcnt vmcnt(2)
	v_cndmask_b32_e32 v3, v3, v23, vcc
	v_cmp_eq_u32_e32 vcc, 22, v0
	;; [unrolled: 3-line block ×3, first 2 shown]
	s_waitcnt vmcnt(0)
	v_cndmask_b32_e32 v3, v3, v25, vcc
	s_waitcnt lgkmcnt(0)
	v_mul_f32_e32 v3, v3, v26
	s_cbranch_execz .LBB23_358
	s_branch .LBB23_359
.LBB23_357:
                                        ; implicit-def: $vgpr3
.LBB23_358:
	ds_read_b32 v3, v106
.LBB23_359:
	v_mov_b32_e32 v26, 0
	ds_read_b32 v26, v26 offset:4
	s_waitcnt lgkmcnt(0)
	v_mul_f32_e32 v3, v3, v26
.LBB23_360:
	s_or_b64 exec, exec, s[0:1]
	v_cndmask_b32_e64 v26, 0, 1, s[50:51]
	v_cmp_gt_u32_e32 vcc, 2, v0
	v_cmp_ne_u32_e64 s[0:1], 1, v26
	s_waitcnt vmcnt(22)
	ds_write_b32 v106, v4
	s_waitcnt lgkmcnt(0)
	; wave barrier
	s_and_saveexec_b64 s[4:5], vcc
	s_cbranch_execz .LBB23_366
; %bb.361:
	s_and_b64 vcc, exec, s[0:1]
	s_cbranch_vccnz .LBB23_363
; %bb.362:
	v_cmp_eq_u32_e32 vcc, 1, v0
	s_waitcnt vmcnt(7)
	v_cndmask_b32_e32 v26, v2, v3, vcc
	v_cmp_eq_u32_e32 vcc, 2, v0
	v_cndmask_b32_e32 v4, v26, v4, vcc
	v_cmp_eq_u32_e32 vcc, 3, v0
	;; [unrolled: 2-line block ×16, first 2 shown]
	s_waitcnt vmcnt(6)
	v_cndmask_b32_e32 v4, v4, v19, vcc
	v_cmp_eq_u32_e32 vcc, 18, v0
	s_waitcnt vmcnt(5)
	v_cndmask_b32_e32 v4, v4, v20, vcc
	v_cmp_eq_u32_e32 vcc, 19, v0
	;; [unrolled: 3-line block ×3, first 2 shown]
	ds_read_b32 v26, v106
	s_waitcnt vmcnt(3)
	v_cndmask_b32_e32 v4, v4, v22, vcc
	v_cmp_eq_u32_e32 vcc, 21, v0
	s_waitcnt vmcnt(2)
	v_cndmask_b32_e32 v4, v4, v23, vcc
	v_cmp_eq_u32_e32 vcc, 22, v0
	;; [unrolled: 3-line block ×3, first 2 shown]
	s_waitcnt vmcnt(0)
	v_cndmask_b32_e32 v4, v4, v25, vcc
	s_waitcnt lgkmcnt(0)
	v_mul_f32_e32 v4, v4, v26
	s_cbranch_execz .LBB23_364
	s_branch .LBB23_365
.LBB23_363:
                                        ; implicit-def: $vgpr4
.LBB23_364:
	ds_read_b32 v4, v106
.LBB23_365:
	v_mov_b32_e32 v26, 0
	ds_read2_b32 v[26:27], v26 offset0:2 offset1:25
	s_waitcnt lgkmcnt(0)
	v_fma_f32 v27, v3, v27, v4
	v_cndmask_b32_e64 v4, v4, v27, s[2:3]
	v_mul_f32_e32 v4, v4, v26
.LBB23_366:
	s_or_b64 exec, exec, s[4:5]
	v_add_u32_e32 v28, 1, v0
	v_cmp_gt_u32_e64 s[4:5], 3, v0
	s_waitcnt vmcnt(21)
	ds_write_b32 v106, v5
	s_waitcnt lgkmcnt(0)
	; wave barrier
	s_and_saveexec_b64 s[6:7], s[4:5]
	s_cbranch_execz .LBB23_374
; %bb.367:
	s_and_b64 vcc, exec, s[0:1]
	s_cbranch_vccnz .LBB23_369
; %bb.368:
	v_cmp_eq_u32_e32 vcc, 1, v0
	s_waitcnt vmcnt(7)
	v_cndmask_b32_e32 v26, v2, v3, vcc
	v_cmp_eq_u32_e32 vcc, 2, v0
	v_cndmask_b32_e32 v26, v26, v4, vcc
	v_cmp_eq_u32_e32 vcc, 3, v0
	;; [unrolled: 2-line block ×16, first 2 shown]
	s_waitcnt vmcnt(6)
	v_cndmask_b32_e32 v26, v26, v19, vcc
	v_cmp_eq_u32_e32 vcc, 18, v0
	s_waitcnt vmcnt(5)
	v_cndmask_b32_e32 v26, v26, v20, vcc
	v_cmp_eq_u32_e32 vcc, 19, v0
	s_waitcnt vmcnt(4)
	v_cndmask_b32_e32 v26, v26, v21, vcc
	v_cmp_eq_u32_e32 vcc, 20, v0
	ds_read_b32 v27, v106
	s_waitcnt vmcnt(3)
	v_cndmask_b32_e32 v26, v26, v22, vcc
	v_cmp_eq_u32_e32 vcc, 21, v0
	s_waitcnt vmcnt(2)
	v_cndmask_b32_e32 v26, v26, v23, vcc
	v_cmp_eq_u32_e32 vcc, 22, v0
	;; [unrolled: 3-line block ×3, first 2 shown]
	s_waitcnt vmcnt(0)
	v_cndmask_b32_e32 v26, v26, v25, vcc
	s_waitcnt lgkmcnt(0)
	v_mul_f32_e32 v26, v26, v27
	s_cbranch_execz .LBB23_370
	s_branch .LBB23_371
.LBB23_369:
                                        ; implicit-def: $vgpr26
.LBB23_370:
	ds_read_b32 v26, v106
.LBB23_371:
	v_cmp_ne_u32_e32 vcc, 2, v0
	s_and_saveexec_b64 s[8:9], vcc
	s_cbranch_execz .LBB23_373
; %bb.372:
	v_cmp_eq_u32_e32 vcc, 1, v28
	s_waitcnt vmcnt(7)
	v_cndmask_b32_e32 v27, v2, v3, vcc
	v_cmp_eq_u32_e32 vcc, 2, v28
	v_cndmask_b32_e32 v27, v27, v4, vcc
	v_cmp_eq_u32_e32 vcc, 3, v28
	;; [unrolled: 2-line block ×16, first 2 shown]
	s_waitcnt vmcnt(6)
	v_cndmask_b32_e32 v5, v5, v19, vcc
	v_cmp_eq_u32_e32 vcc, 18, v28
	s_waitcnt vmcnt(5)
	v_cndmask_b32_e32 v5, v5, v20, vcc
	v_cmp_eq_u32_e32 vcc, 19, v28
	;; [unrolled: 3-line block ×3, first 2 shown]
	v_mov_b32_e32 v27, 0
	s_waitcnt vmcnt(3)
	v_cndmask_b32_e32 v5, v5, v22, vcc
	v_cmp_eq_u32_e32 vcc, 21, v28
	ds_read_b32 v29, v106 offset:4
	ds_read_b32 v27, v27 offset:104
	s_waitcnt vmcnt(2)
	v_cndmask_b32_e32 v5, v5, v23, vcc
	v_cmp_eq_u32_e32 vcc, 22, v28
	s_waitcnt vmcnt(1)
	v_cndmask_b32_e32 v5, v5, v24, vcc
	v_cmp_eq_u32_e32 vcc, 23, v28
	s_waitcnt vmcnt(0)
	v_cndmask_b32_e32 v5, v5, v25, vcc
	s_waitcnt lgkmcnt(1)
	v_fmac_f32_e32 v26, v5, v29
	s_waitcnt lgkmcnt(0)
	v_fma_f32 v5, v4, v27, v26
	v_cndmask_b32_e64 v26, v26, v5, s[2:3]
.LBB23_373:
	s_or_b64 exec, exec, s[8:9]
	v_mov_b32_e32 v5, 0
	ds_read_b32 v5, v5 offset:12
	s_waitcnt lgkmcnt(0)
	v_mul_f32_e32 v5, v26, v5
.LBB23_374:
	s_or_b64 exec, exec, s[6:7]
	v_cmp_gt_u32_e32 vcc, 4, v0
	s_waitcnt vmcnt(20)
	ds_write_b32 v106, v6
	s_waitcnt lgkmcnt(0)
	; wave barrier
	s_and_saveexec_b64 s[8:9], vcc
	s_cbranch_execz .LBB23_384
; %bb.375:
	s_and_b64 vcc, exec, s[0:1]
	s_cbranch_vccnz .LBB23_377
; %bb.376:
	v_cmp_eq_u32_e32 vcc, 1, v0
	s_waitcnt vmcnt(7)
	v_cndmask_b32_e32 v26, v2, v3, vcc
	v_cmp_eq_u32_e32 vcc, 2, v0
	v_cndmask_b32_e32 v26, v26, v4, vcc
	v_cmp_eq_u32_e32 vcc, 3, v0
	;; [unrolled: 2-line block ×16, first 2 shown]
	s_waitcnt vmcnt(6)
	v_cndmask_b32_e32 v26, v26, v19, vcc
	v_cmp_eq_u32_e32 vcc, 18, v0
	s_waitcnt vmcnt(5)
	v_cndmask_b32_e32 v26, v26, v20, vcc
	v_cmp_eq_u32_e32 vcc, 19, v0
	;; [unrolled: 3-line block ×3, first 2 shown]
	ds_read_b32 v27, v106
	s_waitcnt vmcnt(3)
	v_cndmask_b32_e32 v26, v26, v22, vcc
	v_cmp_eq_u32_e32 vcc, 21, v0
	s_waitcnt vmcnt(2)
	v_cndmask_b32_e32 v26, v26, v23, vcc
	v_cmp_eq_u32_e32 vcc, 22, v0
	;; [unrolled: 3-line block ×3, first 2 shown]
	s_waitcnt vmcnt(0)
	v_cndmask_b32_e32 v26, v26, v25, vcc
	s_waitcnt lgkmcnt(0)
	v_mul_f32_e32 v29, v26, v27
	s_cbranch_execz .LBB23_378
	s_branch .LBB23_379
.LBB23_377:
                                        ; implicit-def: $vgpr29
.LBB23_378:
	ds_read_b32 v29, v106
.LBB23_379:
	v_cmp_ne_u32_e32 vcc, 3, v0
	s_and_saveexec_b64 s[10:11], vcc
	s_cbranch_execz .LBB23_383
; %bb.380:
	v_mov_b32_e32 v26, 0x64
	v_lshl_add_u32 v30, v0, 2, v26
	v_mov_b32_e32 v27, v1
	s_mov_b64 s[12:13], 0
	v_mov_b32_e32 v26, v0
.LBB23_381:                             ; =>This Inner Loop Header: Depth=1
	v_add_co_u32_e32 v26, vcc, 1, v26
	v_addc_co_u32_e32 v27, vcc, 0, v27, vcc
	v_cmp_eq_u32_e32 vcc, 1, v26
	s_waitcnt vmcnt(7)
	v_cndmask_b32_e32 v32, v2, v3, vcc
	v_cmp_lt_u32_e32 vcc, 2, v26
	v_cmp_eq_u32_e64 s[6:7], 2, v26
	v_cndmask_b32_e64 v32, v32, v4, s[6:7]
	s_or_b64 s[12:13], vcc, s[12:13]
	v_cmp_eq_u32_e32 vcc, 3, v26
	v_cndmask_b32_e32 v32, v32, v5, vcc
	v_cmp_eq_u32_e32 vcc, 4, v26
	v_cndmask_b32_e32 v32, v32, v6, vcc
	;; [unrolled: 2-line block ×14, first 2 shown]
	v_cmp_eq_u32_e32 vcc, 17, v26
	s_waitcnt vmcnt(6)
	v_cndmask_b32_e32 v32, v32, v19, vcc
	v_cmp_eq_u32_e32 vcc, 18, v26
	s_waitcnt vmcnt(5)
	v_cndmask_b32_e32 v32, v32, v20, vcc
	v_cmp_eq_u32_e32 vcc, 19, v26
	ds_read_b32 v31, v30
	s_waitcnt vmcnt(4)
	v_cndmask_b32_e32 v32, v32, v21, vcc
	v_cmp_eq_u32_e32 vcc, 20, v26
	s_waitcnt vmcnt(3)
	v_cndmask_b32_e32 v32, v32, v22, vcc
	v_cmp_eq_u32_e32 vcc, 21, v26
	;; [unrolled: 3-line block ×4, first 2 shown]
	s_waitcnt vmcnt(0)
	v_cndmask_b32_e32 v32, v32, v25, vcc
	v_add_u32_e32 v30, 4, v30
	s_waitcnt lgkmcnt(0)
	v_fmac_f32_e32 v29, v32, v31
	s_andn2_b64 exec, exec, s[12:13]
	s_cbranch_execnz .LBB23_381
; %bb.382:
	s_or_b64 exec, exec, s[12:13]
.LBB23_383:
	s_or_b64 exec, exec, s[10:11]
	v_mov_b32_e32 v6, 0
	ds_read_b32 v6, v6 offset:16
	s_waitcnt lgkmcnt(0)
	v_mul_f32_e32 v6, v29, v6
.LBB23_384:
	s_or_b64 exec, exec, s[8:9]
	v_cmp_gt_u32_e64 s[6:7], 5, v0
	s_waitcnt vmcnt(19)
	ds_write_b32 v106, v7
	s_waitcnt lgkmcnt(0)
	; wave barrier
	s_and_saveexec_b64 s[10:11], s[6:7]
	s_cbranch_execz .LBB23_394
; %bb.385:
	s_and_b64 vcc, exec, s[0:1]
	s_cbranch_vccnz .LBB23_387
; %bb.386:
	v_cmp_eq_u32_e32 vcc, 1, v0
	s_waitcnt vmcnt(7)
	v_cndmask_b32_e32 v26, v2, v3, vcc
	v_cmp_eq_u32_e32 vcc, 2, v0
	v_cndmask_b32_e32 v26, v26, v4, vcc
	v_cmp_eq_u32_e32 vcc, 3, v0
	;; [unrolled: 2-line block ×16, first 2 shown]
	s_waitcnt vmcnt(6)
	v_cndmask_b32_e32 v26, v26, v19, vcc
	v_cmp_eq_u32_e32 vcc, 18, v0
	s_waitcnt vmcnt(5)
	v_cndmask_b32_e32 v26, v26, v20, vcc
	v_cmp_eq_u32_e32 vcc, 19, v0
	;; [unrolled: 3-line block ×3, first 2 shown]
	ds_read_b32 v27, v106
	s_waitcnt vmcnt(3)
	v_cndmask_b32_e32 v26, v26, v22, vcc
	v_cmp_eq_u32_e32 vcc, 21, v0
	s_waitcnt vmcnt(2)
	v_cndmask_b32_e32 v26, v26, v23, vcc
	v_cmp_eq_u32_e32 vcc, 22, v0
	;; [unrolled: 3-line block ×3, first 2 shown]
	s_waitcnt vmcnt(0)
	v_cndmask_b32_e32 v26, v26, v25, vcc
	s_waitcnt lgkmcnt(0)
	v_mul_f32_e32 v29, v26, v27
	s_cbranch_execz .LBB23_388
	s_branch .LBB23_389
.LBB23_387:
                                        ; implicit-def: $vgpr29
.LBB23_388:
	ds_read_b32 v29, v106
.LBB23_389:
	v_cmp_ne_u32_e32 vcc, 4, v0
	s_and_saveexec_b64 s[12:13], vcc
	s_cbranch_execz .LBB23_393
; %bb.390:
	v_mov_b32_e32 v26, 0x64
	v_lshl_add_u32 v30, v0, 2, v26
	v_mov_b32_e32 v27, v1
	s_mov_b64 s[14:15], 0
	v_mov_b32_e32 v26, v0
.LBB23_391:                             ; =>This Inner Loop Header: Depth=1
	v_add_co_u32_e32 v26, vcc, 1, v26
	v_addc_co_u32_e32 v27, vcc, 0, v27, vcc
	v_cmp_eq_u32_e32 vcc, 1, v26
	s_waitcnt vmcnt(7)
	v_cndmask_b32_e32 v32, v2, v3, vcc
	v_cmp_lt_u32_e32 vcc, 3, v26
	v_cmp_eq_u32_e64 s[8:9], 2, v26
	v_cndmask_b32_e64 v32, v32, v4, s[8:9]
	s_or_b64 s[14:15], vcc, s[14:15]
	v_cmp_eq_u32_e32 vcc, 3, v26
	v_cndmask_b32_e32 v32, v32, v5, vcc
	v_cmp_eq_u32_e32 vcc, 4, v26
	v_cndmask_b32_e32 v32, v32, v6, vcc
	v_cmp_eq_u32_e32 vcc, 5, v26
	v_cndmask_b32_e32 v32, v32, v7, vcc
	v_cmp_eq_u32_e32 vcc, 6, v26
	v_cndmask_b32_e32 v32, v32, v8, vcc
	v_cmp_eq_u32_e32 vcc, 7, v26
	v_cndmask_b32_e32 v32, v32, v9, vcc
	v_cmp_eq_u32_e32 vcc, 8, v26
	v_cndmask_b32_e32 v32, v32, v10, vcc
	v_cmp_eq_u32_e32 vcc, 9, v26
	v_cndmask_b32_e32 v32, v32, v11, vcc
	v_cmp_eq_u32_e32 vcc, 10, v26
	v_cndmask_b32_e32 v32, v32, v12, vcc
	v_cmp_eq_u32_e32 vcc, 11, v26
	v_cndmask_b32_e32 v32, v32, v13, vcc
	v_cmp_eq_u32_e32 vcc, 12, v26
	v_cndmask_b32_e32 v32, v32, v14, vcc
	v_cmp_eq_u32_e32 vcc, 13, v26
	v_cndmask_b32_e32 v32, v32, v15, vcc
	v_cmp_eq_u32_e32 vcc, 14, v26
	v_cndmask_b32_e32 v32, v32, v16, vcc
	v_cmp_eq_u32_e32 vcc, 15, v26
	v_cndmask_b32_e32 v32, v32, v17, vcc
	v_cmp_eq_u32_e32 vcc, 16, v26
	v_cndmask_b32_e32 v32, v32, v18, vcc
	v_cmp_eq_u32_e32 vcc, 17, v26
	s_waitcnt vmcnt(6)
	v_cndmask_b32_e32 v32, v32, v19, vcc
	v_cmp_eq_u32_e32 vcc, 18, v26
	s_waitcnt vmcnt(5)
	v_cndmask_b32_e32 v32, v32, v20, vcc
	v_cmp_eq_u32_e32 vcc, 19, v26
	ds_read_b32 v31, v30
	s_waitcnt vmcnt(4)
	v_cndmask_b32_e32 v32, v32, v21, vcc
	v_cmp_eq_u32_e32 vcc, 20, v26
	s_waitcnt vmcnt(3)
	v_cndmask_b32_e32 v32, v32, v22, vcc
	v_cmp_eq_u32_e32 vcc, 21, v26
	;; [unrolled: 3-line block ×4, first 2 shown]
	s_waitcnt vmcnt(0)
	v_cndmask_b32_e32 v32, v32, v25, vcc
	v_add_u32_e32 v30, 4, v30
	s_waitcnt lgkmcnt(0)
	v_fmac_f32_e32 v29, v32, v31
	s_andn2_b64 exec, exec, s[14:15]
	s_cbranch_execnz .LBB23_391
; %bb.392:
	s_or_b64 exec, exec, s[14:15]
.LBB23_393:
	s_or_b64 exec, exec, s[12:13]
	v_mov_b32_e32 v7, 0
	ds_read_b32 v7, v7 offset:20
	s_waitcnt lgkmcnt(0)
	v_mul_f32_e32 v7, v29, v7
.LBB23_394:
	s_or_b64 exec, exec, s[10:11]
	v_cmp_gt_u32_e32 vcc, 6, v0
	s_waitcnt vmcnt(18)
	ds_write_b32 v106, v8
	s_waitcnt lgkmcnt(0)
	; wave barrier
	s_and_saveexec_b64 s[10:11], vcc
	s_cbranch_execz .LBB23_404
; %bb.395:
	s_and_b64 vcc, exec, s[0:1]
	s_cbranch_vccnz .LBB23_397
; %bb.396:
	v_cmp_eq_u32_e32 vcc, 1, v0
	s_waitcnt vmcnt(7)
	v_cndmask_b32_e32 v26, v2, v3, vcc
	v_cmp_eq_u32_e32 vcc, 2, v0
	v_cndmask_b32_e32 v26, v26, v4, vcc
	v_cmp_eq_u32_e32 vcc, 3, v0
	;; [unrolled: 2-line block ×16, first 2 shown]
	s_waitcnt vmcnt(6)
	v_cndmask_b32_e32 v26, v26, v19, vcc
	v_cmp_eq_u32_e32 vcc, 18, v0
	s_waitcnt vmcnt(5)
	v_cndmask_b32_e32 v26, v26, v20, vcc
	v_cmp_eq_u32_e32 vcc, 19, v0
	;; [unrolled: 3-line block ×3, first 2 shown]
	ds_read_b32 v27, v106
	s_waitcnt vmcnt(3)
	v_cndmask_b32_e32 v26, v26, v22, vcc
	v_cmp_eq_u32_e32 vcc, 21, v0
	s_waitcnt vmcnt(2)
	v_cndmask_b32_e32 v26, v26, v23, vcc
	v_cmp_eq_u32_e32 vcc, 22, v0
	;; [unrolled: 3-line block ×3, first 2 shown]
	s_waitcnt vmcnt(0)
	v_cndmask_b32_e32 v26, v26, v25, vcc
	s_waitcnt lgkmcnt(0)
	v_mul_f32_e32 v29, v26, v27
	s_cbranch_execz .LBB23_398
	s_branch .LBB23_399
.LBB23_397:
                                        ; implicit-def: $vgpr29
.LBB23_398:
	ds_read_b32 v29, v106
.LBB23_399:
	v_cmp_ne_u32_e32 vcc, 5, v0
	s_and_saveexec_b64 s[12:13], vcc
	s_cbranch_execz .LBB23_403
; %bb.400:
	v_mov_b32_e32 v26, 0x64
	v_lshl_add_u32 v30, v0, 2, v26
	v_mov_b32_e32 v27, v1
	s_mov_b64 s[14:15], 0
	v_mov_b32_e32 v26, v0
.LBB23_401:                             ; =>This Inner Loop Header: Depth=1
	v_add_co_u32_e32 v26, vcc, 1, v26
	v_addc_co_u32_e32 v27, vcc, 0, v27, vcc
	v_cmp_eq_u32_e32 vcc, 1, v26
	s_waitcnt vmcnt(7)
	v_cndmask_b32_e32 v32, v2, v3, vcc
	v_cmp_lt_u32_e32 vcc, 4, v26
	v_cmp_eq_u32_e64 s[8:9], 2, v26
	v_cndmask_b32_e64 v32, v32, v4, s[8:9]
	s_or_b64 s[14:15], vcc, s[14:15]
	v_cmp_eq_u32_e32 vcc, 3, v26
	v_cndmask_b32_e32 v32, v32, v5, vcc
	v_cmp_eq_u32_e32 vcc, 4, v26
	v_cndmask_b32_e32 v32, v32, v6, vcc
	;; [unrolled: 2-line block ×14, first 2 shown]
	v_cmp_eq_u32_e32 vcc, 17, v26
	s_waitcnt vmcnt(6)
	v_cndmask_b32_e32 v32, v32, v19, vcc
	v_cmp_eq_u32_e32 vcc, 18, v26
	s_waitcnt vmcnt(5)
	v_cndmask_b32_e32 v32, v32, v20, vcc
	v_cmp_eq_u32_e32 vcc, 19, v26
	ds_read_b32 v31, v30
	s_waitcnt vmcnt(4)
	v_cndmask_b32_e32 v32, v32, v21, vcc
	v_cmp_eq_u32_e32 vcc, 20, v26
	s_waitcnt vmcnt(3)
	v_cndmask_b32_e32 v32, v32, v22, vcc
	v_cmp_eq_u32_e32 vcc, 21, v26
	;; [unrolled: 3-line block ×4, first 2 shown]
	s_waitcnt vmcnt(0)
	v_cndmask_b32_e32 v32, v32, v25, vcc
	v_add_u32_e32 v30, 4, v30
	s_waitcnt lgkmcnt(0)
	v_fmac_f32_e32 v29, v32, v31
	s_andn2_b64 exec, exec, s[14:15]
	s_cbranch_execnz .LBB23_401
; %bb.402:
	s_or_b64 exec, exec, s[14:15]
.LBB23_403:
	s_or_b64 exec, exec, s[12:13]
	v_mov_b32_e32 v8, 0
	ds_read_b32 v8, v8 offset:24
	s_waitcnt lgkmcnt(0)
	v_mul_f32_e32 v8, v29, v8
.LBB23_404:
	s_or_b64 exec, exec, s[10:11]
	v_cmp_gt_u32_e64 s[8:9], 7, v0
	s_waitcnt vmcnt(17)
	ds_write_b32 v106, v9
	s_waitcnt lgkmcnt(0)
	; wave barrier
	s_and_saveexec_b64 s[12:13], s[8:9]
	s_cbranch_execz .LBB23_414
; %bb.405:
	s_and_b64 vcc, exec, s[0:1]
	s_cbranch_vccnz .LBB23_407
; %bb.406:
	v_cmp_eq_u32_e32 vcc, 1, v0
	s_waitcnt vmcnt(7)
	v_cndmask_b32_e32 v26, v2, v3, vcc
	v_cmp_eq_u32_e32 vcc, 2, v0
	v_cndmask_b32_e32 v26, v26, v4, vcc
	v_cmp_eq_u32_e32 vcc, 3, v0
	v_cndmask_b32_e32 v26, v26, v5, vcc
	v_cmp_eq_u32_e32 vcc, 4, v0
	v_cndmask_b32_e32 v26, v26, v6, vcc
	v_cmp_eq_u32_e32 vcc, 5, v0
	v_cndmask_b32_e32 v26, v26, v7, vcc
	v_cmp_eq_u32_e32 vcc, 6, v0
	v_cndmask_b32_e32 v26, v26, v8, vcc
	v_cmp_eq_u32_e32 vcc, 7, v0
	v_cndmask_b32_e32 v26, v26, v9, vcc
	v_cmp_eq_u32_e32 vcc, 8, v0
	v_cndmask_b32_e32 v26, v26, v10, vcc
	v_cmp_eq_u32_e32 vcc, 9, v0
	v_cndmask_b32_e32 v26, v26, v11, vcc
	v_cmp_eq_u32_e32 vcc, 10, v0
	v_cndmask_b32_e32 v26, v26, v12, vcc
	v_cmp_eq_u32_e32 vcc, 11, v0
	v_cndmask_b32_e32 v26, v26, v13, vcc
	v_cmp_eq_u32_e32 vcc, 12, v0
	v_cndmask_b32_e32 v26, v26, v14, vcc
	v_cmp_eq_u32_e32 vcc, 13, v0
	v_cndmask_b32_e32 v26, v26, v15, vcc
	v_cmp_eq_u32_e32 vcc, 14, v0
	v_cndmask_b32_e32 v26, v26, v16, vcc
	v_cmp_eq_u32_e32 vcc, 15, v0
	v_cndmask_b32_e32 v26, v26, v17, vcc
	v_cmp_eq_u32_e32 vcc, 16, v0
	v_cndmask_b32_e32 v26, v26, v18, vcc
	v_cmp_eq_u32_e32 vcc, 17, v0
	s_waitcnt vmcnt(6)
	v_cndmask_b32_e32 v26, v26, v19, vcc
	v_cmp_eq_u32_e32 vcc, 18, v0
	s_waitcnt vmcnt(5)
	v_cndmask_b32_e32 v26, v26, v20, vcc
	v_cmp_eq_u32_e32 vcc, 19, v0
	;; [unrolled: 3-line block ×3, first 2 shown]
	ds_read_b32 v27, v106
	s_waitcnt vmcnt(3)
	v_cndmask_b32_e32 v26, v26, v22, vcc
	v_cmp_eq_u32_e32 vcc, 21, v0
	s_waitcnt vmcnt(2)
	v_cndmask_b32_e32 v26, v26, v23, vcc
	v_cmp_eq_u32_e32 vcc, 22, v0
	;; [unrolled: 3-line block ×3, first 2 shown]
	s_waitcnt vmcnt(0)
	v_cndmask_b32_e32 v26, v26, v25, vcc
	s_waitcnt lgkmcnt(0)
	v_mul_f32_e32 v29, v26, v27
	s_cbranch_execz .LBB23_408
	s_branch .LBB23_409
.LBB23_407:
                                        ; implicit-def: $vgpr29
.LBB23_408:
	ds_read_b32 v29, v106
.LBB23_409:
	v_cmp_ne_u32_e32 vcc, 6, v0
	s_and_saveexec_b64 s[14:15], vcc
	s_cbranch_execz .LBB23_413
; %bb.410:
	v_mov_b32_e32 v26, 0x64
	v_lshl_add_u32 v30, v0, 2, v26
	v_mov_b32_e32 v27, v1
	s_mov_b64 s[16:17], 0
	v_mov_b32_e32 v26, v0
.LBB23_411:                             ; =>This Inner Loop Header: Depth=1
	v_add_co_u32_e32 v26, vcc, 1, v26
	v_addc_co_u32_e32 v27, vcc, 0, v27, vcc
	v_cmp_eq_u32_e32 vcc, 1, v26
	s_waitcnt vmcnt(7)
	v_cndmask_b32_e32 v32, v2, v3, vcc
	v_cmp_lt_u32_e32 vcc, 5, v26
	v_cmp_eq_u32_e64 s[10:11], 2, v26
	v_cndmask_b32_e64 v32, v32, v4, s[10:11]
	s_or_b64 s[16:17], vcc, s[16:17]
	v_cmp_eq_u32_e32 vcc, 3, v26
	v_cndmask_b32_e32 v32, v32, v5, vcc
	v_cmp_eq_u32_e32 vcc, 4, v26
	v_cndmask_b32_e32 v32, v32, v6, vcc
	;; [unrolled: 2-line block ×14, first 2 shown]
	v_cmp_eq_u32_e32 vcc, 17, v26
	s_waitcnt vmcnt(6)
	v_cndmask_b32_e32 v32, v32, v19, vcc
	v_cmp_eq_u32_e32 vcc, 18, v26
	s_waitcnt vmcnt(5)
	v_cndmask_b32_e32 v32, v32, v20, vcc
	v_cmp_eq_u32_e32 vcc, 19, v26
	ds_read_b32 v31, v30
	s_waitcnt vmcnt(4)
	v_cndmask_b32_e32 v32, v32, v21, vcc
	v_cmp_eq_u32_e32 vcc, 20, v26
	s_waitcnt vmcnt(3)
	v_cndmask_b32_e32 v32, v32, v22, vcc
	v_cmp_eq_u32_e32 vcc, 21, v26
	;; [unrolled: 3-line block ×4, first 2 shown]
	s_waitcnt vmcnt(0)
	v_cndmask_b32_e32 v32, v32, v25, vcc
	v_add_u32_e32 v30, 4, v30
	s_waitcnt lgkmcnt(0)
	v_fmac_f32_e32 v29, v32, v31
	s_andn2_b64 exec, exec, s[16:17]
	s_cbranch_execnz .LBB23_411
; %bb.412:
	s_or_b64 exec, exec, s[16:17]
.LBB23_413:
	s_or_b64 exec, exec, s[14:15]
	v_mov_b32_e32 v9, 0
	ds_read_b32 v9, v9 offset:28
	s_waitcnt lgkmcnt(0)
	v_mul_f32_e32 v9, v29, v9
.LBB23_414:
	s_or_b64 exec, exec, s[12:13]
	v_cmp_gt_u32_e32 vcc, 8, v0
	s_waitcnt vmcnt(16)
	ds_write_b32 v106, v10
	s_waitcnt lgkmcnt(0)
	; wave barrier
	s_and_saveexec_b64 s[12:13], vcc
	s_cbranch_execz .LBB23_424
; %bb.415:
	s_and_b64 vcc, exec, s[0:1]
	s_cbranch_vccnz .LBB23_417
; %bb.416:
	v_cmp_eq_u32_e32 vcc, 1, v0
	s_waitcnt vmcnt(7)
	v_cndmask_b32_e32 v26, v2, v3, vcc
	v_cmp_eq_u32_e32 vcc, 2, v0
	v_cndmask_b32_e32 v26, v26, v4, vcc
	v_cmp_eq_u32_e32 vcc, 3, v0
	;; [unrolled: 2-line block ×16, first 2 shown]
	s_waitcnt vmcnt(6)
	v_cndmask_b32_e32 v26, v26, v19, vcc
	v_cmp_eq_u32_e32 vcc, 18, v0
	s_waitcnt vmcnt(5)
	v_cndmask_b32_e32 v26, v26, v20, vcc
	v_cmp_eq_u32_e32 vcc, 19, v0
	;; [unrolled: 3-line block ×3, first 2 shown]
	ds_read_b32 v27, v106
	s_waitcnt vmcnt(3)
	v_cndmask_b32_e32 v26, v26, v22, vcc
	v_cmp_eq_u32_e32 vcc, 21, v0
	s_waitcnt vmcnt(2)
	v_cndmask_b32_e32 v26, v26, v23, vcc
	v_cmp_eq_u32_e32 vcc, 22, v0
	;; [unrolled: 3-line block ×3, first 2 shown]
	s_waitcnt vmcnt(0)
	v_cndmask_b32_e32 v26, v26, v25, vcc
	s_waitcnt lgkmcnt(0)
	v_mul_f32_e32 v29, v26, v27
	s_cbranch_execz .LBB23_418
	s_branch .LBB23_419
.LBB23_417:
                                        ; implicit-def: $vgpr29
.LBB23_418:
	ds_read_b32 v29, v106
.LBB23_419:
	v_cmp_ne_u32_e32 vcc, 7, v0
	s_and_saveexec_b64 s[14:15], vcc
	s_cbranch_execz .LBB23_423
; %bb.420:
	v_mov_b32_e32 v26, 0x64
	v_lshl_add_u32 v30, v0, 2, v26
	v_mov_b32_e32 v27, v1
	s_mov_b64 s[16:17], 0
	v_mov_b32_e32 v26, v0
.LBB23_421:                             ; =>This Inner Loop Header: Depth=1
	v_add_co_u32_e32 v26, vcc, 1, v26
	v_addc_co_u32_e32 v27, vcc, 0, v27, vcc
	v_cmp_eq_u32_e32 vcc, 1, v26
	s_waitcnt vmcnt(7)
	v_cndmask_b32_e32 v32, v2, v3, vcc
	v_cmp_lt_u32_e32 vcc, 6, v26
	v_cmp_eq_u32_e64 s[10:11], 2, v26
	v_cndmask_b32_e64 v32, v32, v4, s[10:11]
	s_or_b64 s[16:17], vcc, s[16:17]
	v_cmp_eq_u32_e32 vcc, 3, v26
	v_cndmask_b32_e32 v32, v32, v5, vcc
	v_cmp_eq_u32_e32 vcc, 4, v26
	v_cndmask_b32_e32 v32, v32, v6, vcc
	;; [unrolled: 2-line block ×14, first 2 shown]
	v_cmp_eq_u32_e32 vcc, 17, v26
	s_waitcnt vmcnt(6)
	v_cndmask_b32_e32 v32, v32, v19, vcc
	v_cmp_eq_u32_e32 vcc, 18, v26
	s_waitcnt vmcnt(5)
	v_cndmask_b32_e32 v32, v32, v20, vcc
	v_cmp_eq_u32_e32 vcc, 19, v26
	ds_read_b32 v31, v30
	s_waitcnt vmcnt(4)
	v_cndmask_b32_e32 v32, v32, v21, vcc
	v_cmp_eq_u32_e32 vcc, 20, v26
	s_waitcnt vmcnt(3)
	v_cndmask_b32_e32 v32, v32, v22, vcc
	v_cmp_eq_u32_e32 vcc, 21, v26
	;; [unrolled: 3-line block ×4, first 2 shown]
	s_waitcnt vmcnt(0)
	v_cndmask_b32_e32 v32, v32, v25, vcc
	v_add_u32_e32 v30, 4, v30
	s_waitcnt lgkmcnt(0)
	v_fmac_f32_e32 v29, v32, v31
	s_andn2_b64 exec, exec, s[16:17]
	s_cbranch_execnz .LBB23_421
; %bb.422:
	s_or_b64 exec, exec, s[16:17]
.LBB23_423:
	s_or_b64 exec, exec, s[14:15]
	v_mov_b32_e32 v10, 0
	ds_read_b32 v10, v10 offset:32
	s_waitcnt lgkmcnt(0)
	v_mul_f32_e32 v10, v29, v10
.LBB23_424:
	s_or_b64 exec, exec, s[12:13]
	v_cmp_gt_u32_e32 vcc, 9, v0
	s_waitcnt vmcnt(15)
	ds_write_b32 v106, v11
	s_waitcnt lgkmcnt(0)
	; wave barrier
	s_and_saveexec_b64 s[10:11], vcc
	s_cbranch_execz .LBB23_446
; %bb.425:
	s_and_b64 vcc, exec, s[0:1]
	s_cbranch_vccnz .LBB23_427
; %bb.426:
	v_cmp_eq_u32_e32 vcc, 1, v0
	s_waitcnt vmcnt(7)
	v_cndmask_b32_e32 v26, v2, v3, vcc
	v_cmp_eq_u32_e32 vcc, 2, v0
	v_cndmask_b32_e32 v26, v26, v4, vcc
	v_cmp_eq_u32_e32 vcc, 3, v0
	;; [unrolled: 2-line block ×16, first 2 shown]
	s_waitcnt vmcnt(6)
	v_cndmask_b32_e32 v26, v26, v19, vcc
	v_cmp_eq_u32_e32 vcc, 18, v0
	s_waitcnt vmcnt(5)
	v_cndmask_b32_e32 v26, v26, v20, vcc
	v_cmp_eq_u32_e32 vcc, 19, v0
	;; [unrolled: 3-line block ×3, first 2 shown]
	ds_read_b32 v27, v106
	s_waitcnt vmcnt(3)
	v_cndmask_b32_e32 v26, v26, v22, vcc
	v_cmp_eq_u32_e32 vcc, 21, v0
	s_waitcnt vmcnt(2)
	v_cndmask_b32_e32 v26, v26, v23, vcc
	v_cmp_eq_u32_e32 vcc, 22, v0
	;; [unrolled: 3-line block ×3, first 2 shown]
	s_waitcnt vmcnt(0)
	v_cndmask_b32_e32 v26, v26, v25, vcc
	s_waitcnt lgkmcnt(0)
	v_mul_f32_e32 v26, v26, v27
	s_cbranch_execz .LBB23_428
	s_branch .LBB23_429
.LBB23_427:
                                        ; implicit-def: $vgpr26
.LBB23_428:
	ds_read_b32 v26, v106
.LBB23_429:
	v_cmp_ne_u32_e32 vcc, 8, v0
	s_and_saveexec_b64 s[12:13], vcc
	s_cbranch_execz .LBB23_445
; %bb.430:
	v_cmp_eq_u32_e32 vcc, 1, v28
	s_waitcnt vmcnt(7)
	v_cndmask_b32_e32 v27, v2, v3, vcc
	v_cmp_eq_u32_e32 vcc, 2, v28
	v_cndmask_b32_e32 v27, v27, v4, vcc
	v_cmp_eq_u32_e32 vcc, 3, v28
	;; [unrolled: 2-line block ×16, first 2 shown]
	s_waitcnt vmcnt(6)
	v_cndmask_b32_e32 v27, v27, v19, vcc
	v_cmp_eq_u32_e32 vcc, 18, v28
	s_waitcnt vmcnt(5)
	v_cndmask_b32_e32 v27, v27, v20, vcc
	v_cmp_eq_u32_e32 vcc, 19, v28
	;; [unrolled: 3-line block ×3, first 2 shown]
	ds_read_b32 v29, v106 offset:4
	s_waitcnt vmcnt(3)
	v_cndmask_b32_e32 v27, v27, v22, vcc
	v_cmp_eq_u32_e32 vcc, 21, v28
	s_waitcnt vmcnt(2)
	v_cndmask_b32_e32 v27, v27, v23, vcc
	v_cmp_eq_u32_e32 vcc, 22, v28
	;; [unrolled: 3-line block ×3, first 2 shown]
	s_waitcnt vmcnt(0)
	v_cndmask_b32_e32 v27, v27, v25, vcc
	s_waitcnt lgkmcnt(0)
	v_fmac_f32_e32 v26, v27, v29
	s_and_saveexec_b64 s[14:15], s[8:9]
	s_cbranch_execz .LBB23_444
; %bb.431:
	v_add_u32_e32 v27, 2, v0
	v_cmp_eq_u32_e32 vcc, 1, v27
	v_cndmask_b32_e32 v28, v2, v3, vcc
	v_cmp_eq_u32_e32 vcc, 2, v27
	v_cndmask_b32_e32 v28, v28, v4, vcc
	;; [unrolled: 2-line block ×19, first 2 shown]
	v_cmp_eq_u32_e32 vcc, 20, v27
	ds_read_b32 v29, v106 offset:8
	v_cndmask_b32_e32 v28, v28, v22, vcc
	v_cmp_eq_u32_e32 vcc, 21, v27
	v_cndmask_b32_e32 v28, v28, v23, vcc
	v_cmp_eq_u32_e32 vcc, 22, v27
	;; [unrolled: 2-line block ×3, first 2 shown]
	v_cndmask_b32_e32 v27, v28, v25, vcc
	s_waitcnt lgkmcnt(0)
	v_fmac_f32_e32 v26, v27, v29
	v_cmp_ne_u32_e32 vcc, 6, v0
	s_and_saveexec_b64 s[8:9], vcc
	s_cbranch_execz .LBB23_443
; %bb.432:
	v_add_u32_e32 v27, 3, v0
	v_cmp_eq_u32_e32 vcc, 1, v27
	v_cndmask_b32_e32 v28, v2, v3, vcc
	v_cmp_eq_u32_e32 vcc, 2, v27
	v_cndmask_b32_e32 v28, v28, v4, vcc
	;; [unrolled: 2-line block ×19, first 2 shown]
	v_cmp_eq_u32_e32 vcc, 20, v27
	ds_read_b32 v29, v106 offset:12
	v_cndmask_b32_e32 v28, v28, v22, vcc
	v_cmp_eq_u32_e32 vcc, 21, v27
	v_cndmask_b32_e32 v28, v28, v23, vcc
	v_cmp_eq_u32_e32 vcc, 22, v27
	;; [unrolled: 2-line block ×3, first 2 shown]
	v_cndmask_b32_e32 v27, v28, v25, vcc
	s_waitcnt lgkmcnt(0)
	v_fmac_f32_e32 v26, v27, v29
	s_and_saveexec_b64 s[16:17], s[6:7]
	s_cbranch_execz .LBB23_442
; %bb.433:
	v_add_u32_e32 v27, 4, v0
	v_cmp_eq_u32_e32 vcc, 1, v27
	v_cndmask_b32_e32 v28, v2, v3, vcc
	v_cmp_eq_u32_e32 vcc, 2, v27
	v_cndmask_b32_e32 v28, v28, v4, vcc
	;; [unrolled: 2-line block ×19, first 2 shown]
	v_cmp_eq_u32_e32 vcc, 20, v27
	ds_read_b32 v29, v106 offset:16
	v_cndmask_b32_e32 v28, v28, v22, vcc
	v_cmp_eq_u32_e32 vcc, 21, v27
	v_cndmask_b32_e32 v28, v28, v23, vcc
	v_cmp_eq_u32_e32 vcc, 22, v27
	;; [unrolled: 2-line block ×3, first 2 shown]
	v_cndmask_b32_e32 v27, v28, v25, vcc
	s_waitcnt lgkmcnt(0)
	v_fmac_f32_e32 v26, v27, v29
	v_cmp_ne_u32_e32 vcc, 4, v0
	s_and_saveexec_b64 s[6:7], vcc
	s_cbranch_execz .LBB23_441
; %bb.434:
	v_add_u32_e32 v27, 5, v0
	v_cmp_eq_u32_e32 vcc, 1, v27
	v_cndmask_b32_e32 v28, v2, v3, vcc
	v_cmp_eq_u32_e32 vcc, 2, v27
	v_cndmask_b32_e32 v28, v28, v4, vcc
	;; [unrolled: 2-line block ×19, first 2 shown]
	v_cmp_eq_u32_e32 vcc, 20, v27
	ds_read_b32 v29, v106 offset:20
	v_cndmask_b32_e32 v28, v28, v22, vcc
	v_cmp_eq_u32_e32 vcc, 21, v27
	v_cndmask_b32_e32 v28, v28, v23, vcc
	v_cmp_eq_u32_e32 vcc, 22, v27
	;; [unrolled: 2-line block ×3, first 2 shown]
	v_cndmask_b32_e32 v27, v28, v25, vcc
	s_waitcnt lgkmcnt(0)
	v_fmac_f32_e32 v26, v27, v29
	s_and_saveexec_b64 s[18:19], s[4:5]
	s_cbranch_execz .LBB23_440
; %bb.435:
	v_add_u32_e32 v27, 6, v0
	v_cmp_eq_u32_e32 vcc, 1, v27
	v_cndmask_b32_e32 v28, v2, v3, vcc
	v_cmp_eq_u32_e32 vcc, 2, v27
	v_cndmask_b32_e32 v28, v28, v4, vcc
	;; [unrolled: 2-line block ×19, first 2 shown]
	v_cmp_eq_u32_e32 vcc, 20, v27
	ds_read_b32 v29, v106 offset:24
	v_cndmask_b32_e32 v28, v28, v22, vcc
	v_cmp_eq_u32_e32 vcc, 21, v27
	v_cndmask_b32_e32 v28, v28, v23, vcc
	v_cmp_eq_u32_e32 vcc, 22, v27
	;; [unrolled: 2-line block ×3, first 2 shown]
	v_cndmask_b32_e32 v27, v28, v25, vcc
	s_waitcnt lgkmcnt(0)
	v_fmac_f32_e32 v26, v27, v29
	v_cmp_ne_u32_e32 vcc, 2, v0
	s_and_saveexec_b64 s[4:5], vcc
	s_cbranch_execz .LBB23_439
; %bb.436:
	v_add_u32_e32 v27, 7, v0
	v_cmp_eq_u32_e32 vcc, 1, v27
	v_cndmask_b32_e32 v28, v2, v3, vcc
	v_cmp_eq_u32_e32 vcc, 2, v27
	v_cndmask_b32_e32 v28, v28, v4, vcc
	;; [unrolled: 2-line block ×19, first 2 shown]
	v_cmp_eq_u32_e32 vcc, 20, v27
	ds_read_b32 v28, v106 offset:28
	v_cndmask_b32_e32 v11, v11, v22, vcc
	v_cmp_eq_u32_e32 vcc, 21, v27
	v_cndmask_b32_e32 v11, v11, v23, vcc
	v_cmp_eq_u32_e32 vcc, 22, v27
	;; [unrolled: 2-line block ×3, first 2 shown]
	v_cndmask_b32_e32 v11, v11, v25, vcc
	s_waitcnt lgkmcnt(0)
	v_fmac_f32_e32 v26, v11, v28
	s_and_saveexec_b64 s[20:21], s[2:3]
	s_cbranch_execz .LBB23_438
; %bb.437:
	ds_read_b32 v11, v106 offset:32
	s_waitcnt lgkmcnt(0)
	v_fmac_f32_e32 v26, v10, v11
.LBB23_438:
	s_or_b64 exec, exec, s[20:21]
.LBB23_439:
	s_or_b64 exec, exec, s[4:5]
.LBB23_440:
	s_or_b64 exec, exec, s[18:19]
.LBB23_441:
	s_or_b64 exec, exec, s[6:7]
.LBB23_442:
	s_or_b64 exec, exec, s[16:17]
.LBB23_443:
	s_or_b64 exec, exec, s[8:9]
.LBB23_444:
	s_or_b64 exec, exec, s[14:15]
.LBB23_445:
	s_or_b64 exec, exec, s[12:13]
	v_mov_b32_e32 v11, 0
	ds_read_b32 v11, v11 offset:36
	s_waitcnt lgkmcnt(0)
	v_mul_f32_e32 v11, v26, v11
.LBB23_446:
	s_or_b64 exec, exec, s[10:11]
	v_cmp_gt_u32_e32 vcc, 10, v0
	s_waitcnt vmcnt(14)
	ds_write_b32 v106, v12
	s_waitcnt lgkmcnt(0)
	; wave barrier
	s_and_saveexec_b64 s[4:5], vcc
	s_cbranch_execz .LBB23_456
; %bb.447:
	s_and_b64 vcc, exec, s[0:1]
	s_cbranch_vccnz .LBB23_449
; %bb.448:
	v_cmp_eq_u32_e32 vcc, 1, v0
	s_waitcnt vmcnt(7)
	v_cndmask_b32_e32 v26, v2, v3, vcc
	v_cmp_eq_u32_e32 vcc, 2, v0
	v_cndmask_b32_e32 v26, v26, v4, vcc
	v_cmp_eq_u32_e32 vcc, 3, v0
	;; [unrolled: 2-line block ×16, first 2 shown]
	s_waitcnt vmcnt(6)
	v_cndmask_b32_e32 v26, v26, v19, vcc
	v_cmp_eq_u32_e32 vcc, 18, v0
	s_waitcnt vmcnt(5)
	v_cndmask_b32_e32 v26, v26, v20, vcc
	v_cmp_eq_u32_e32 vcc, 19, v0
	;; [unrolled: 3-line block ×3, first 2 shown]
	ds_read_b32 v27, v106
	s_waitcnt vmcnt(3)
	v_cndmask_b32_e32 v26, v26, v22, vcc
	v_cmp_eq_u32_e32 vcc, 21, v0
	s_waitcnt vmcnt(2)
	v_cndmask_b32_e32 v26, v26, v23, vcc
	v_cmp_eq_u32_e32 vcc, 22, v0
	;; [unrolled: 3-line block ×3, first 2 shown]
	s_waitcnt vmcnt(0)
	v_cndmask_b32_e32 v26, v26, v25, vcc
	s_waitcnt lgkmcnt(0)
	v_mul_f32_e32 v28, v26, v27
	s_cbranch_execz .LBB23_450
	s_branch .LBB23_451
.LBB23_449:
                                        ; implicit-def: $vgpr28
.LBB23_450:
	ds_read_b32 v28, v106
.LBB23_451:
	v_cmp_ne_u32_e32 vcc, 9, v0
	s_and_saveexec_b64 s[6:7], vcc
	s_cbranch_execz .LBB23_455
; %bb.452:
	v_mov_b32_e32 v26, 0x64
	v_lshl_add_u32 v29, v0, 2, v26
	v_mov_b32_e32 v27, v1
	s_mov_b64 s[8:9], 0
	v_mov_b32_e32 v26, v0
.LBB23_453:                             ; =>This Inner Loop Header: Depth=1
	v_add_co_u32_e32 v26, vcc, 1, v26
	v_addc_co_u32_e32 v27, vcc, 0, v27, vcc
	v_cmp_eq_u32_e32 vcc, 1, v26
	s_waitcnt vmcnt(7)
	v_cndmask_b32_e32 v31, v2, v3, vcc
	v_cmp_lt_u32_e32 vcc, 8, v26
	v_cmp_eq_u32_e64 s[2:3], 2, v26
	v_cndmask_b32_e64 v31, v31, v4, s[2:3]
	s_or_b64 s[8:9], vcc, s[8:9]
	v_cmp_eq_u32_e32 vcc, 3, v26
	v_cndmask_b32_e32 v31, v31, v5, vcc
	v_cmp_eq_u32_e32 vcc, 4, v26
	v_cndmask_b32_e32 v31, v31, v6, vcc
	;; [unrolled: 2-line block ×14, first 2 shown]
	v_cmp_eq_u32_e32 vcc, 17, v26
	s_waitcnt vmcnt(6)
	v_cndmask_b32_e32 v31, v31, v19, vcc
	v_cmp_eq_u32_e32 vcc, 18, v26
	s_waitcnt vmcnt(5)
	v_cndmask_b32_e32 v31, v31, v20, vcc
	v_cmp_eq_u32_e32 vcc, 19, v26
	ds_read_b32 v30, v29
	s_waitcnt vmcnt(4)
	v_cndmask_b32_e32 v31, v31, v21, vcc
	v_cmp_eq_u32_e32 vcc, 20, v26
	s_waitcnt vmcnt(3)
	v_cndmask_b32_e32 v31, v31, v22, vcc
	v_cmp_eq_u32_e32 vcc, 21, v26
	;; [unrolled: 3-line block ×4, first 2 shown]
	s_waitcnt vmcnt(0)
	v_cndmask_b32_e32 v31, v31, v25, vcc
	v_add_u32_e32 v29, 4, v29
	s_waitcnt lgkmcnt(0)
	v_fmac_f32_e32 v28, v31, v30
	s_andn2_b64 exec, exec, s[8:9]
	s_cbranch_execnz .LBB23_453
; %bb.454:
	s_or_b64 exec, exec, s[8:9]
.LBB23_455:
	s_or_b64 exec, exec, s[6:7]
	v_mov_b32_e32 v12, 0
	ds_read_b32 v12, v12 offset:40
	s_waitcnt lgkmcnt(0)
	v_mul_f32_e32 v12, v28, v12
.LBB23_456:
	s_or_b64 exec, exec, s[4:5]
	v_cmp_gt_u32_e32 vcc, 11, v0
	s_waitcnt vmcnt(13)
	ds_write_b32 v106, v13
	s_waitcnt lgkmcnt(0)
	; wave barrier
	s_and_saveexec_b64 s[4:5], vcc
	s_cbranch_execz .LBB23_466
; %bb.457:
	s_and_b64 vcc, exec, s[0:1]
	s_cbranch_vccnz .LBB23_459
; %bb.458:
	v_cmp_eq_u32_e32 vcc, 1, v0
	s_waitcnt vmcnt(7)
	v_cndmask_b32_e32 v26, v2, v3, vcc
	v_cmp_eq_u32_e32 vcc, 2, v0
	v_cndmask_b32_e32 v26, v26, v4, vcc
	v_cmp_eq_u32_e32 vcc, 3, v0
	;; [unrolled: 2-line block ×16, first 2 shown]
	s_waitcnt vmcnt(6)
	v_cndmask_b32_e32 v26, v26, v19, vcc
	v_cmp_eq_u32_e32 vcc, 18, v0
	s_waitcnt vmcnt(5)
	v_cndmask_b32_e32 v26, v26, v20, vcc
	v_cmp_eq_u32_e32 vcc, 19, v0
	;; [unrolled: 3-line block ×3, first 2 shown]
	ds_read_b32 v27, v106
	s_waitcnt vmcnt(3)
	v_cndmask_b32_e32 v26, v26, v22, vcc
	v_cmp_eq_u32_e32 vcc, 21, v0
	s_waitcnt vmcnt(2)
	v_cndmask_b32_e32 v26, v26, v23, vcc
	v_cmp_eq_u32_e32 vcc, 22, v0
	;; [unrolled: 3-line block ×3, first 2 shown]
	s_waitcnt vmcnt(0)
	v_cndmask_b32_e32 v26, v26, v25, vcc
	s_waitcnt lgkmcnt(0)
	v_mul_f32_e32 v28, v26, v27
	s_cbranch_execz .LBB23_460
	s_branch .LBB23_461
.LBB23_459:
                                        ; implicit-def: $vgpr28
.LBB23_460:
	ds_read_b32 v28, v106
.LBB23_461:
	v_cmp_ne_u32_e32 vcc, 10, v0
	s_and_saveexec_b64 s[6:7], vcc
	s_cbranch_execz .LBB23_465
; %bb.462:
	v_mov_b32_e32 v26, 0x64
	v_lshl_add_u32 v29, v0, 2, v26
	v_mov_b32_e32 v27, v1
	s_mov_b64 s[8:9], 0
	v_mov_b32_e32 v26, v0
.LBB23_463:                             ; =>This Inner Loop Header: Depth=1
	v_add_co_u32_e32 v26, vcc, 1, v26
	v_addc_co_u32_e32 v27, vcc, 0, v27, vcc
	v_cmp_eq_u32_e32 vcc, 1, v26
	s_waitcnt vmcnt(7)
	v_cndmask_b32_e32 v31, v2, v3, vcc
	v_cmp_lt_u32_e32 vcc, 9, v26
	v_cmp_eq_u32_e64 s[2:3], 2, v26
	v_cndmask_b32_e64 v31, v31, v4, s[2:3]
	s_or_b64 s[8:9], vcc, s[8:9]
	v_cmp_eq_u32_e32 vcc, 3, v26
	v_cndmask_b32_e32 v31, v31, v5, vcc
	v_cmp_eq_u32_e32 vcc, 4, v26
	v_cndmask_b32_e32 v31, v31, v6, vcc
	v_cmp_eq_u32_e32 vcc, 5, v26
	v_cndmask_b32_e32 v31, v31, v7, vcc
	v_cmp_eq_u32_e32 vcc, 6, v26
	v_cndmask_b32_e32 v31, v31, v8, vcc
	v_cmp_eq_u32_e32 vcc, 7, v26
	v_cndmask_b32_e32 v31, v31, v9, vcc
	v_cmp_eq_u32_e32 vcc, 8, v26
	v_cndmask_b32_e32 v31, v31, v10, vcc
	v_cmp_eq_u32_e32 vcc, 9, v26
	v_cndmask_b32_e32 v31, v31, v11, vcc
	v_cmp_eq_u32_e32 vcc, 10, v26
	v_cndmask_b32_e32 v31, v31, v12, vcc
	v_cmp_eq_u32_e32 vcc, 11, v26
	v_cndmask_b32_e32 v31, v31, v13, vcc
	v_cmp_eq_u32_e32 vcc, 12, v26
	v_cndmask_b32_e32 v31, v31, v14, vcc
	v_cmp_eq_u32_e32 vcc, 13, v26
	v_cndmask_b32_e32 v31, v31, v15, vcc
	v_cmp_eq_u32_e32 vcc, 14, v26
	v_cndmask_b32_e32 v31, v31, v16, vcc
	v_cmp_eq_u32_e32 vcc, 15, v26
	v_cndmask_b32_e32 v31, v31, v17, vcc
	v_cmp_eq_u32_e32 vcc, 16, v26
	v_cndmask_b32_e32 v31, v31, v18, vcc
	v_cmp_eq_u32_e32 vcc, 17, v26
	s_waitcnt vmcnt(6)
	v_cndmask_b32_e32 v31, v31, v19, vcc
	v_cmp_eq_u32_e32 vcc, 18, v26
	s_waitcnt vmcnt(5)
	v_cndmask_b32_e32 v31, v31, v20, vcc
	v_cmp_eq_u32_e32 vcc, 19, v26
	ds_read_b32 v30, v29
	s_waitcnt vmcnt(4)
	v_cndmask_b32_e32 v31, v31, v21, vcc
	v_cmp_eq_u32_e32 vcc, 20, v26
	s_waitcnt vmcnt(3)
	v_cndmask_b32_e32 v31, v31, v22, vcc
	v_cmp_eq_u32_e32 vcc, 21, v26
	;; [unrolled: 3-line block ×4, first 2 shown]
	s_waitcnt vmcnt(0)
	v_cndmask_b32_e32 v31, v31, v25, vcc
	v_add_u32_e32 v29, 4, v29
	s_waitcnt lgkmcnt(0)
	v_fmac_f32_e32 v28, v31, v30
	s_andn2_b64 exec, exec, s[8:9]
	s_cbranch_execnz .LBB23_463
; %bb.464:
	s_or_b64 exec, exec, s[8:9]
.LBB23_465:
	s_or_b64 exec, exec, s[6:7]
	v_mov_b32_e32 v13, 0
	ds_read_b32 v13, v13 offset:44
	s_waitcnt lgkmcnt(0)
	v_mul_f32_e32 v13, v28, v13
.LBB23_466:
	s_or_b64 exec, exec, s[4:5]
	v_cmp_gt_u32_e32 vcc, 12, v0
	s_waitcnt vmcnt(12)
	ds_write_b32 v106, v14
	s_waitcnt lgkmcnt(0)
	; wave barrier
	s_and_saveexec_b64 s[4:5], vcc
	s_cbranch_execz .LBB23_476
; %bb.467:
	s_and_b64 vcc, exec, s[0:1]
	s_cbranch_vccnz .LBB23_469
; %bb.468:
	v_cmp_eq_u32_e32 vcc, 1, v0
	s_waitcnt vmcnt(7)
	v_cndmask_b32_e32 v26, v2, v3, vcc
	v_cmp_eq_u32_e32 vcc, 2, v0
	v_cndmask_b32_e32 v26, v26, v4, vcc
	v_cmp_eq_u32_e32 vcc, 3, v0
	;; [unrolled: 2-line block ×16, first 2 shown]
	s_waitcnt vmcnt(6)
	v_cndmask_b32_e32 v26, v26, v19, vcc
	v_cmp_eq_u32_e32 vcc, 18, v0
	s_waitcnt vmcnt(5)
	v_cndmask_b32_e32 v26, v26, v20, vcc
	v_cmp_eq_u32_e32 vcc, 19, v0
	;; [unrolled: 3-line block ×3, first 2 shown]
	ds_read_b32 v27, v106
	s_waitcnt vmcnt(3)
	v_cndmask_b32_e32 v26, v26, v22, vcc
	v_cmp_eq_u32_e32 vcc, 21, v0
	s_waitcnt vmcnt(2)
	v_cndmask_b32_e32 v26, v26, v23, vcc
	v_cmp_eq_u32_e32 vcc, 22, v0
	;; [unrolled: 3-line block ×3, first 2 shown]
	s_waitcnt vmcnt(0)
	v_cndmask_b32_e32 v26, v26, v25, vcc
	s_waitcnt lgkmcnt(0)
	v_mul_f32_e32 v28, v26, v27
	s_cbranch_execz .LBB23_470
	s_branch .LBB23_471
.LBB23_469:
                                        ; implicit-def: $vgpr28
.LBB23_470:
	ds_read_b32 v28, v106
.LBB23_471:
	v_cmp_ne_u32_e32 vcc, 11, v0
	s_and_saveexec_b64 s[6:7], vcc
	s_cbranch_execz .LBB23_475
; %bb.472:
	v_mov_b32_e32 v26, 0x64
	v_lshl_add_u32 v29, v0, 2, v26
	v_mov_b32_e32 v27, v1
	s_mov_b64 s[8:9], 0
	v_mov_b32_e32 v26, v0
.LBB23_473:                             ; =>This Inner Loop Header: Depth=1
	v_add_co_u32_e32 v26, vcc, 1, v26
	v_addc_co_u32_e32 v27, vcc, 0, v27, vcc
	v_cmp_eq_u32_e32 vcc, 1, v26
	s_waitcnt vmcnt(7)
	v_cndmask_b32_e32 v31, v2, v3, vcc
	v_cmp_lt_u32_e32 vcc, 10, v26
	v_cmp_eq_u32_e64 s[2:3], 2, v26
	v_cndmask_b32_e64 v31, v31, v4, s[2:3]
	s_or_b64 s[8:9], vcc, s[8:9]
	v_cmp_eq_u32_e32 vcc, 3, v26
	v_cndmask_b32_e32 v31, v31, v5, vcc
	v_cmp_eq_u32_e32 vcc, 4, v26
	v_cndmask_b32_e32 v31, v31, v6, vcc
	;; [unrolled: 2-line block ×14, first 2 shown]
	v_cmp_eq_u32_e32 vcc, 17, v26
	s_waitcnt vmcnt(6)
	v_cndmask_b32_e32 v31, v31, v19, vcc
	v_cmp_eq_u32_e32 vcc, 18, v26
	s_waitcnt vmcnt(5)
	v_cndmask_b32_e32 v31, v31, v20, vcc
	v_cmp_eq_u32_e32 vcc, 19, v26
	ds_read_b32 v30, v29
	s_waitcnt vmcnt(4)
	v_cndmask_b32_e32 v31, v31, v21, vcc
	v_cmp_eq_u32_e32 vcc, 20, v26
	s_waitcnt vmcnt(3)
	v_cndmask_b32_e32 v31, v31, v22, vcc
	v_cmp_eq_u32_e32 vcc, 21, v26
	;; [unrolled: 3-line block ×4, first 2 shown]
	s_waitcnt vmcnt(0)
	v_cndmask_b32_e32 v31, v31, v25, vcc
	v_add_u32_e32 v29, 4, v29
	s_waitcnt lgkmcnt(0)
	v_fmac_f32_e32 v28, v31, v30
	s_andn2_b64 exec, exec, s[8:9]
	s_cbranch_execnz .LBB23_473
; %bb.474:
	s_or_b64 exec, exec, s[8:9]
.LBB23_475:
	s_or_b64 exec, exec, s[6:7]
	v_mov_b32_e32 v14, 0
	ds_read_b32 v14, v14 offset:48
	s_waitcnt lgkmcnt(0)
	v_mul_f32_e32 v14, v28, v14
.LBB23_476:
	s_or_b64 exec, exec, s[4:5]
	v_cmp_gt_u32_e32 vcc, 13, v0
	s_waitcnt vmcnt(11)
	ds_write_b32 v106, v15
	s_waitcnt lgkmcnt(0)
	; wave barrier
	s_and_saveexec_b64 s[4:5], vcc
	s_cbranch_execz .LBB23_486
; %bb.477:
	s_and_b64 vcc, exec, s[0:1]
	s_cbranch_vccnz .LBB23_479
; %bb.478:
	v_cmp_eq_u32_e32 vcc, 1, v0
	s_waitcnt vmcnt(7)
	v_cndmask_b32_e32 v26, v2, v3, vcc
	v_cmp_eq_u32_e32 vcc, 2, v0
	v_cndmask_b32_e32 v26, v26, v4, vcc
	v_cmp_eq_u32_e32 vcc, 3, v0
	;; [unrolled: 2-line block ×16, first 2 shown]
	s_waitcnt vmcnt(6)
	v_cndmask_b32_e32 v26, v26, v19, vcc
	v_cmp_eq_u32_e32 vcc, 18, v0
	s_waitcnt vmcnt(5)
	v_cndmask_b32_e32 v26, v26, v20, vcc
	v_cmp_eq_u32_e32 vcc, 19, v0
	;; [unrolled: 3-line block ×3, first 2 shown]
	ds_read_b32 v27, v106
	s_waitcnt vmcnt(3)
	v_cndmask_b32_e32 v26, v26, v22, vcc
	v_cmp_eq_u32_e32 vcc, 21, v0
	s_waitcnt vmcnt(2)
	v_cndmask_b32_e32 v26, v26, v23, vcc
	v_cmp_eq_u32_e32 vcc, 22, v0
	;; [unrolled: 3-line block ×3, first 2 shown]
	s_waitcnt vmcnt(0)
	v_cndmask_b32_e32 v26, v26, v25, vcc
	s_waitcnt lgkmcnt(0)
	v_mul_f32_e32 v28, v26, v27
	s_cbranch_execz .LBB23_480
	s_branch .LBB23_481
.LBB23_479:
                                        ; implicit-def: $vgpr28
.LBB23_480:
	ds_read_b32 v28, v106
.LBB23_481:
	v_cmp_ne_u32_e32 vcc, 12, v0
	s_and_saveexec_b64 s[6:7], vcc
	s_cbranch_execz .LBB23_485
; %bb.482:
	v_mov_b32_e32 v26, 0x64
	v_lshl_add_u32 v29, v0, 2, v26
	v_mov_b32_e32 v27, v1
	s_mov_b64 s[8:9], 0
	v_mov_b32_e32 v26, v0
.LBB23_483:                             ; =>This Inner Loop Header: Depth=1
	v_add_co_u32_e32 v26, vcc, 1, v26
	v_addc_co_u32_e32 v27, vcc, 0, v27, vcc
	v_cmp_eq_u32_e32 vcc, 1, v26
	s_waitcnt vmcnt(7)
	v_cndmask_b32_e32 v31, v2, v3, vcc
	v_cmp_lt_u32_e32 vcc, 11, v26
	v_cmp_eq_u32_e64 s[2:3], 2, v26
	v_cndmask_b32_e64 v31, v31, v4, s[2:3]
	s_or_b64 s[8:9], vcc, s[8:9]
	v_cmp_eq_u32_e32 vcc, 3, v26
	v_cndmask_b32_e32 v31, v31, v5, vcc
	v_cmp_eq_u32_e32 vcc, 4, v26
	v_cndmask_b32_e32 v31, v31, v6, vcc
	;; [unrolled: 2-line block ×14, first 2 shown]
	v_cmp_eq_u32_e32 vcc, 17, v26
	s_waitcnt vmcnt(6)
	v_cndmask_b32_e32 v31, v31, v19, vcc
	v_cmp_eq_u32_e32 vcc, 18, v26
	s_waitcnt vmcnt(5)
	v_cndmask_b32_e32 v31, v31, v20, vcc
	v_cmp_eq_u32_e32 vcc, 19, v26
	ds_read_b32 v30, v29
	s_waitcnt vmcnt(4)
	v_cndmask_b32_e32 v31, v31, v21, vcc
	v_cmp_eq_u32_e32 vcc, 20, v26
	s_waitcnt vmcnt(3)
	v_cndmask_b32_e32 v31, v31, v22, vcc
	v_cmp_eq_u32_e32 vcc, 21, v26
	;; [unrolled: 3-line block ×4, first 2 shown]
	s_waitcnt vmcnt(0)
	v_cndmask_b32_e32 v31, v31, v25, vcc
	v_add_u32_e32 v29, 4, v29
	s_waitcnt lgkmcnt(0)
	v_fmac_f32_e32 v28, v31, v30
	s_andn2_b64 exec, exec, s[8:9]
	s_cbranch_execnz .LBB23_483
; %bb.484:
	s_or_b64 exec, exec, s[8:9]
.LBB23_485:
	s_or_b64 exec, exec, s[6:7]
	v_mov_b32_e32 v15, 0
	ds_read_b32 v15, v15 offset:52
	s_waitcnt lgkmcnt(0)
	v_mul_f32_e32 v15, v28, v15
.LBB23_486:
	s_or_b64 exec, exec, s[4:5]
	v_cmp_gt_u32_e32 vcc, 14, v0
	s_waitcnt vmcnt(10)
	ds_write_b32 v106, v16
	s_waitcnt lgkmcnt(0)
	; wave barrier
	s_and_saveexec_b64 s[4:5], vcc
	s_cbranch_execz .LBB23_496
; %bb.487:
	s_and_b64 vcc, exec, s[0:1]
	s_cbranch_vccnz .LBB23_489
; %bb.488:
	v_cmp_eq_u32_e32 vcc, 1, v0
	s_waitcnt vmcnt(7)
	v_cndmask_b32_e32 v26, v2, v3, vcc
	v_cmp_eq_u32_e32 vcc, 2, v0
	v_cndmask_b32_e32 v26, v26, v4, vcc
	v_cmp_eq_u32_e32 vcc, 3, v0
	;; [unrolled: 2-line block ×16, first 2 shown]
	s_waitcnt vmcnt(6)
	v_cndmask_b32_e32 v26, v26, v19, vcc
	v_cmp_eq_u32_e32 vcc, 18, v0
	s_waitcnt vmcnt(5)
	v_cndmask_b32_e32 v26, v26, v20, vcc
	v_cmp_eq_u32_e32 vcc, 19, v0
	s_waitcnt vmcnt(4)
	v_cndmask_b32_e32 v26, v26, v21, vcc
	v_cmp_eq_u32_e32 vcc, 20, v0
	ds_read_b32 v27, v106
	s_waitcnt vmcnt(3)
	v_cndmask_b32_e32 v26, v26, v22, vcc
	v_cmp_eq_u32_e32 vcc, 21, v0
	s_waitcnt vmcnt(2)
	v_cndmask_b32_e32 v26, v26, v23, vcc
	v_cmp_eq_u32_e32 vcc, 22, v0
	;; [unrolled: 3-line block ×3, first 2 shown]
	s_waitcnt vmcnt(0)
	v_cndmask_b32_e32 v26, v26, v25, vcc
	s_waitcnt lgkmcnt(0)
	v_mul_f32_e32 v28, v26, v27
	s_cbranch_execz .LBB23_490
	s_branch .LBB23_491
.LBB23_489:
                                        ; implicit-def: $vgpr28
.LBB23_490:
	ds_read_b32 v28, v106
.LBB23_491:
	v_cmp_ne_u32_e32 vcc, 13, v0
	s_and_saveexec_b64 s[6:7], vcc
	s_cbranch_execz .LBB23_495
; %bb.492:
	v_mov_b32_e32 v26, 0x64
	v_lshl_add_u32 v29, v0, 2, v26
	v_mov_b32_e32 v27, v1
	s_mov_b64 s[8:9], 0
	v_mov_b32_e32 v26, v0
.LBB23_493:                             ; =>This Inner Loop Header: Depth=1
	v_add_co_u32_e32 v26, vcc, 1, v26
	v_addc_co_u32_e32 v27, vcc, 0, v27, vcc
	v_cmp_eq_u32_e32 vcc, 1, v26
	s_waitcnt vmcnt(7)
	v_cndmask_b32_e32 v31, v2, v3, vcc
	v_cmp_lt_u32_e32 vcc, 12, v26
	v_cmp_eq_u32_e64 s[2:3], 2, v26
	v_cndmask_b32_e64 v31, v31, v4, s[2:3]
	s_or_b64 s[8:9], vcc, s[8:9]
	v_cmp_eq_u32_e32 vcc, 3, v26
	v_cndmask_b32_e32 v31, v31, v5, vcc
	v_cmp_eq_u32_e32 vcc, 4, v26
	v_cndmask_b32_e32 v31, v31, v6, vcc
	;; [unrolled: 2-line block ×14, first 2 shown]
	v_cmp_eq_u32_e32 vcc, 17, v26
	s_waitcnt vmcnt(6)
	v_cndmask_b32_e32 v31, v31, v19, vcc
	v_cmp_eq_u32_e32 vcc, 18, v26
	s_waitcnt vmcnt(5)
	v_cndmask_b32_e32 v31, v31, v20, vcc
	v_cmp_eq_u32_e32 vcc, 19, v26
	ds_read_b32 v30, v29
	s_waitcnt vmcnt(4)
	v_cndmask_b32_e32 v31, v31, v21, vcc
	v_cmp_eq_u32_e32 vcc, 20, v26
	s_waitcnt vmcnt(3)
	v_cndmask_b32_e32 v31, v31, v22, vcc
	v_cmp_eq_u32_e32 vcc, 21, v26
	;; [unrolled: 3-line block ×4, first 2 shown]
	s_waitcnt vmcnt(0)
	v_cndmask_b32_e32 v31, v31, v25, vcc
	v_add_u32_e32 v29, 4, v29
	s_waitcnt lgkmcnt(0)
	v_fmac_f32_e32 v28, v31, v30
	s_andn2_b64 exec, exec, s[8:9]
	s_cbranch_execnz .LBB23_493
; %bb.494:
	s_or_b64 exec, exec, s[8:9]
.LBB23_495:
	s_or_b64 exec, exec, s[6:7]
	v_mov_b32_e32 v16, 0
	ds_read_b32 v16, v16 offset:56
	s_waitcnt lgkmcnt(0)
	v_mul_f32_e32 v16, v28, v16
.LBB23_496:
	s_or_b64 exec, exec, s[4:5]
	v_cmp_gt_u32_e32 vcc, 15, v0
	s_waitcnt vmcnt(9)
	ds_write_b32 v106, v17
	s_waitcnt lgkmcnt(0)
	; wave barrier
	s_and_saveexec_b64 s[4:5], vcc
	s_cbranch_execz .LBB23_506
; %bb.497:
	s_and_b64 vcc, exec, s[0:1]
	s_cbranch_vccnz .LBB23_499
; %bb.498:
	v_cmp_eq_u32_e32 vcc, 1, v0
	s_waitcnt vmcnt(7)
	v_cndmask_b32_e32 v26, v2, v3, vcc
	v_cmp_eq_u32_e32 vcc, 2, v0
	v_cndmask_b32_e32 v26, v26, v4, vcc
	v_cmp_eq_u32_e32 vcc, 3, v0
	;; [unrolled: 2-line block ×16, first 2 shown]
	s_waitcnt vmcnt(6)
	v_cndmask_b32_e32 v26, v26, v19, vcc
	v_cmp_eq_u32_e32 vcc, 18, v0
	s_waitcnt vmcnt(5)
	v_cndmask_b32_e32 v26, v26, v20, vcc
	v_cmp_eq_u32_e32 vcc, 19, v0
	s_waitcnt vmcnt(4)
	v_cndmask_b32_e32 v26, v26, v21, vcc
	v_cmp_eq_u32_e32 vcc, 20, v0
	ds_read_b32 v27, v106
	s_waitcnt vmcnt(3)
	v_cndmask_b32_e32 v26, v26, v22, vcc
	v_cmp_eq_u32_e32 vcc, 21, v0
	s_waitcnt vmcnt(2)
	v_cndmask_b32_e32 v26, v26, v23, vcc
	v_cmp_eq_u32_e32 vcc, 22, v0
	;; [unrolled: 3-line block ×3, first 2 shown]
	s_waitcnt vmcnt(0)
	v_cndmask_b32_e32 v26, v26, v25, vcc
	s_waitcnt lgkmcnt(0)
	v_mul_f32_e32 v28, v26, v27
	s_cbranch_execz .LBB23_500
	s_branch .LBB23_501
.LBB23_499:
                                        ; implicit-def: $vgpr28
.LBB23_500:
	ds_read_b32 v28, v106
.LBB23_501:
	v_cmp_ne_u32_e32 vcc, 14, v0
	s_and_saveexec_b64 s[6:7], vcc
	s_cbranch_execz .LBB23_505
; %bb.502:
	v_mov_b32_e32 v26, 0x64
	v_lshl_add_u32 v29, v0, 2, v26
	v_mov_b32_e32 v27, v1
	s_mov_b64 s[8:9], 0
	v_mov_b32_e32 v26, v0
.LBB23_503:                             ; =>This Inner Loop Header: Depth=1
	v_add_co_u32_e32 v26, vcc, 1, v26
	v_addc_co_u32_e32 v27, vcc, 0, v27, vcc
	v_cmp_eq_u32_e32 vcc, 1, v26
	s_waitcnt vmcnt(7)
	v_cndmask_b32_e32 v31, v2, v3, vcc
	v_cmp_lt_u32_e32 vcc, 13, v26
	v_cmp_eq_u32_e64 s[2:3], 2, v26
	v_cndmask_b32_e64 v31, v31, v4, s[2:3]
	s_or_b64 s[8:9], vcc, s[8:9]
	v_cmp_eq_u32_e32 vcc, 3, v26
	v_cndmask_b32_e32 v31, v31, v5, vcc
	v_cmp_eq_u32_e32 vcc, 4, v26
	v_cndmask_b32_e32 v31, v31, v6, vcc
	;; [unrolled: 2-line block ×14, first 2 shown]
	v_cmp_eq_u32_e32 vcc, 17, v26
	s_waitcnt vmcnt(6)
	v_cndmask_b32_e32 v31, v31, v19, vcc
	v_cmp_eq_u32_e32 vcc, 18, v26
	s_waitcnt vmcnt(5)
	v_cndmask_b32_e32 v31, v31, v20, vcc
	v_cmp_eq_u32_e32 vcc, 19, v26
	ds_read_b32 v30, v29
	s_waitcnt vmcnt(4)
	v_cndmask_b32_e32 v31, v31, v21, vcc
	v_cmp_eq_u32_e32 vcc, 20, v26
	s_waitcnt vmcnt(3)
	v_cndmask_b32_e32 v31, v31, v22, vcc
	v_cmp_eq_u32_e32 vcc, 21, v26
	;; [unrolled: 3-line block ×4, first 2 shown]
	s_waitcnt vmcnt(0)
	v_cndmask_b32_e32 v31, v31, v25, vcc
	v_add_u32_e32 v29, 4, v29
	s_waitcnt lgkmcnt(0)
	v_fmac_f32_e32 v28, v31, v30
	s_andn2_b64 exec, exec, s[8:9]
	s_cbranch_execnz .LBB23_503
; %bb.504:
	s_or_b64 exec, exec, s[8:9]
.LBB23_505:
	s_or_b64 exec, exec, s[6:7]
	v_mov_b32_e32 v17, 0
	ds_read_b32 v17, v17 offset:60
	s_waitcnt lgkmcnt(0)
	v_mul_f32_e32 v17, v28, v17
.LBB23_506:
	s_or_b64 exec, exec, s[4:5]
	v_cmp_gt_u32_e32 vcc, 16, v0
	s_waitcnt vmcnt(8)
	ds_write_b32 v106, v18
	s_waitcnt lgkmcnt(0)
	; wave barrier
	s_and_saveexec_b64 s[4:5], vcc
	s_cbranch_execz .LBB23_516
; %bb.507:
	s_and_b64 vcc, exec, s[0:1]
	s_cbranch_vccnz .LBB23_509
; %bb.508:
	v_cmp_eq_u32_e32 vcc, 1, v0
	s_waitcnt vmcnt(7)
	v_cndmask_b32_e32 v26, v2, v3, vcc
	v_cmp_eq_u32_e32 vcc, 2, v0
	v_cndmask_b32_e32 v26, v26, v4, vcc
	v_cmp_eq_u32_e32 vcc, 3, v0
	;; [unrolled: 2-line block ×16, first 2 shown]
	s_waitcnt vmcnt(6)
	v_cndmask_b32_e32 v26, v26, v19, vcc
	v_cmp_eq_u32_e32 vcc, 18, v0
	s_waitcnt vmcnt(5)
	v_cndmask_b32_e32 v26, v26, v20, vcc
	v_cmp_eq_u32_e32 vcc, 19, v0
	;; [unrolled: 3-line block ×3, first 2 shown]
	ds_read_b32 v27, v106
	s_waitcnt vmcnt(3)
	v_cndmask_b32_e32 v26, v26, v22, vcc
	v_cmp_eq_u32_e32 vcc, 21, v0
	s_waitcnt vmcnt(2)
	v_cndmask_b32_e32 v26, v26, v23, vcc
	v_cmp_eq_u32_e32 vcc, 22, v0
	s_waitcnt vmcnt(1)
	v_cndmask_b32_e32 v26, v26, v24, vcc
	v_cmp_eq_u32_e32 vcc, 23, v0
	s_waitcnt vmcnt(0)
	v_cndmask_b32_e32 v26, v26, v25, vcc
	s_waitcnt lgkmcnt(0)
	v_mul_f32_e32 v28, v26, v27
	s_cbranch_execz .LBB23_510
	s_branch .LBB23_511
.LBB23_509:
                                        ; implicit-def: $vgpr28
.LBB23_510:
	ds_read_b32 v28, v106
.LBB23_511:
	v_cmp_ne_u32_e32 vcc, 15, v0
	s_and_saveexec_b64 s[6:7], vcc
	s_cbranch_execz .LBB23_515
; %bb.512:
	v_mov_b32_e32 v26, 0x64
	v_lshl_add_u32 v29, v0, 2, v26
	v_mov_b32_e32 v27, v1
	s_mov_b64 s[8:9], 0
	v_mov_b32_e32 v26, v0
.LBB23_513:                             ; =>This Inner Loop Header: Depth=1
	v_add_co_u32_e32 v26, vcc, 1, v26
	v_addc_co_u32_e32 v27, vcc, 0, v27, vcc
	v_cmp_eq_u32_e32 vcc, 1, v26
	s_waitcnt vmcnt(7)
	v_cndmask_b32_e32 v31, v2, v3, vcc
	v_cmp_lt_u32_e32 vcc, 14, v26
	v_cmp_eq_u32_e64 s[2:3], 2, v26
	v_cndmask_b32_e64 v31, v31, v4, s[2:3]
	s_or_b64 s[8:9], vcc, s[8:9]
	v_cmp_eq_u32_e32 vcc, 3, v26
	v_cndmask_b32_e32 v31, v31, v5, vcc
	v_cmp_eq_u32_e32 vcc, 4, v26
	v_cndmask_b32_e32 v31, v31, v6, vcc
	;; [unrolled: 2-line block ×14, first 2 shown]
	v_cmp_eq_u32_e32 vcc, 17, v26
	s_waitcnt vmcnt(6)
	v_cndmask_b32_e32 v31, v31, v19, vcc
	v_cmp_eq_u32_e32 vcc, 18, v26
	s_waitcnt vmcnt(5)
	v_cndmask_b32_e32 v31, v31, v20, vcc
	v_cmp_eq_u32_e32 vcc, 19, v26
	ds_read_b32 v30, v29
	s_waitcnt vmcnt(4)
	v_cndmask_b32_e32 v31, v31, v21, vcc
	v_cmp_eq_u32_e32 vcc, 20, v26
	s_waitcnt vmcnt(3)
	v_cndmask_b32_e32 v31, v31, v22, vcc
	v_cmp_eq_u32_e32 vcc, 21, v26
	;; [unrolled: 3-line block ×4, first 2 shown]
	s_waitcnt vmcnt(0)
	v_cndmask_b32_e32 v31, v31, v25, vcc
	v_add_u32_e32 v29, 4, v29
	s_waitcnt lgkmcnt(0)
	v_fmac_f32_e32 v28, v31, v30
	s_andn2_b64 exec, exec, s[8:9]
	s_cbranch_execnz .LBB23_513
; %bb.514:
	s_or_b64 exec, exec, s[8:9]
.LBB23_515:
	s_or_b64 exec, exec, s[6:7]
	v_mov_b32_e32 v18, 0
	ds_read_b32 v18, v18 offset:64
	s_waitcnt lgkmcnt(0)
	v_mul_f32_e32 v18, v28, v18
.LBB23_516:
	s_or_b64 exec, exec, s[4:5]
	v_cmp_gt_u32_e32 vcc, 17, v0
	s_waitcnt vmcnt(6)
	ds_write_b32 v106, v19
	s_waitcnt lgkmcnt(0)
	; wave barrier
	s_and_saveexec_b64 s[4:5], vcc
	s_cbranch_execz .LBB23_526
; %bb.517:
	s_and_b64 vcc, exec, s[0:1]
	s_cbranch_vccnz .LBB23_519
; %bb.518:
	v_cmp_eq_u32_e32 vcc, 1, v0
	v_cndmask_b32_e32 v26, v2, v3, vcc
	v_cmp_eq_u32_e32 vcc, 2, v0
	v_cndmask_b32_e32 v26, v26, v4, vcc
	;; [unrolled: 2-line block ×17, first 2 shown]
	v_cmp_eq_u32_e32 vcc, 18, v0
	s_waitcnt vmcnt(5)
	v_cndmask_b32_e32 v26, v26, v20, vcc
	v_cmp_eq_u32_e32 vcc, 19, v0
	s_waitcnt vmcnt(4)
	v_cndmask_b32_e32 v26, v26, v21, vcc
	v_cmp_eq_u32_e32 vcc, 20, v0
	ds_read_b32 v27, v106
	s_waitcnt vmcnt(3)
	v_cndmask_b32_e32 v26, v26, v22, vcc
	v_cmp_eq_u32_e32 vcc, 21, v0
	s_waitcnt vmcnt(2)
	v_cndmask_b32_e32 v26, v26, v23, vcc
	v_cmp_eq_u32_e32 vcc, 22, v0
	;; [unrolled: 3-line block ×3, first 2 shown]
	s_waitcnt vmcnt(0)
	v_cndmask_b32_e32 v26, v26, v25, vcc
	s_waitcnt lgkmcnt(0)
	v_mul_f32_e32 v28, v26, v27
	s_cbranch_execz .LBB23_520
	s_branch .LBB23_521
.LBB23_519:
                                        ; implicit-def: $vgpr28
.LBB23_520:
	ds_read_b32 v28, v106
.LBB23_521:
	v_cmp_ne_u32_e32 vcc, 16, v0
	s_and_saveexec_b64 s[6:7], vcc
	s_cbranch_execz .LBB23_525
; %bb.522:
	v_mov_b32_e32 v26, 0x64
	v_lshl_add_u32 v29, v0, 2, v26
	v_mov_b32_e32 v27, v1
	s_mov_b64 s[8:9], 0
	v_mov_b32_e32 v26, v0
.LBB23_523:                             ; =>This Inner Loop Header: Depth=1
	v_add_co_u32_e32 v26, vcc, 1, v26
	v_addc_co_u32_e32 v27, vcc, 0, v27, vcc
	v_cmp_eq_u32_e32 vcc, 1, v26
	v_cndmask_b32_e32 v31, v2, v3, vcc
	v_cmp_lt_u32_e32 vcc, 15, v26
	v_cmp_eq_u32_e64 s[2:3], 2, v26
	v_cndmask_b32_e64 v31, v31, v4, s[2:3]
	s_or_b64 s[8:9], vcc, s[8:9]
	v_cmp_eq_u32_e32 vcc, 3, v26
	v_cndmask_b32_e32 v31, v31, v5, vcc
	v_cmp_eq_u32_e32 vcc, 4, v26
	v_cndmask_b32_e32 v31, v31, v6, vcc
	;; [unrolled: 2-line block ×15, first 2 shown]
	v_cmp_eq_u32_e32 vcc, 18, v26
	s_waitcnt vmcnt(5)
	v_cndmask_b32_e32 v31, v31, v20, vcc
	v_cmp_eq_u32_e32 vcc, 19, v26
	ds_read_b32 v30, v29
	s_waitcnt vmcnt(4)
	v_cndmask_b32_e32 v31, v31, v21, vcc
	v_cmp_eq_u32_e32 vcc, 20, v26
	s_waitcnt vmcnt(3)
	v_cndmask_b32_e32 v31, v31, v22, vcc
	v_cmp_eq_u32_e32 vcc, 21, v26
	;; [unrolled: 3-line block ×4, first 2 shown]
	s_waitcnt vmcnt(0)
	v_cndmask_b32_e32 v31, v31, v25, vcc
	v_add_u32_e32 v29, 4, v29
	s_waitcnt lgkmcnt(0)
	v_fmac_f32_e32 v28, v31, v30
	s_andn2_b64 exec, exec, s[8:9]
	s_cbranch_execnz .LBB23_523
; %bb.524:
	s_or_b64 exec, exec, s[8:9]
.LBB23_525:
	s_or_b64 exec, exec, s[6:7]
	v_mov_b32_e32 v19, 0
	ds_read_b32 v19, v19 offset:68
	s_waitcnt lgkmcnt(0)
	v_mul_f32_e32 v19, v28, v19
.LBB23_526:
	s_or_b64 exec, exec, s[4:5]
	v_cmp_gt_u32_e32 vcc, 18, v0
	s_waitcnt vmcnt(5)
	ds_write_b32 v106, v20
	s_waitcnt lgkmcnt(0)
	; wave barrier
	s_and_saveexec_b64 s[4:5], vcc
	s_cbranch_execz .LBB23_536
; %bb.527:
	s_and_b64 vcc, exec, s[0:1]
	s_cbranch_vccnz .LBB23_529
; %bb.528:
	v_cmp_eq_u32_e32 vcc, 1, v0
	v_cndmask_b32_e32 v26, v2, v3, vcc
	v_cmp_eq_u32_e32 vcc, 2, v0
	v_cndmask_b32_e32 v26, v26, v4, vcc
	;; [unrolled: 2-line block ×18, first 2 shown]
	v_cmp_eq_u32_e32 vcc, 19, v0
	s_waitcnt vmcnt(4)
	v_cndmask_b32_e32 v26, v26, v21, vcc
	v_cmp_eq_u32_e32 vcc, 20, v0
	ds_read_b32 v27, v106
	s_waitcnt vmcnt(3)
	v_cndmask_b32_e32 v26, v26, v22, vcc
	v_cmp_eq_u32_e32 vcc, 21, v0
	s_waitcnt vmcnt(2)
	v_cndmask_b32_e32 v26, v26, v23, vcc
	v_cmp_eq_u32_e32 vcc, 22, v0
	;; [unrolled: 3-line block ×3, first 2 shown]
	s_waitcnt vmcnt(0)
	v_cndmask_b32_e32 v26, v26, v25, vcc
	s_waitcnt lgkmcnt(0)
	v_mul_f32_e32 v28, v26, v27
	s_cbranch_execz .LBB23_530
	s_branch .LBB23_531
.LBB23_529:
                                        ; implicit-def: $vgpr28
.LBB23_530:
	ds_read_b32 v28, v106
.LBB23_531:
	v_cmp_ne_u32_e32 vcc, 17, v0
	s_and_saveexec_b64 s[6:7], vcc
	s_cbranch_execz .LBB23_535
; %bb.532:
	v_mov_b32_e32 v26, 0x64
	v_lshl_add_u32 v29, v0, 2, v26
	v_mov_b32_e32 v27, v1
	s_mov_b64 s[8:9], 0
	v_mov_b32_e32 v26, v0
.LBB23_533:                             ; =>This Inner Loop Header: Depth=1
	v_add_co_u32_e32 v26, vcc, 1, v26
	v_addc_co_u32_e32 v27, vcc, 0, v27, vcc
	v_cmp_eq_u32_e32 vcc, 1, v26
	v_cndmask_b32_e32 v31, v2, v3, vcc
	v_cmp_lt_u32_e32 vcc, 16, v26
	v_cmp_eq_u32_e64 s[2:3], 2, v26
	v_cndmask_b32_e64 v31, v31, v4, s[2:3]
	s_or_b64 s[8:9], vcc, s[8:9]
	v_cmp_eq_u32_e32 vcc, 3, v26
	v_cndmask_b32_e32 v31, v31, v5, vcc
	v_cmp_eq_u32_e32 vcc, 4, v26
	v_cndmask_b32_e32 v31, v31, v6, vcc
	;; [unrolled: 2-line block ×16, first 2 shown]
	v_cmp_eq_u32_e32 vcc, 19, v26
	ds_read_b32 v30, v29
	s_waitcnt vmcnt(4)
	v_cndmask_b32_e32 v31, v31, v21, vcc
	v_cmp_eq_u32_e32 vcc, 20, v26
	s_waitcnt vmcnt(3)
	v_cndmask_b32_e32 v31, v31, v22, vcc
	v_cmp_eq_u32_e32 vcc, 21, v26
	;; [unrolled: 3-line block ×4, first 2 shown]
	s_waitcnt vmcnt(0)
	v_cndmask_b32_e32 v31, v31, v25, vcc
	v_add_u32_e32 v29, 4, v29
	s_waitcnt lgkmcnt(0)
	v_fmac_f32_e32 v28, v31, v30
	s_andn2_b64 exec, exec, s[8:9]
	s_cbranch_execnz .LBB23_533
; %bb.534:
	s_or_b64 exec, exec, s[8:9]
.LBB23_535:
	s_or_b64 exec, exec, s[6:7]
	v_mov_b32_e32 v20, 0
	ds_read_b32 v20, v20 offset:72
	s_waitcnt lgkmcnt(0)
	v_mul_f32_e32 v20, v28, v20
.LBB23_536:
	s_or_b64 exec, exec, s[4:5]
	v_cmp_gt_u32_e32 vcc, 19, v0
	s_waitcnt vmcnt(4)
	ds_write_b32 v106, v21
	s_waitcnt lgkmcnt(0)
	; wave barrier
	s_and_saveexec_b64 s[4:5], vcc
	s_cbranch_execz .LBB23_546
; %bb.537:
	s_and_b64 vcc, exec, s[0:1]
	s_cbranch_vccnz .LBB23_539
; %bb.538:
	v_cmp_eq_u32_e32 vcc, 1, v0
	v_cndmask_b32_e32 v26, v2, v3, vcc
	v_cmp_eq_u32_e32 vcc, 2, v0
	v_cndmask_b32_e32 v26, v26, v4, vcc
	;; [unrolled: 2-line block ×19, first 2 shown]
	v_cmp_eq_u32_e32 vcc, 20, v0
	ds_read_b32 v27, v106
	s_waitcnt vmcnt(3)
	v_cndmask_b32_e32 v26, v26, v22, vcc
	v_cmp_eq_u32_e32 vcc, 21, v0
	s_waitcnt vmcnt(2)
	v_cndmask_b32_e32 v26, v26, v23, vcc
	v_cmp_eq_u32_e32 vcc, 22, v0
	;; [unrolled: 3-line block ×3, first 2 shown]
	s_waitcnt vmcnt(0)
	v_cndmask_b32_e32 v26, v26, v25, vcc
	s_waitcnt lgkmcnt(0)
	v_mul_f32_e32 v28, v26, v27
	s_cbranch_execz .LBB23_540
	s_branch .LBB23_541
.LBB23_539:
                                        ; implicit-def: $vgpr28
.LBB23_540:
	ds_read_b32 v28, v106
.LBB23_541:
	v_cmp_ne_u32_e32 vcc, 18, v0
	s_and_saveexec_b64 s[6:7], vcc
	s_cbranch_execz .LBB23_545
; %bb.542:
	v_mov_b32_e32 v26, 0x64
	v_lshl_add_u32 v29, v0, 2, v26
	v_mov_b32_e32 v27, v1
	s_mov_b64 s[8:9], 0
	v_mov_b32_e32 v26, v0
.LBB23_543:                             ; =>This Inner Loop Header: Depth=1
	v_add_co_u32_e32 v26, vcc, 1, v26
	v_addc_co_u32_e32 v27, vcc, 0, v27, vcc
	v_cmp_eq_u32_e32 vcc, 1, v26
	v_cndmask_b32_e32 v31, v2, v3, vcc
	v_cmp_lt_u32_e32 vcc, 17, v26
	v_cmp_eq_u32_e64 s[2:3], 2, v26
	v_cndmask_b32_e64 v31, v31, v4, s[2:3]
	s_or_b64 s[8:9], vcc, s[8:9]
	v_cmp_eq_u32_e32 vcc, 3, v26
	v_cndmask_b32_e32 v31, v31, v5, vcc
	v_cmp_eq_u32_e32 vcc, 4, v26
	v_cndmask_b32_e32 v31, v31, v6, vcc
	;; [unrolled: 2-line block ×16, first 2 shown]
	v_cmp_eq_u32_e32 vcc, 19, v26
	ds_read_b32 v30, v29
	v_cndmask_b32_e32 v31, v31, v21, vcc
	v_cmp_eq_u32_e32 vcc, 20, v26
	s_waitcnt vmcnt(3)
	v_cndmask_b32_e32 v31, v31, v22, vcc
	v_cmp_eq_u32_e32 vcc, 21, v26
	s_waitcnt vmcnt(2)
	v_cndmask_b32_e32 v31, v31, v23, vcc
	v_cmp_eq_u32_e32 vcc, 22, v26
	s_waitcnt vmcnt(1)
	v_cndmask_b32_e32 v31, v31, v24, vcc
	v_cmp_eq_u32_e32 vcc, 23, v26
	s_waitcnt vmcnt(0)
	v_cndmask_b32_e32 v31, v31, v25, vcc
	v_add_u32_e32 v29, 4, v29
	s_waitcnt lgkmcnt(0)
	v_fmac_f32_e32 v28, v31, v30
	s_andn2_b64 exec, exec, s[8:9]
	s_cbranch_execnz .LBB23_543
; %bb.544:
	s_or_b64 exec, exec, s[8:9]
.LBB23_545:
	s_or_b64 exec, exec, s[6:7]
	v_mov_b32_e32 v21, 0
	ds_read_b32 v21, v21 offset:76
	s_waitcnt lgkmcnt(0)
	v_mul_f32_e32 v21, v28, v21
.LBB23_546:
	s_or_b64 exec, exec, s[4:5]
	v_cmp_gt_u32_e32 vcc, 20, v0
	s_waitcnt vmcnt(3)
	ds_write_b32 v106, v22
	s_waitcnt lgkmcnt(0)
	; wave barrier
	s_and_saveexec_b64 s[4:5], vcc
	s_cbranch_execz .LBB23_556
; %bb.547:
	s_and_b64 vcc, exec, s[0:1]
	s_cbranch_vccnz .LBB23_549
; %bb.548:
	v_cmp_eq_u32_e32 vcc, 1, v0
	v_cndmask_b32_e32 v26, v2, v3, vcc
	v_cmp_eq_u32_e32 vcc, 2, v0
	v_cndmask_b32_e32 v26, v26, v4, vcc
	;; [unrolled: 2-line block ×19, first 2 shown]
	v_cmp_eq_u32_e32 vcc, 20, v0
	ds_read_b32 v27, v106
	v_cndmask_b32_e32 v26, v26, v22, vcc
	v_cmp_eq_u32_e32 vcc, 21, v0
	s_waitcnt vmcnt(2)
	v_cndmask_b32_e32 v26, v26, v23, vcc
	v_cmp_eq_u32_e32 vcc, 22, v0
	s_waitcnt vmcnt(1)
	;; [unrolled: 3-line block ×3, first 2 shown]
	v_cndmask_b32_e32 v26, v26, v25, vcc
	s_waitcnt lgkmcnt(0)
	v_mul_f32_e32 v28, v26, v27
	s_cbranch_execz .LBB23_550
	s_branch .LBB23_551
.LBB23_549:
                                        ; implicit-def: $vgpr28
.LBB23_550:
	ds_read_b32 v28, v106
.LBB23_551:
	v_cmp_ne_u32_e32 vcc, 19, v0
	s_and_saveexec_b64 s[6:7], vcc
	s_cbranch_execz .LBB23_555
; %bb.552:
	v_mov_b32_e32 v26, 0x64
	v_lshl_add_u32 v29, v0, 2, v26
	v_mov_b32_e32 v27, v1
	s_mov_b64 s[8:9], 0
	v_mov_b32_e32 v26, v0
.LBB23_553:                             ; =>This Inner Loop Header: Depth=1
	v_add_co_u32_e32 v26, vcc, 1, v26
	v_addc_co_u32_e32 v27, vcc, 0, v27, vcc
	v_cmp_eq_u32_e32 vcc, 1, v26
	v_cndmask_b32_e32 v31, v2, v3, vcc
	v_cmp_lt_u32_e32 vcc, 18, v26
	v_cmp_eq_u32_e64 s[2:3], 2, v26
	v_cndmask_b32_e64 v31, v31, v4, s[2:3]
	s_or_b64 s[8:9], vcc, s[8:9]
	v_cmp_eq_u32_e32 vcc, 3, v26
	v_cndmask_b32_e32 v31, v31, v5, vcc
	v_cmp_eq_u32_e32 vcc, 4, v26
	v_cndmask_b32_e32 v31, v31, v6, vcc
	;; [unrolled: 2-line block ×16, first 2 shown]
	v_cmp_eq_u32_e32 vcc, 19, v26
	ds_read_b32 v30, v29
	v_cndmask_b32_e32 v31, v31, v21, vcc
	v_cmp_eq_u32_e32 vcc, 20, v26
	v_cndmask_b32_e32 v31, v31, v22, vcc
	v_cmp_eq_u32_e32 vcc, 21, v26
	s_waitcnt vmcnt(2)
	v_cndmask_b32_e32 v31, v31, v23, vcc
	v_cmp_eq_u32_e32 vcc, 22, v26
	s_waitcnt vmcnt(1)
	;; [unrolled: 3-line block ×3, first 2 shown]
	v_cndmask_b32_e32 v31, v31, v25, vcc
	v_add_u32_e32 v29, 4, v29
	s_waitcnt lgkmcnt(0)
	v_fmac_f32_e32 v28, v31, v30
	s_andn2_b64 exec, exec, s[8:9]
	s_cbranch_execnz .LBB23_553
; %bb.554:
	s_or_b64 exec, exec, s[8:9]
.LBB23_555:
	s_or_b64 exec, exec, s[6:7]
	v_mov_b32_e32 v22, 0
	ds_read_b32 v22, v22 offset:80
	s_waitcnt lgkmcnt(0)
	v_mul_f32_e32 v22, v28, v22
.LBB23_556:
	s_or_b64 exec, exec, s[4:5]
	v_cmp_gt_u32_e32 vcc, 21, v0
	s_waitcnt vmcnt(2)
	ds_write_b32 v106, v23
	s_waitcnt lgkmcnt(0)
	; wave barrier
	s_and_saveexec_b64 s[4:5], vcc
	s_cbranch_execz .LBB23_566
; %bb.557:
	s_and_b64 vcc, exec, s[0:1]
	s_cbranch_vccnz .LBB23_559
; %bb.558:
	v_cmp_eq_u32_e32 vcc, 1, v0
	v_cndmask_b32_e32 v26, v2, v3, vcc
	v_cmp_eq_u32_e32 vcc, 2, v0
	v_cndmask_b32_e32 v26, v26, v4, vcc
	;; [unrolled: 2-line block ×19, first 2 shown]
	v_cmp_eq_u32_e32 vcc, 20, v0
	ds_read_b32 v27, v106
	v_cndmask_b32_e32 v26, v26, v22, vcc
	v_cmp_eq_u32_e32 vcc, 21, v0
	v_cndmask_b32_e32 v26, v26, v23, vcc
	v_cmp_eq_u32_e32 vcc, 22, v0
	s_waitcnt vmcnt(1)
	v_cndmask_b32_e32 v26, v26, v24, vcc
	v_cmp_eq_u32_e32 vcc, 23, v0
	s_waitcnt vmcnt(0)
	v_cndmask_b32_e32 v26, v26, v25, vcc
	s_waitcnt lgkmcnt(0)
	v_mul_f32_e32 v28, v26, v27
	s_cbranch_execz .LBB23_560
	s_branch .LBB23_561
.LBB23_559:
                                        ; implicit-def: $vgpr28
.LBB23_560:
	ds_read_b32 v28, v106
.LBB23_561:
	v_cmp_ne_u32_e32 vcc, 20, v0
	s_and_saveexec_b64 s[6:7], vcc
	s_cbranch_execz .LBB23_565
; %bb.562:
	v_mov_b32_e32 v26, 0x64
	v_lshl_add_u32 v29, v0, 2, v26
	v_mov_b32_e32 v27, v1
	s_mov_b64 s[8:9], 0
	v_mov_b32_e32 v26, v0
.LBB23_563:                             ; =>This Inner Loop Header: Depth=1
	v_add_co_u32_e32 v26, vcc, 1, v26
	v_addc_co_u32_e32 v27, vcc, 0, v27, vcc
	v_cmp_eq_u32_e32 vcc, 1, v26
	v_cndmask_b32_e32 v31, v2, v3, vcc
	v_cmp_lt_u32_e32 vcc, 19, v26
	v_cmp_eq_u32_e64 s[2:3], 2, v26
	v_cndmask_b32_e64 v31, v31, v4, s[2:3]
	s_or_b64 s[8:9], vcc, s[8:9]
	v_cmp_eq_u32_e32 vcc, 3, v26
	v_cndmask_b32_e32 v31, v31, v5, vcc
	v_cmp_eq_u32_e32 vcc, 4, v26
	v_cndmask_b32_e32 v31, v31, v6, vcc
	;; [unrolled: 2-line block ×16, first 2 shown]
	v_cmp_eq_u32_e32 vcc, 19, v26
	ds_read_b32 v30, v29
	v_cndmask_b32_e32 v31, v31, v21, vcc
	v_cmp_eq_u32_e32 vcc, 20, v26
	v_cndmask_b32_e32 v31, v31, v22, vcc
	v_cmp_eq_u32_e32 vcc, 21, v26
	;; [unrolled: 2-line block ×3, first 2 shown]
	s_waitcnt vmcnt(1)
	v_cndmask_b32_e32 v31, v31, v24, vcc
	v_cmp_eq_u32_e32 vcc, 23, v26
	s_waitcnt vmcnt(0)
	v_cndmask_b32_e32 v31, v31, v25, vcc
	v_add_u32_e32 v29, 4, v29
	s_waitcnt lgkmcnt(0)
	v_fmac_f32_e32 v28, v31, v30
	s_andn2_b64 exec, exec, s[8:9]
	s_cbranch_execnz .LBB23_563
; %bb.564:
	s_or_b64 exec, exec, s[8:9]
.LBB23_565:
	s_or_b64 exec, exec, s[6:7]
	v_mov_b32_e32 v23, 0
	ds_read_b32 v23, v23 offset:84
	s_waitcnt lgkmcnt(0)
	v_mul_f32_e32 v23, v28, v23
.LBB23_566:
	s_or_b64 exec, exec, s[4:5]
	v_cmp_gt_u32_e64 s[2:3], 22, v0
	s_waitcnt vmcnt(1)
	ds_write_b32 v106, v24
	s_waitcnt lgkmcnt(0)
	; wave barrier
	s_and_saveexec_b64 s[6:7], s[2:3]
	s_cbranch_execz .LBB23_576
; %bb.567:
	s_and_b64 vcc, exec, s[0:1]
	s_cbranch_vccnz .LBB23_569
; %bb.568:
	v_cmp_eq_u32_e32 vcc, 1, v0
	v_cndmask_b32_e32 v26, v2, v3, vcc
	v_cmp_eq_u32_e32 vcc, 2, v0
	v_cndmask_b32_e32 v26, v26, v4, vcc
	;; [unrolled: 2-line block ×19, first 2 shown]
	v_cmp_eq_u32_e32 vcc, 20, v0
	ds_read_b32 v27, v106
	v_cndmask_b32_e32 v26, v26, v22, vcc
	v_cmp_eq_u32_e32 vcc, 21, v0
	v_cndmask_b32_e32 v26, v26, v23, vcc
	v_cmp_eq_u32_e32 vcc, 22, v0
	;; [unrolled: 2-line block ×3, first 2 shown]
	s_waitcnt vmcnt(0)
	v_cndmask_b32_e32 v26, v26, v25, vcc
	s_waitcnt lgkmcnt(0)
	v_mul_f32_e32 v28, v26, v27
	s_cbranch_execz .LBB23_570
	s_branch .LBB23_571
.LBB23_569:
                                        ; implicit-def: $vgpr28
.LBB23_570:
	ds_read_b32 v28, v106
.LBB23_571:
	v_cmp_ne_u32_e32 vcc, 21, v0
	s_and_saveexec_b64 s[8:9], vcc
	s_cbranch_execz .LBB23_575
; %bb.572:
	v_mov_b32_e32 v26, 0x64
	v_lshl_add_u32 v29, v0, 2, v26
	v_mov_b32_e32 v27, v1
	s_mov_b64 s[10:11], 0
	v_mov_b32_e32 v26, v0
.LBB23_573:                             ; =>This Inner Loop Header: Depth=1
	v_add_co_u32_e32 v26, vcc, 1, v26
	v_addc_co_u32_e32 v27, vcc, 0, v27, vcc
	v_cmp_eq_u32_e32 vcc, 1, v26
	v_cndmask_b32_e32 v31, v2, v3, vcc
	v_cmp_lt_u32_e32 vcc, 20, v26
	v_cmp_eq_u32_e64 s[4:5], 2, v26
	v_cndmask_b32_e64 v31, v31, v4, s[4:5]
	s_or_b64 s[10:11], vcc, s[10:11]
	v_cmp_eq_u32_e32 vcc, 3, v26
	v_cndmask_b32_e32 v31, v31, v5, vcc
	v_cmp_eq_u32_e32 vcc, 4, v26
	v_cndmask_b32_e32 v31, v31, v6, vcc
	;; [unrolled: 2-line block ×16, first 2 shown]
	v_cmp_eq_u32_e32 vcc, 19, v26
	ds_read_b32 v30, v29
	v_cndmask_b32_e32 v31, v31, v21, vcc
	v_cmp_eq_u32_e32 vcc, 20, v26
	v_cndmask_b32_e32 v31, v31, v22, vcc
	v_cmp_eq_u32_e32 vcc, 21, v26
	;; [unrolled: 2-line block ×4, first 2 shown]
	s_waitcnt vmcnt(0)
	v_cndmask_b32_e32 v31, v31, v25, vcc
	v_add_u32_e32 v29, 4, v29
	s_waitcnt lgkmcnt(0)
	v_fmac_f32_e32 v28, v31, v30
	s_andn2_b64 exec, exec, s[10:11]
	s_cbranch_execnz .LBB23_573
; %bb.574:
	s_or_b64 exec, exec, s[10:11]
.LBB23_575:
	s_or_b64 exec, exec, s[8:9]
	v_mov_b32_e32 v24, 0
	ds_read_b32 v24, v24 offset:88
	s_waitcnt lgkmcnt(0)
	v_mul_f32_e32 v24, v28, v24
.LBB23_576:
	s_or_b64 exec, exec, s[6:7]
	v_cmp_ne_u32_e32 vcc, 23, v0
	s_waitcnt vmcnt(0)
	ds_write_b32 v106, v25
	s_waitcnt lgkmcnt(0)
	; wave barrier
	s_and_saveexec_b64 s[4:5], vcc
	s_cbranch_execz .LBB23_586
; %bb.577:
	s_and_b64 vcc, exec, s[0:1]
	s_cbranch_vccnz .LBB23_579
; %bb.578:
	v_cmp_eq_u32_e32 vcc, 1, v0
	v_cndmask_b32_e32 v26, v2, v3, vcc
	v_cmp_eq_u32_e32 vcc, 2, v0
	v_cndmask_b32_e32 v26, v26, v4, vcc
	;; [unrolled: 2-line block ×19, first 2 shown]
	v_cmp_eq_u32_e32 vcc, 20, v0
	ds_read_b32 v27, v106
	v_cndmask_b32_e32 v26, v26, v22, vcc
	v_cmp_eq_u32_e32 vcc, 21, v0
	v_cndmask_b32_e32 v26, v26, v23, vcc
	v_cmp_eq_u32_e32 vcc, 22, v0
	v_cndmask_b32_e32 v26, v26, v24, vcc
	v_cmp_eq_u32_e32 vcc, 23, v0
	v_cndmask_b32_e32 v26, v26, v25, vcc
	s_waitcnt lgkmcnt(0)
	v_mul_f32_e32 v26, v26, v27
	s_cbranch_execz .LBB23_580
	s_branch .LBB23_581
.LBB23_579:
                                        ; implicit-def: $vgpr26
.LBB23_580:
	ds_read_b32 v26, v106
.LBB23_581:
	s_and_saveexec_b64 s[6:7], s[2:3]
	s_cbranch_execz .LBB23_585
; %bb.582:
	v_mov_b32_e32 v27, 0x64
	v_lshl_add_u32 v27, v0, 2, v27
	s_mov_b64 s[2:3], 0
.LBB23_583:                             ; =>This Inner Loop Header: Depth=1
	v_add_co_u32_e32 v0, vcc, 1, v0
	v_addc_co_u32_e32 v1, vcc, 0, v1, vcc
	v_cmp_eq_u32_e32 vcc, 1, v0
	v_cndmask_b32_e32 v29, v2, v3, vcc
	v_cmp_lt_u32_e32 vcc, 21, v0
	v_cmp_eq_u32_e64 s[0:1], 2, v0
	v_cndmask_b32_e64 v29, v29, v4, s[0:1]
	s_or_b64 s[2:3], vcc, s[2:3]
	v_cmp_eq_u32_e32 vcc, 3, v0
	v_cndmask_b32_e32 v29, v29, v5, vcc
	v_cmp_eq_u32_e32 vcc, 4, v0
	v_cndmask_b32_e32 v29, v29, v6, vcc
	;; [unrolled: 2-line block ×16, first 2 shown]
	v_cmp_eq_u32_e32 vcc, 19, v0
	ds_read_b32 v28, v27
	v_cndmask_b32_e32 v29, v29, v21, vcc
	v_cmp_eq_u32_e32 vcc, 20, v0
	v_cndmask_b32_e32 v29, v29, v22, vcc
	v_cmp_eq_u32_e32 vcc, 21, v0
	;; [unrolled: 2-line block ×4, first 2 shown]
	v_cndmask_b32_e32 v29, v29, v25, vcc
	v_add_u32_e32 v27, 4, v27
	s_waitcnt lgkmcnt(0)
	v_fmac_f32_e32 v26, v29, v28
	s_andn2_b64 exec, exec, s[2:3]
	s_cbranch_execnz .LBB23_583
; %bb.584:
	s_or_b64 exec, exec, s[2:3]
.LBB23_585:
	s_or_b64 exec, exec, s[6:7]
	v_mov_b32_e32 v0, 0
	ds_read_b32 v0, v0 offset:92
	s_waitcnt lgkmcnt(0)
	v_mul_f32_e32 v25, v26, v0
.LBB23_586:
	s_or_b64 exec, exec, s[4:5]
	v_mov_b32_e32 v57, v33
	v_mov_b32_e32 v56, v32
	;; [unrolled: 1-line block ×32, first 2 shown]
.LBB23_587:
	global_store_dword v[102:103], v26, off
	global_store_dword v[104:105], v27, off
	global_store_dword v[58:59], v28, off
	global_store_dword v[60:61], v29, off
	global_store_dword v[62:63], v30, off
	global_store_dword v[64:65], v31, off
	global_store_dword v[66:67], v32, off
	global_store_dword v[68:69], v33, off
	global_store_dword v[70:71], v34, off
	global_store_dword v[72:73], v35, off
	global_store_dword v[74:75], v36, off
	global_store_dword v[76:77], v37, off
	global_store_dword v[78:79], v38, off
	global_store_dword v[80:81], v39, off
	global_store_dword v[82:83], v40, off
	global_store_dword v[84:85], v41, off
	global_store_dword v[86:87], v42, off
	global_store_dword v[88:89], v43, off
	global_store_dword v[90:91], v44, off
	global_store_dword v[92:93], v45, off
	global_store_dword v[94:95], v46, off
	global_store_dword v[96:97], v47, off
	global_store_dword v[98:99], v48, off
	global_store_dword v[100:101], v49, off
.LBB23_588:
	s_endpgm
	.section	.rodata,"a",@progbits
	.p2align	6, 0x0
	.amdhsa_kernel _ZN9rocsolver6v33100L18trti2_kernel_smallILi24EfPfEEv13rocblas_fill_17rocblas_diagonal_T1_iil
		.amdhsa_group_segment_fixed_size 192
		.amdhsa_private_segment_fixed_size 0
		.amdhsa_kernarg_size 32
		.amdhsa_user_sgpr_count 6
		.amdhsa_user_sgpr_private_segment_buffer 1
		.amdhsa_user_sgpr_dispatch_ptr 0
		.amdhsa_user_sgpr_queue_ptr 0
		.amdhsa_user_sgpr_kernarg_segment_ptr 1
		.amdhsa_user_sgpr_dispatch_id 0
		.amdhsa_user_sgpr_flat_scratch_init 0
		.amdhsa_user_sgpr_private_segment_size 0
		.amdhsa_uses_dynamic_stack 0
		.amdhsa_system_sgpr_private_segment_wavefront_offset 0
		.amdhsa_system_sgpr_workgroup_id_x 1
		.amdhsa_system_sgpr_workgroup_id_y 0
		.amdhsa_system_sgpr_workgroup_id_z 0
		.amdhsa_system_sgpr_workgroup_info 0
		.amdhsa_system_vgpr_workitem_id 0
		.amdhsa_next_free_vgpr 119
		.amdhsa_next_free_sgpr 60
		.amdhsa_reserve_vcc 1
		.amdhsa_reserve_flat_scratch 0
		.amdhsa_float_round_mode_32 0
		.amdhsa_float_round_mode_16_64 0
		.amdhsa_float_denorm_mode_32 3
		.amdhsa_float_denorm_mode_16_64 3
		.amdhsa_dx10_clamp 1
		.amdhsa_ieee_mode 1
		.amdhsa_fp16_overflow 0
		.amdhsa_exception_fp_ieee_invalid_op 0
		.amdhsa_exception_fp_denorm_src 0
		.amdhsa_exception_fp_ieee_div_zero 0
		.amdhsa_exception_fp_ieee_overflow 0
		.amdhsa_exception_fp_ieee_underflow 0
		.amdhsa_exception_fp_ieee_inexact 0
		.amdhsa_exception_int_div_zero 0
	.end_amdhsa_kernel
	.section	.text._ZN9rocsolver6v33100L18trti2_kernel_smallILi24EfPfEEv13rocblas_fill_17rocblas_diagonal_T1_iil,"axG",@progbits,_ZN9rocsolver6v33100L18trti2_kernel_smallILi24EfPfEEv13rocblas_fill_17rocblas_diagonal_T1_iil,comdat
.Lfunc_end23:
	.size	_ZN9rocsolver6v33100L18trti2_kernel_smallILi24EfPfEEv13rocblas_fill_17rocblas_diagonal_T1_iil, .Lfunc_end23-_ZN9rocsolver6v33100L18trti2_kernel_smallILi24EfPfEEv13rocblas_fill_17rocblas_diagonal_T1_iil
                                        ; -- End function
	.set _ZN9rocsolver6v33100L18trti2_kernel_smallILi24EfPfEEv13rocblas_fill_17rocblas_diagonal_T1_iil.num_vgpr, 119
	.set _ZN9rocsolver6v33100L18trti2_kernel_smallILi24EfPfEEv13rocblas_fill_17rocblas_diagonal_T1_iil.num_agpr, 0
	.set _ZN9rocsolver6v33100L18trti2_kernel_smallILi24EfPfEEv13rocblas_fill_17rocblas_diagonal_T1_iil.numbered_sgpr, 60
	.set _ZN9rocsolver6v33100L18trti2_kernel_smallILi24EfPfEEv13rocblas_fill_17rocblas_diagonal_T1_iil.num_named_barrier, 0
	.set _ZN9rocsolver6v33100L18trti2_kernel_smallILi24EfPfEEv13rocblas_fill_17rocblas_diagonal_T1_iil.private_seg_size, 0
	.set _ZN9rocsolver6v33100L18trti2_kernel_smallILi24EfPfEEv13rocblas_fill_17rocblas_diagonal_T1_iil.uses_vcc, 1
	.set _ZN9rocsolver6v33100L18trti2_kernel_smallILi24EfPfEEv13rocblas_fill_17rocblas_diagonal_T1_iil.uses_flat_scratch, 0
	.set _ZN9rocsolver6v33100L18trti2_kernel_smallILi24EfPfEEv13rocblas_fill_17rocblas_diagonal_T1_iil.has_dyn_sized_stack, 0
	.set _ZN9rocsolver6v33100L18trti2_kernel_smallILi24EfPfEEv13rocblas_fill_17rocblas_diagonal_T1_iil.has_recursion, 0
	.set _ZN9rocsolver6v33100L18trti2_kernel_smallILi24EfPfEEv13rocblas_fill_17rocblas_diagonal_T1_iil.has_indirect_call, 0
	.section	.AMDGPU.csdata,"",@progbits
; Kernel info:
; codeLenInByte = 35740
; TotalNumSgprs: 64
; NumVgprs: 119
; ScratchSize: 0
; MemoryBound: 0
; FloatMode: 240
; IeeeMode: 1
; LDSByteSize: 192 bytes/workgroup (compile time only)
; SGPRBlocks: 7
; VGPRBlocks: 29
; NumSGPRsForWavesPerEU: 64
; NumVGPRsForWavesPerEU: 119
; Occupancy: 2
; WaveLimiterHint : 0
; COMPUTE_PGM_RSRC2:SCRATCH_EN: 0
; COMPUTE_PGM_RSRC2:USER_SGPR: 6
; COMPUTE_PGM_RSRC2:TRAP_HANDLER: 0
; COMPUTE_PGM_RSRC2:TGID_X_EN: 1
; COMPUTE_PGM_RSRC2:TGID_Y_EN: 0
; COMPUTE_PGM_RSRC2:TGID_Z_EN: 0
; COMPUTE_PGM_RSRC2:TIDIG_COMP_CNT: 0
	.section	.text._ZN9rocsolver6v33100L18trti2_kernel_smallILi25EfPfEEv13rocblas_fill_17rocblas_diagonal_T1_iil,"axG",@progbits,_ZN9rocsolver6v33100L18trti2_kernel_smallILi25EfPfEEv13rocblas_fill_17rocblas_diagonal_T1_iil,comdat
	.globl	_ZN9rocsolver6v33100L18trti2_kernel_smallILi25EfPfEEv13rocblas_fill_17rocblas_diagonal_T1_iil ; -- Begin function _ZN9rocsolver6v33100L18trti2_kernel_smallILi25EfPfEEv13rocblas_fill_17rocblas_diagonal_T1_iil
	.p2align	8
	.type	_ZN9rocsolver6v33100L18trti2_kernel_smallILi25EfPfEEv13rocblas_fill_17rocblas_diagonal_T1_iil,@function
_ZN9rocsolver6v33100L18trti2_kernel_smallILi25EfPfEEv13rocblas_fill_17rocblas_diagonal_T1_iil: ; @_ZN9rocsolver6v33100L18trti2_kernel_smallILi25EfPfEEv13rocblas_fill_17rocblas_diagonal_T1_iil
; %bb.0:
	v_cmp_gt_u32_e32 vcc, 25, v0
	s_and_saveexec_b64 s[0:1], vcc
	s_cbranch_execz .LBB24_614
; %bb.1:
	s_load_dwordx8 s[52:59], s[4:5], 0x0
	s_ashr_i32 s2, s6, 31
	v_lshlrev_b32_e32 v27, 2, v0
	v_mov_b32_e32 v28, -1.0
	s_waitcnt lgkmcnt(0)
	s_mul_hi_u32 s3, s58, s6
	s_mul_i32 s2, s58, s2
	s_add_i32 s2, s3, s2
	s_mul_i32 s3, s59, s6
	s_add_i32 s3, s2, s3
	s_mul_i32 s2, s58, s6
	s_ashr_i32 s1, s56, 31
	s_lshl_b64 s[2:3], s[2:3], 2
	s_mov_b32 s0, s56
	s_add_u32 s2, s54, s2
	s_addc_u32 s3, s55, s3
	s_lshl_b64 s[0:1], s[0:1], 2
	s_add_u32 s0, s2, s0
	s_addc_u32 s1, s3, s1
	s_add_i32 s2, s57, s57
	v_add_u32_e32 v1, s2, v0
	v_ashrrev_i32_e32 v2, 31, v1
	v_lshlrev_b64 v[2:3], 2, v[1:2]
	v_add_u32_e32 v1, s57, v1
	v_mov_b32_e32 v4, s1
	v_add_co_u32_e32 v59, vcc, s0, v2
	v_ashrrev_i32_e32 v2, 31, v1
	v_addc_co_u32_e32 v60, vcc, v4, v3, vcc
	v_lshlrev_b64 v[2:3], 2, v[1:2]
	v_add_u32_e32 v1, s57, v1
	v_add_co_u32_e32 v61, vcc, s0, v2
	v_ashrrev_i32_e32 v2, 31, v1
	v_addc_co_u32_e32 v62, vcc, v4, v3, vcc
	v_lshlrev_b64 v[2:3], 2, v[1:2]
	v_add_u32_e32 v1, s57, v1
	;; [unrolled: 5-line block ×21, first 2 shown]
	v_add_co_u32_e32 v101, vcc, s0, v2
	v_ashrrev_i32_e32 v2, 31, v1
	v_lshlrev_b64 v[1:2], 2, v[1:2]
	v_addc_co_u32_e32 v102, vcc, v4, v3, vcc
	v_mov_b32_e32 v3, s1
	v_add_co_u32_e32 v103, vcc, s0, v1
	v_addc_co_u32_e32 v104, vcc, v3, v2, vcc
	v_mov_b32_e32 v1, s1
	v_add_co_u32_e32 v105, vcc, s0, v27
	s_ashr_i32 s3, s57, 31
	s_mov_b32 s2, s57
	v_addc_co_u32_e32 v106, vcc, 0, v1, vcc
	s_lshl_b64 s[2:3], s[2:3], 2
	v_mov_b32_e32 v1, s3
	v_add_co_u32_e32 v107, vcc, s2, v105
	v_addc_co_u32_e32 v108, vcc, v106, v1, vcc
	global_load_dword v2, v27, s[0:1]
	global_load_dword v3, v[107:108], off
	global_load_dword v4, v[59:60], off
	;; [unrolled: 1-line block ×14, first 2 shown]
                                        ; kill: killed $sgpr0 killed $sgpr1
	global_load_dword v17, v[85:86], off
	global_load_dword v18, v[87:88], off
	;; [unrolled: 1-line block ×10, first 2 shown]
	s_cmpk_lg_i32 s53, 0x84
	v_mov_b32_e32 v1, 0
	s_cselect_b64 s[54:55], -1, 0
	s_cmpk_eq_i32 s53, 0x84
	v_cmp_eq_u32_e64 s[0:1], 0, v0
	s_cbranch_scc1 .LBB24_3
; %bb.2:
	v_cmp_eq_u32_e64 s[2:3], 1, v0
	s_waitcnt vmcnt(23)
	v_cndmask_b32_e64 v28, v2, v3, s[2:3]
	v_cmp_eq_u32_e64 s[4:5], 2, v0
	s_waitcnt vmcnt(22)
	v_cndmask_b32_e64 v28, v28, v4, s[4:5]
	;; [unrolled: 3-line block ×24, first 2 shown]
	v_div_scale_f32 v29, s[56:57], v28, v28, 1.0
	v_div_scale_f32 v30, vcc, 1.0, v28, 1.0
	v_rcp_f32_e32 v31, v29
	v_fma_f32 v32, -v29, v31, 1.0
	v_fmac_f32_e32 v31, v32, v31
	v_mul_f32_e32 v32, v30, v31
	v_fma_f32 v33, -v29, v32, v30
	v_fmac_f32_e32 v32, v33, v31
	v_fma_f32 v29, -v29, v32, v30
	v_div_fmas_f32 v29, v29, v31, v32
	v_div_fixup_f32 v28, v29, v28, 1.0
	v_cndmask_b32_e64 v26, v26, v28, s[50:51]
	v_cndmask_b32_e64 v25, v25, v28, s[48:49]
	v_cndmask_b32_e64 v24, v24, v28, s[46:47]
	v_cndmask_b32_e64 v23, v23, v28, s[44:45]
	v_cndmask_b32_e64 v22, v22, v28, s[42:43]
	v_cndmask_b32_e64 v21, v21, v28, s[40:41]
	v_cndmask_b32_e64 v20, v20, v28, s[38:39]
	v_cndmask_b32_e64 v19, v19, v28, s[36:37]
	v_cndmask_b32_e64 v18, v18, v28, s[34:35]
	v_cndmask_b32_e64 v17, v17, v28, s[30:31]
	v_cndmask_b32_e64 v16, v16, v28, s[28:29]
	v_cndmask_b32_e64 v15, v15, v28, s[26:27]
	v_cndmask_b32_e64 v14, v14, v28, s[24:25]
	v_cndmask_b32_e64 v13, v13, v28, s[22:23]
	v_cndmask_b32_e64 v12, v12, v28, s[20:21]
	v_cndmask_b32_e64 v11, v11, v28, s[18:19]
	v_cndmask_b32_e64 v10, v10, v28, s[16:17]
	v_cndmask_b32_e64 v9, v9, v28, s[14:15]
	v_cndmask_b32_e64 v8, v8, v28, s[12:13]
	v_cndmask_b32_e64 v7, v7, v28, s[10:11]
	v_cndmask_b32_e64 v6, v6, v28, s[8:9]
	v_cndmask_b32_e64 v5, v5, v28, s[6:7]
	v_cndmask_b32_e64 v4, v4, v28, s[4:5]
	v_cndmask_b32_e64 v3, v3, v28, s[2:3]
	v_cndmask_b32_e64 v2, v2, v28, s[0:1]
	v_xor_b32_e32 v28, 0x80000000, v28
.LBB24_3:
	s_cmpk_eq_i32 s52, 0x79
	v_add_u32_e32 v109, 0x70, v27
	ds_write_b32 v27, v28
	s_cbranch_scc1 .LBB24_7
; %bb.4:
	s_waitcnt vmcnt(0)
	v_mov_b32_e32 v58, v33
	v_mov_b32_e32 v57, v32
	;; [unrolled: 1-line block ×32, first 2 shown]
	v_cmp_eq_u32_e64 s[2:3], 24, v0
	ds_write_b32 v109, v25
	s_waitcnt lgkmcnt(0)
	; wave barrier
	s_and_saveexec_b64 s[0:1], s[2:3]
	s_cbranch_execz .LBB24_11
; %bb.5:
	s_and_b64 vcc, exec, s[54:55]
	s_cbranch_vccz .LBB24_8
; %bb.6:
	v_cmp_eq_u32_e32 vcc, 1, v0
	v_cndmask_b32_e32 v27, v2, v3, vcc
	v_cmp_eq_u32_e32 vcc, 2, v0
	v_cndmask_b32_e32 v27, v27, v4, vcc
	;; [unrolled: 2-line block ×20, first 2 shown]
	v_cmp_eq_u32_e32 vcc, 21, v0
	ds_read_b32 v28, v109
	v_cndmask_b32_e32 v27, v27, v23, vcc
	v_cmp_eq_u32_e32 vcc, 22, v0
	v_cndmask_b32_e32 v27, v27, v24, vcc
	v_cmp_eq_u32_e32 vcc, 23, v0
	;; [unrolled: 2-line block ×3, first 2 shown]
	v_cndmask_b32_e32 v27, v27, v26, vcc
	s_waitcnt lgkmcnt(0)
	v_mul_f32_e32 v31, v27, v28
	s_cbranch_execz .LBB24_9
	s_branch .LBB24_10
.LBB24_7:
                                        ; implicit-def: $vgpr27_vgpr28_vgpr29_vgpr30_vgpr31_vgpr32_vgpr33_vgpr34_vgpr35_vgpr36_vgpr37_vgpr38_vgpr39_vgpr40_vgpr41_vgpr42_vgpr43_vgpr44_vgpr45_vgpr46_vgpr47_vgpr48_vgpr49_vgpr50_vgpr51_vgpr52_vgpr53_vgpr54_vgpr55_vgpr56_vgpr57_vgpr58
	s_cbranch_execnz .LBB24_370
	s_branch .LBB24_613
.LBB24_8:
                                        ; implicit-def: $vgpr31
.LBB24_9:
	ds_read_b32 v31, v109
.LBB24_10:
	v_mov_b32_e32 v27, 0
	ds_read_b32 v32, v27 offset:92
	v_mov_b32_e32 v27, v2
	v_mov_b32_e32 v28, v3
	;; [unrolled: 1-line block ×4, first 2 shown]
	s_waitcnt lgkmcnt(0)
	v_mul_f32_e32 v50, v31, v32
	v_mov_b32_e32 v31, v6
	v_mov_b32_e32 v32, v7
	;; [unrolled: 1-line block ×20, first 2 shown]
.LBB24_11:
	s_or_b64 exec, exec, s[0:1]
	v_cmp_lt_u32_e64 s[0:1], 22, v0
	ds_write_b32 v109, v49
	s_waitcnt lgkmcnt(0)
	; wave barrier
	s_and_saveexec_b64 s[4:5], s[0:1]
	s_cbranch_execz .LBB24_17
; %bb.12:
	s_andn2_b64 vcc, exec, s[54:55]
	s_cbranch_vccnz .LBB24_14
; %bb.13:
	v_cmp_eq_u32_e32 vcc, 1, v0
	v_cndmask_b32_e32 v52, v27, v28, vcc
	v_cmp_eq_u32_e32 vcc, 2, v0
	v_cndmask_b32_e32 v52, v52, v29, vcc
	;; [unrolled: 2-line block ×22, first 2 shown]
	ds_read_b32 v52, v109
	v_cmp_eq_u32_e32 vcc, 23, v0
	v_cndmask_b32_e32 v49, v49, v50, vcc
	v_cmp_eq_u32_e32 vcc, 24, v0
	v_cndmask_b32_e32 v49, v49, v51, vcc
	s_waitcnt lgkmcnt(0)
	v_mul_f32_e32 v49, v49, v52
	s_cbranch_execz .LBB24_15
	s_branch .LBB24_16
.LBB24_14:
                                        ; implicit-def: $vgpr49
.LBB24_15:
	ds_read_b32 v49, v109
.LBB24_16:
	v_mov_b32_e32 v52, 0
	ds_read2_b32 v[52:53], v52 offset0:22 offset1:51
	s_waitcnt lgkmcnt(0)
	v_fma_f32 v53, v50, v53, v49
	v_cndmask_b32_e64 v49, v49, v53, s[2:3]
	v_mul_f32_e32 v49, v49, v52
.LBB24_17:
	s_or_b64 exec, exec, s[4:5]
	v_cmp_lt_u32_e64 s[2:3], 21, v0
	ds_write_b32 v109, v48
	s_waitcnt lgkmcnt(0)
	; wave barrier
	s_and_saveexec_b64 s[4:5], s[2:3]
	s_cbranch_execz .LBB24_33
; %bb.18:
	s_andn2_b64 vcc, exec, s[54:55]
	s_cbranch_vccnz .LBB24_20
; %bb.19:
	v_cmp_eq_u32_e32 vcc, 1, v0
	v_cndmask_b32_e32 v110, v27, v28, vcc
	v_cmp_eq_u32_e32 vcc, 2, v0
	v_cndmask_b32_e32 v110, v110, v29, vcc
	;; [unrolled: 2-line block ×20, first 2 shown]
	v_cmp_eq_u32_e32 vcc, 21, v0
	ds_read_b32 v111, v109
	v_cndmask_b32_e32 v110, v110, v48, vcc
	v_cmp_eq_u32_e32 vcc, 22, v0
	v_cndmask_b32_e32 v110, v110, v49, vcc
	v_cmp_eq_u32_e32 vcc, 23, v0
	;; [unrolled: 2-line block ×3, first 2 shown]
	v_cndmask_b32_e32 v110, v110, v51, vcc
	s_waitcnt lgkmcnt(0)
	v_mul_f32_e32 v110, v110, v111
	s_cbranch_execz .LBB24_21
	s_branch .LBB24_22
.LBB24_20:
                                        ; implicit-def: $vgpr110
.LBB24_21:
	ds_read_b32 v110, v109
.LBB24_22:
	s_and_saveexec_b64 s[6:7], s[0:1]
	s_cbranch_execz .LBB24_32
; %bb.23:
	v_subrev_u32_e32 v113, 23, v0
	v_mov_b32_e32 v111, 22
	v_subrev_u32_e32 v112, 22, v0
	v_cmp_lt_u32_e32 vcc, 6, v113
	s_and_saveexec_b64 s[0:1], vcc
	s_cbranch_execz .LBB24_27
; %bb.24:
	v_and_b32_e32 v111, -8, v112
	v_sub_u32_e32 v113, 0, v111
	s_mov_b64 s[8:9], 29
	s_movk_i32 s12, 0xc8
	s_mov_b64 s[10:11], 0
.LBB24_25:                              ; =>This Inner Loop Header: Depth=1
	s_add_i32 s13, s8, -7
	v_mov_b32_e32 v118, s12
	s_set_gpr_idx_on s13, gpr_idx(SRC0)
	v_mov_b32_e32 v111, v27
	s_set_gpr_idx_off
	ds_read2_b64 v[114:117], v118 offset1:1
	s_add_i32 s13, s8, -6
	s_waitcnt lgkmcnt(0)
	v_fmac_f32_e32 v110, v111, v114
	s_set_gpr_idx_on s13, gpr_idx(SRC0)
	v_mov_b32_e32 v111, v27
	s_set_gpr_idx_off
	s_add_i32 s13, s8, -5
	v_fmac_f32_e32 v110, v111, v115
	s_set_gpr_idx_on s13, gpr_idx(SRC0)
	v_mov_b32_e32 v111, v27
	s_set_gpr_idx_off
	s_add_i32 s13, s8, -4
	;; [unrolled: 5-line block ×3, first 2 shown]
	v_fmac_f32_e32 v110, v111, v117
	s_set_gpr_idx_on s13, gpr_idx(SRC0)
	v_mov_b32_e32 v111, v27
	s_set_gpr_idx_off
	ds_read2_b64 v[114:117], v118 offset0:2 offset1:3
	s_add_i32 s13, s8, -2
	s_waitcnt lgkmcnt(0)
	v_fmac_f32_e32 v110, v111, v114
	s_set_gpr_idx_on s13, gpr_idx(SRC0)
	v_mov_b32_e32 v111, v27
	s_set_gpr_idx_off
	s_add_i32 s13, s8, -1
	v_fmac_f32_e32 v110, v111, v115
	s_set_gpr_idx_on s13, gpr_idx(SRC0)
	v_mov_b32_e32 v111, v27
	s_set_gpr_idx_off
	v_fmac_f32_e32 v110, v111, v116
	s_set_gpr_idx_on s8, gpr_idx(SRC0)
	v_mov_b32_e32 v111, v27
	s_set_gpr_idx_off
	s_add_u32 s8, s8, 8
	v_fmac_f32_e32 v110, v111, v117
	v_add_u32_e32 v111, s8, v113
	s_addc_u32 s9, s9, 0
	s_add_i32 s12, s12, 32
	v_cmp_eq_u32_e32 vcc, 29, v111
	s_add_i32 s13, s8, -7
	s_or_b64 s[10:11], vcc, s[10:11]
	v_mov_b32_e32 v111, s13
	s_andn2_b64 exec, exec, s[10:11]
	s_cbranch_execnz .LBB24_25
; %bb.26:
	s_or_b64 exec, exec, s[10:11]
.LBB24_27:
	s_or_b64 exec, exec, s[0:1]
	v_and_b32_e32 v52, 7, v112
	v_cmp_ne_u32_e32 vcc, 0, v52
	s_and_saveexec_b64 s[8:9], vcc
	s_cbranch_execz .LBB24_31
; %bb.28:
	v_mov_b32_e32 v53, 0x70
	v_lshl_add_u32 v53, v111, 2, v53
	v_mov_b32_e32 v54, 0
	s_mov_b64 s[10:11], 0
.LBB24_29:                              ; =>This Inner Loop Header: Depth=1
	v_cmp_eq_u32_e32 vcc, 1, v111
	v_cndmask_b32_e32 v55, v27, v28, vcc
	v_add_u32_e32 v52, -1, v52
	v_cmp_eq_u32_e32 vcc, 2, v111
	v_cndmask_b32_e32 v55, v55, v29, vcc
	v_cmp_eq_u32_e32 vcc, 0, v52
	v_cmp_eq_u32_e64 s[0:1], 3, v111
	v_cndmask_b32_e64 v55, v55, v30, s[0:1]
	s_or_b64 s[10:11], vcc, s[10:11]
	v_cmp_eq_u32_e32 vcc, 4, v111
	v_cndmask_b32_e32 v55, v55, v31, vcc
	v_cmp_eq_u32_e32 vcc, 5, v111
	v_cndmask_b32_e32 v55, v55, v32, vcc
	;; [unrolled: 2-line block ×16, first 2 shown]
	v_cmp_eq_u32_e32 vcc, 20, v111
	ds_read_b32 v56, v53
	v_cndmask_b32_e32 v55, v55, v47, vcc
	v_cmp_eq_u32_e32 vcc, 21, v111
	v_cndmask_b32_e32 v55, v55, v48, vcc
	v_cmp_eq_u32_e32 vcc, 22, v111
	;; [unrolled: 2-line block ×4, first 2 shown]
	v_add_co_u32_e64 v111, s[0:1], 1, v111
	v_cndmask_b32_e32 v55, v55, v51, vcc
	v_add_u32_e32 v53, 4, v53
	v_addc_co_u32_e64 v54, s[0:1], 0, v54, s[0:1]
	s_waitcnt lgkmcnt(0)
	v_fmac_f32_e32 v110, v55, v56
	s_andn2_b64 exec, exec, s[10:11]
	s_cbranch_execnz .LBB24_29
; %bb.30:
	s_or_b64 exec, exec, s[10:11]
.LBB24_31:
	s_or_b64 exec, exec, s[8:9]
.LBB24_32:
	s_or_b64 exec, exec, s[6:7]
	v_mov_b32_e32 v48, 0
	ds_read_b32 v48, v48 offset:84
	s_waitcnt lgkmcnt(0)
	v_mul_f32_e32 v48, v110, v48
.LBB24_33:
	s_or_b64 exec, exec, s[4:5]
	v_cmp_lt_u32_e64 s[0:1], 20, v0
	ds_write_b32 v109, v47
	s_waitcnt lgkmcnt(0)
	; wave barrier
	s_and_saveexec_b64 s[4:5], s[0:1]
	s_cbranch_execz .LBB24_49
; %bb.34:
	s_andn2_b64 vcc, exec, s[54:55]
	s_cbranch_vccnz .LBB24_36
; %bb.35:
	v_cmp_eq_u32_e32 vcc, 1, v0
	v_cndmask_b32_e32 v110, v27, v28, vcc
	v_cmp_eq_u32_e32 vcc, 2, v0
	v_cndmask_b32_e32 v110, v110, v29, vcc
	;; [unrolled: 2-line block ×20, first 2 shown]
	v_cmp_eq_u32_e32 vcc, 21, v0
	ds_read_b32 v111, v109
	v_cndmask_b32_e32 v110, v110, v48, vcc
	v_cmp_eq_u32_e32 vcc, 22, v0
	v_cndmask_b32_e32 v110, v110, v49, vcc
	v_cmp_eq_u32_e32 vcc, 23, v0
	v_cndmask_b32_e32 v110, v110, v50, vcc
	v_cmp_eq_u32_e32 vcc, 24, v0
	v_cndmask_b32_e32 v110, v110, v51, vcc
	s_waitcnt lgkmcnt(0)
	v_mul_f32_e32 v110, v110, v111
	s_cbranch_execz .LBB24_37
	s_branch .LBB24_38
.LBB24_36:
                                        ; implicit-def: $vgpr110
.LBB24_37:
	ds_read_b32 v110, v109
.LBB24_38:
	s_and_saveexec_b64 s[6:7], s[2:3]
	s_cbranch_execz .LBB24_48
; %bb.39:
	v_subrev_u32_e32 v113, 22, v0
	v_mov_b32_e32 v111, 21
	v_subrev_u32_e32 v112, 21, v0
	v_cmp_lt_u32_e32 vcc, 6, v113
	s_and_saveexec_b64 s[2:3], vcc
	s_cbranch_execz .LBB24_43
; %bb.40:
	v_and_b32_e32 v111, -8, v112
	v_sub_u32_e32 v113, 0, v111
	s_mov_b64 s[8:9], 28
	s_movk_i32 s12, 0xc4
	s_mov_b64 s[10:11], 0
.LBB24_41:                              ; =>This Inner Loop Header: Depth=1
	s_add_i32 s13, s8, -7
	v_mov_b32_e32 v116, s12
	s_set_gpr_idx_on s13, gpr_idx(SRC0)
	v_mov_b32_e32 v111, v27
	s_set_gpr_idx_off
	ds_read2_b32 v[114:115], v116 offset1:1
	s_add_i32 s13, s8, -6
	s_waitcnt lgkmcnt(0)
	v_fmac_f32_e32 v110, v111, v114
	s_set_gpr_idx_on s13, gpr_idx(SRC0)
	v_mov_b32_e32 v111, v27
	s_set_gpr_idx_off
	s_add_i32 s13, s8, -5
	v_fmac_f32_e32 v110, v111, v115
	s_set_gpr_idx_on s13, gpr_idx(SRC0)
	v_mov_b32_e32 v111, v27
	s_set_gpr_idx_off
	ds_read2_b32 v[114:115], v116 offset0:2 offset1:3
	s_add_i32 s13, s8, -4
	s_waitcnt lgkmcnt(0)
	v_fmac_f32_e32 v110, v111, v114
	s_set_gpr_idx_on s13, gpr_idx(SRC0)
	v_mov_b32_e32 v111, v27
	s_set_gpr_idx_off
	s_add_i32 s13, s8, -3
	v_fmac_f32_e32 v110, v111, v115
	s_set_gpr_idx_on s13, gpr_idx(SRC0)
	v_mov_b32_e32 v111, v27
	s_set_gpr_idx_off
	ds_read2_b32 v[114:115], v116 offset0:4 offset1:5
	;; [unrolled: 12-line block ×3, first 2 shown]
	s_waitcnt lgkmcnt(0)
	v_fmac_f32_e32 v110, v111, v114
	s_set_gpr_idx_on s8, gpr_idx(SRC0)
	v_mov_b32_e32 v111, v27
	s_set_gpr_idx_off
	s_add_u32 s8, s8, 8
	v_fmac_f32_e32 v110, v111, v115
	v_add_u32_e32 v111, s8, v113
	s_addc_u32 s9, s9, 0
	s_add_i32 s12, s12, 32
	v_cmp_eq_u32_e32 vcc, 28, v111
	s_add_i32 s13, s8, -7
	s_or_b64 s[10:11], vcc, s[10:11]
	v_mov_b32_e32 v111, s13
	s_andn2_b64 exec, exec, s[10:11]
	s_cbranch_execnz .LBB24_41
; %bb.42:
	s_or_b64 exec, exec, s[10:11]
.LBB24_43:
	s_or_b64 exec, exec, s[2:3]
	v_and_b32_e32 v52, 7, v112
	v_cmp_ne_u32_e32 vcc, 0, v52
	s_and_saveexec_b64 s[8:9], vcc
	s_cbranch_execz .LBB24_47
; %bb.44:
	v_mov_b32_e32 v53, 0x70
	v_lshl_add_u32 v53, v111, 2, v53
	v_mov_b32_e32 v54, 0
	s_mov_b64 s[10:11], 0
.LBB24_45:                              ; =>This Inner Loop Header: Depth=1
	v_cmp_eq_u32_e32 vcc, 1, v111
	v_cndmask_b32_e32 v55, v27, v28, vcc
	v_add_u32_e32 v52, -1, v52
	v_cmp_eq_u32_e32 vcc, 2, v111
	v_cndmask_b32_e32 v55, v55, v29, vcc
	v_cmp_eq_u32_e32 vcc, 0, v52
	v_cmp_eq_u32_e64 s[2:3], 3, v111
	v_cndmask_b32_e64 v55, v55, v30, s[2:3]
	s_or_b64 s[10:11], vcc, s[10:11]
	v_cmp_eq_u32_e32 vcc, 4, v111
	v_cndmask_b32_e32 v55, v55, v31, vcc
	v_cmp_eq_u32_e32 vcc, 5, v111
	v_cndmask_b32_e32 v55, v55, v32, vcc
	;; [unrolled: 2-line block ×16, first 2 shown]
	v_cmp_eq_u32_e32 vcc, 20, v111
	ds_read_b32 v56, v53
	v_cndmask_b32_e32 v55, v55, v47, vcc
	v_cmp_eq_u32_e32 vcc, 21, v111
	v_cndmask_b32_e32 v55, v55, v48, vcc
	v_cmp_eq_u32_e32 vcc, 22, v111
	;; [unrolled: 2-line block ×4, first 2 shown]
	v_add_co_u32_e64 v111, s[2:3], 1, v111
	v_cndmask_b32_e32 v55, v55, v51, vcc
	v_add_u32_e32 v53, 4, v53
	v_addc_co_u32_e64 v54, s[2:3], 0, v54, s[2:3]
	s_waitcnt lgkmcnt(0)
	v_fmac_f32_e32 v110, v55, v56
	s_andn2_b64 exec, exec, s[10:11]
	s_cbranch_execnz .LBB24_45
; %bb.46:
	s_or_b64 exec, exec, s[10:11]
.LBB24_47:
	s_or_b64 exec, exec, s[8:9]
.LBB24_48:
	s_or_b64 exec, exec, s[6:7]
	v_mov_b32_e32 v47, 0
	ds_read_b32 v47, v47 offset:80
	s_waitcnt lgkmcnt(0)
	v_mul_f32_e32 v47, v110, v47
.LBB24_49:
	s_or_b64 exec, exec, s[4:5]
	v_cmp_lt_u32_e64 s[2:3], 19, v0
	ds_write_b32 v109, v46
	s_waitcnt lgkmcnt(0)
	; wave barrier
	s_and_saveexec_b64 s[4:5], s[2:3]
	s_cbranch_execz .LBB24_65
; %bb.50:
	s_andn2_b64 vcc, exec, s[54:55]
	s_cbranch_vccnz .LBB24_52
; %bb.51:
	v_cmp_eq_u32_e32 vcc, 1, v0
	v_cndmask_b32_e32 v110, v27, v28, vcc
	v_cmp_eq_u32_e32 vcc, 2, v0
	v_cndmask_b32_e32 v110, v110, v29, vcc
	;; [unrolled: 2-line block ×20, first 2 shown]
	v_cmp_eq_u32_e32 vcc, 21, v0
	ds_read_b32 v111, v109
	v_cndmask_b32_e32 v110, v110, v48, vcc
	v_cmp_eq_u32_e32 vcc, 22, v0
	v_cndmask_b32_e32 v110, v110, v49, vcc
	v_cmp_eq_u32_e32 vcc, 23, v0
	;; [unrolled: 2-line block ×3, first 2 shown]
	v_cndmask_b32_e32 v110, v110, v51, vcc
	s_waitcnt lgkmcnt(0)
	v_mul_f32_e32 v110, v110, v111
	s_cbranch_execz .LBB24_53
	s_branch .LBB24_54
.LBB24_52:
                                        ; implicit-def: $vgpr110
.LBB24_53:
	ds_read_b32 v110, v109
.LBB24_54:
	s_and_saveexec_b64 s[6:7], s[0:1]
	s_cbranch_execz .LBB24_64
; %bb.55:
	v_subrev_u32_e32 v113, 21, v0
	v_mov_b32_e32 v111, 20
	v_subrev_u32_e32 v112, 20, v0
	v_cmp_lt_u32_e32 vcc, 6, v113
	s_and_saveexec_b64 s[0:1], vcc
	s_cbranch_execz .LBB24_59
; %bb.56:
	v_and_b32_e32 v111, -8, v112
	v_sub_u32_e32 v113, 0, v111
	s_mov_b64 s[8:9], 27
	s_movk_i32 s12, 0xc0
	s_mov_b64 s[10:11], 0
.LBB24_57:                              ; =>This Inner Loop Header: Depth=1
	s_add_i32 s13, s8, -7
	v_mov_b32_e32 v111, s12
	s_add_i32 s14, s8, -6
	s_set_gpr_idx_on s13, gpr_idx(SRC0)
	v_mov_b32_e32 v122, v27
	s_set_gpr_idx_off
	s_add_i32 s15, s8, -5
	ds_read_b128 v[114:117], v111
	ds_read_b128 v[118:121], v111 offset:16
	s_set_gpr_idx_on s14, gpr_idx(SRC0)
	v_mov_b32_e32 v111, v27
	s_set_gpr_idx_off
	s_add_i32 s16, s8, -4
	s_set_gpr_idx_on s15, gpr_idx(SRC0)
	v_mov_b32_e32 v123, v27
	s_set_gpr_idx_off
	s_add_i32 s17, s8, -3
	;; [unrolled: 4-line block ×4, first 2 shown]
	s_waitcnt lgkmcnt(1)
	v_fmac_f32_e32 v110, v122, v114
	s_set_gpr_idx_on s18, gpr_idx(SRC0)
	v_mov_b32_e32 v114, v27
	s_set_gpr_idx_off
	v_fmac_f32_e32 v110, v111, v115
	s_set_gpr_idx_on s19, gpr_idx(SRC0)
	v_mov_b32_e32 v115, v27
	s_set_gpr_idx_off
	;; [unrolled: 4-line block ×3, first 2 shown]
	v_fmac_f32_e32 v110, v124, v117
	s_add_u32 s8, s8, 8
	s_waitcnt lgkmcnt(0)
	v_fmac_f32_e32 v110, v125, v118
	v_add_u32_e32 v111, s8, v113
	v_fmac_f32_e32 v110, v114, v119
	s_addc_u32 s9, s9, 0
	s_add_i32 s12, s12, 32
	s_add_i32 s13, s8, -7
	v_cmp_eq_u32_e32 vcc, 27, v111
	v_fmac_f32_e32 v110, v115, v120
	v_mov_b32_e32 v111, s13
	s_or_b64 s[10:11], vcc, s[10:11]
	v_fmac_f32_e32 v110, v116, v121
	s_andn2_b64 exec, exec, s[10:11]
	s_cbranch_execnz .LBB24_57
; %bb.58:
	s_or_b64 exec, exec, s[10:11]
.LBB24_59:
	s_or_b64 exec, exec, s[0:1]
	v_and_b32_e32 v52, 7, v112
	v_cmp_ne_u32_e32 vcc, 0, v52
	s_and_saveexec_b64 s[8:9], vcc
	s_cbranch_execz .LBB24_63
; %bb.60:
	v_mov_b32_e32 v53, 0x70
	v_lshl_add_u32 v53, v111, 2, v53
	v_mov_b32_e32 v54, 0
	s_mov_b64 s[10:11], 0
.LBB24_61:                              ; =>This Inner Loop Header: Depth=1
	v_cmp_eq_u32_e32 vcc, 1, v111
	v_cndmask_b32_e32 v55, v27, v28, vcc
	v_add_u32_e32 v52, -1, v52
	v_cmp_eq_u32_e32 vcc, 2, v111
	v_cndmask_b32_e32 v55, v55, v29, vcc
	v_cmp_eq_u32_e32 vcc, 0, v52
	v_cmp_eq_u32_e64 s[0:1], 3, v111
	v_cndmask_b32_e64 v55, v55, v30, s[0:1]
	s_or_b64 s[10:11], vcc, s[10:11]
	v_cmp_eq_u32_e32 vcc, 4, v111
	v_cndmask_b32_e32 v55, v55, v31, vcc
	v_cmp_eq_u32_e32 vcc, 5, v111
	v_cndmask_b32_e32 v55, v55, v32, vcc
	;; [unrolled: 2-line block ×16, first 2 shown]
	v_cmp_eq_u32_e32 vcc, 20, v111
	ds_read_b32 v56, v53
	v_cndmask_b32_e32 v55, v55, v47, vcc
	v_cmp_eq_u32_e32 vcc, 21, v111
	v_cndmask_b32_e32 v55, v55, v48, vcc
	v_cmp_eq_u32_e32 vcc, 22, v111
	v_cndmask_b32_e32 v55, v55, v49, vcc
	v_cmp_eq_u32_e32 vcc, 23, v111
	v_cndmask_b32_e32 v55, v55, v50, vcc
	v_cmp_eq_u32_e32 vcc, 24, v111
	v_add_co_u32_e64 v111, s[0:1], 1, v111
	v_cndmask_b32_e32 v55, v55, v51, vcc
	v_add_u32_e32 v53, 4, v53
	v_addc_co_u32_e64 v54, s[0:1], 0, v54, s[0:1]
	s_waitcnt lgkmcnt(0)
	v_fmac_f32_e32 v110, v55, v56
	s_andn2_b64 exec, exec, s[10:11]
	s_cbranch_execnz .LBB24_61
; %bb.62:
	s_or_b64 exec, exec, s[10:11]
.LBB24_63:
	s_or_b64 exec, exec, s[8:9]
.LBB24_64:
	s_or_b64 exec, exec, s[6:7]
	v_mov_b32_e32 v46, 0
	ds_read_b32 v46, v46 offset:76
	s_waitcnt lgkmcnt(0)
	v_mul_f32_e32 v46, v110, v46
.LBB24_65:
	s_or_b64 exec, exec, s[4:5]
	v_cmp_lt_u32_e64 s[0:1], 18, v0
	ds_write_b32 v109, v45
	s_waitcnt lgkmcnt(0)
	; wave barrier
	s_and_saveexec_b64 s[4:5], s[0:1]
	s_cbranch_execz .LBB24_81
; %bb.66:
	s_andn2_b64 vcc, exec, s[54:55]
	s_cbranch_vccnz .LBB24_68
; %bb.67:
	v_cmp_eq_u32_e32 vcc, 1, v0
	v_cndmask_b32_e32 v110, v27, v28, vcc
	v_cmp_eq_u32_e32 vcc, 2, v0
	v_cndmask_b32_e32 v110, v110, v29, vcc
	;; [unrolled: 2-line block ×20, first 2 shown]
	v_cmp_eq_u32_e32 vcc, 21, v0
	ds_read_b32 v111, v109
	v_cndmask_b32_e32 v110, v110, v48, vcc
	v_cmp_eq_u32_e32 vcc, 22, v0
	v_cndmask_b32_e32 v110, v110, v49, vcc
	v_cmp_eq_u32_e32 vcc, 23, v0
	v_cndmask_b32_e32 v110, v110, v50, vcc
	v_cmp_eq_u32_e32 vcc, 24, v0
	v_cndmask_b32_e32 v110, v110, v51, vcc
	s_waitcnt lgkmcnt(0)
	v_mul_f32_e32 v110, v110, v111
	s_cbranch_execz .LBB24_69
	s_branch .LBB24_70
.LBB24_68:
                                        ; implicit-def: $vgpr110
.LBB24_69:
	ds_read_b32 v110, v109
.LBB24_70:
	s_and_saveexec_b64 s[6:7], s[2:3]
	s_cbranch_execz .LBB24_80
; %bb.71:
	v_subrev_u32_e32 v113, 20, v0
	v_mov_b32_e32 v111, 19
	v_subrev_u32_e32 v112, 19, v0
	v_cmp_lt_u32_e32 vcc, 6, v113
	s_and_saveexec_b64 s[2:3], vcc
	s_cbranch_execz .LBB24_75
; %bb.72:
	v_and_b32_e32 v111, -8, v112
	v_sub_u32_e32 v113, 0, v111
	s_mov_b64 s[8:9], 26
	s_movk_i32 s12, 0xbc
	s_mov_b64 s[10:11], 0
.LBB24_73:                              ; =>This Inner Loop Header: Depth=1
	s_add_i32 s13, s8, -7
	v_mov_b32_e32 v111, s12
	s_add_i32 s14, s8, -6
	s_set_gpr_idx_on s13, gpr_idx(SRC0)
	v_mov_b32_e32 v120, v27
	s_set_gpr_idx_off
	ds_read2_b32 v[114:115], v111 offset1:1
	s_add_i32 s15, s8, -5
	s_set_gpr_idx_on s14, gpr_idx(SRC0)
	v_mov_b32_e32 v121, v27
	s_set_gpr_idx_off
	s_add_i32 s16, s8, -4
	s_set_gpr_idx_on s15, gpr_idx(SRC0)
	v_mov_b32_e32 v122, v27
	s_set_gpr_idx_off
	ds_read2_b32 v[116:117], v111 offset0:2 offset1:3
	s_add_i32 s17, s8, -3
	s_set_gpr_idx_on s16, gpr_idx(SRC0)
	v_mov_b32_e32 v123, v27
	s_set_gpr_idx_off
	s_add_i32 s18, s8, -2
	s_set_gpr_idx_on s17, gpr_idx(SRC0)
	v_mov_b32_e32 v124, v27
	s_set_gpr_idx_off
	ds_read2_b32 v[118:119], v111 offset0:4 offset1:5
	s_add_i32 s19, s8, -1
	s_waitcnt lgkmcnt(2)
	v_fmac_f32_e32 v110, v120, v114
	s_set_gpr_idx_on s18, gpr_idx(SRC0)
	v_mov_b32_e32 v120, v27
	s_set_gpr_idx_off
	v_fmac_f32_e32 v110, v121, v115
	s_set_gpr_idx_on s19, gpr_idx(SRC0)
	v_mov_b32_e32 v121, v27
	s_set_gpr_idx_off
	ds_read2_b32 v[114:115], v111 offset0:6 offset1:7
	s_waitcnt lgkmcnt(2)
	v_fmac_f32_e32 v110, v122, v116
	s_set_gpr_idx_on s8, gpr_idx(SRC0)
	v_mov_b32_e32 v116, v27
	s_set_gpr_idx_off
	v_fmac_f32_e32 v110, v123, v117
	s_add_u32 s8, s8, 8
	s_waitcnt lgkmcnt(1)
	v_fmac_f32_e32 v110, v124, v118
	v_add_u32_e32 v111, s8, v113
	v_fmac_f32_e32 v110, v120, v119
	s_addc_u32 s9, s9, 0
	s_add_i32 s12, s12, 32
	s_add_i32 s13, s8, -7
	v_cmp_eq_u32_e32 vcc, 26, v111
	s_waitcnt lgkmcnt(0)
	v_fmac_f32_e32 v110, v121, v114
	v_mov_b32_e32 v111, s13
	s_or_b64 s[10:11], vcc, s[10:11]
	v_fmac_f32_e32 v110, v116, v115
	s_andn2_b64 exec, exec, s[10:11]
	s_cbranch_execnz .LBB24_73
; %bb.74:
	s_or_b64 exec, exec, s[10:11]
.LBB24_75:
	s_or_b64 exec, exec, s[2:3]
	v_and_b32_e32 v52, 7, v112
	v_cmp_ne_u32_e32 vcc, 0, v52
	s_and_saveexec_b64 s[8:9], vcc
	s_cbranch_execz .LBB24_79
; %bb.76:
	v_mov_b32_e32 v53, 0x70
	v_lshl_add_u32 v53, v111, 2, v53
	v_mov_b32_e32 v54, 0
	s_mov_b64 s[10:11], 0
.LBB24_77:                              ; =>This Inner Loop Header: Depth=1
	v_cmp_eq_u32_e32 vcc, 1, v111
	v_cndmask_b32_e32 v55, v27, v28, vcc
	v_add_u32_e32 v52, -1, v52
	v_cmp_eq_u32_e32 vcc, 2, v111
	v_cndmask_b32_e32 v55, v55, v29, vcc
	v_cmp_eq_u32_e32 vcc, 0, v52
	v_cmp_eq_u32_e64 s[2:3], 3, v111
	v_cndmask_b32_e64 v55, v55, v30, s[2:3]
	s_or_b64 s[10:11], vcc, s[10:11]
	v_cmp_eq_u32_e32 vcc, 4, v111
	v_cndmask_b32_e32 v55, v55, v31, vcc
	v_cmp_eq_u32_e32 vcc, 5, v111
	v_cndmask_b32_e32 v55, v55, v32, vcc
	;; [unrolled: 2-line block ×16, first 2 shown]
	v_cmp_eq_u32_e32 vcc, 20, v111
	ds_read_b32 v56, v53
	v_cndmask_b32_e32 v55, v55, v47, vcc
	v_cmp_eq_u32_e32 vcc, 21, v111
	v_cndmask_b32_e32 v55, v55, v48, vcc
	v_cmp_eq_u32_e32 vcc, 22, v111
	;; [unrolled: 2-line block ×4, first 2 shown]
	v_add_co_u32_e64 v111, s[2:3], 1, v111
	v_cndmask_b32_e32 v55, v55, v51, vcc
	v_add_u32_e32 v53, 4, v53
	v_addc_co_u32_e64 v54, s[2:3], 0, v54, s[2:3]
	s_waitcnt lgkmcnt(0)
	v_fmac_f32_e32 v110, v55, v56
	s_andn2_b64 exec, exec, s[10:11]
	s_cbranch_execnz .LBB24_77
; %bb.78:
	s_or_b64 exec, exec, s[10:11]
.LBB24_79:
	s_or_b64 exec, exec, s[8:9]
.LBB24_80:
	s_or_b64 exec, exec, s[6:7]
	v_mov_b32_e32 v45, 0
	ds_read_b32 v45, v45 offset:72
	s_waitcnt lgkmcnt(0)
	v_mul_f32_e32 v45, v110, v45
.LBB24_81:
	s_or_b64 exec, exec, s[4:5]
	v_cmp_lt_u32_e64 s[2:3], 17, v0
	ds_write_b32 v109, v44
	s_waitcnt lgkmcnt(0)
	; wave barrier
	s_and_saveexec_b64 s[4:5], s[2:3]
	s_cbranch_execz .LBB24_97
; %bb.82:
	s_andn2_b64 vcc, exec, s[54:55]
	s_cbranch_vccnz .LBB24_84
; %bb.83:
	v_cmp_eq_u32_e32 vcc, 1, v0
	v_cndmask_b32_e32 v110, v27, v28, vcc
	v_cmp_eq_u32_e32 vcc, 2, v0
	v_cndmask_b32_e32 v110, v110, v29, vcc
	v_cmp_eq_u32_e32 vcc, 3, v0
	v_cndmask_b32_e32 v110, v110, v30, vcc
	v_cmp_eq_u32_e32 vcc, 4, v0
	v_cndmask_b32_e32 v110, v110, v31, vcc
	v_cmp_eq_u32_e32 vcc, 5, v0
	v_cndmask_b32_e32 v110, v110, v32, vcc
	v_cmp_eq_u32_e32 vcc, 6, v0
	v_cndmask_b32_e32 v110, v110, v33, vcc
	v_cmp_eq_u32_e32 vcc, 7, v0
	v_cndmask_b32_e32 v110, v110, v34, vcc
	v_cmp_eq_u32_e32 vcc, 8, v0
	v_cndmask_b32_e32 v110, v110, v35, vcc
	v_cmp_eq_u32_e32 vcc, 9, v0
	v_cndmask_b32_e32 v110, v110, v36, vcc
	v_cmp_eq_u32_e32 vcc, 10, v0
	v_cndmask_b32_e32 v110, v110, v37, vcc
	v_cmp_eq_u32_e32 vcc, 11, v0
	v_cndmask_b32_e32 v110, v110, v38, vcc
	v_cmp_eq_u32_e32 vcc, 12, v0
	v_cndmask_b32_e32 v110, v110, v39, vcc
	v_cmp_eq_u32_e32 vcc, 13, v0
	v_cndmask_b32_e32 v110, v110, v40, vcc
	v_cmp_eq_u32_e32 vcc, 14, v0
	v_cndmask_b32_e32 v110, v110, v41, vcc
	v_cmp_eq_u32_e32 vcc, 15, v0
	v_cndmask_b32_e32 v110, v110, v42, vcc
	v_cmp_eq_u32_e32 vcc, 16, v0
	v_cndmask_b32_e32 v110, v110, v43, vcc
	v_cmp_eq_u32_e32 vcc, 17, v0
	v_cndmask_b32_e32 v110, v110, v44, vcc
	v_cmp_eq_u32_e32 vcc, 18, v0
	v_cndmask_b32_e32 v110, v110, v45, vcc
	v_cmp_eq_u32_e32 vcc, 19, v0
	v_cndmask_b32_e32 v110, v110, v46, vcc
	v_cmp_eq_u32_e32 vcc, 20, v0
	v_cndmask_b32_e32 v110, v110, v47, vcc
	v_cmp_eq_u32_e32 vcc, 21, v0
	ds_read_b32 v111, v109
	v_cndmask_b32_e32 v110, v110, v48, vcc
	v_cmp_eq_u32_e32 vcc, 22, v0
	v_cndmask_b32_e32 v110, v110, v49, vcc
	v_cmp_eq_u32_e32 vcc, 23, v0
	;; [unrolled: 2-line block ×3, first 2 shown]
	v_cndmask_b32_e32 v110, v110, v51, vcc
	s_waitcnt lgkmcnt(0)
	v_mul_f32_e32 v110, v110, v111
	s_cbranch_execz .LBB24_85
	s_branch .LBB24_86
.LBB24_84:
                                        ; implicit-def: $vgpr110
.LBB24_85:
	ds_read_b32 v110, v109
.LBB24_86:
	s_and_saveexec_b64 s[6:7], s[0:1]
	s_cbranch_execz .LBB24_96
; %bb.87:
	v_subrev_u32_e32 v113, 19, v0
	v_mov_b32_e32 v111, 18
	v_subrev_u32_e32 v112, 18, v0
	v_cmp_lt_u32_e32 vcc, 6, v113
	s_and_saveexec_b64 s[0:1], vcc
	s_cbranch_execz .LBB24_91
; %bb.88:
	v_and_b32_e32 v111, -8, v112
	v_sub_u32_e32 v113, 0, v111
	s_mov_b64 s[8:9], 25
	s_movk_i32 s12, 0xb8
	s_mov_b64 s[10:11], 0
.LBB24_89:                              ; =>This Inner Loop Header: Depth=1
	s_add_i32 s13, s8, -7
	v_mov_b32_e32 v111, s12
	s_add_i32 s14, s8, -6
	s_set_gpr_idx_on s13, gpr_idx(SRC0)
	v_mov_b32_e32 v122, v27
	s_set_gpr_idx_off
	ds_read2_b64 v[114:117], v111 offset1:1
	s_add_i32 s15, s8, -5
	s_set_gpr_idx_on s14, gpr_idx(SRC0)
	v_mov_b32_e32 v123, v27
	s_set_gpr_idx_off
	s_add_i32 s16, s8, -4
	s_set_gpr_idx_on s15, gpr_idx(SRC0)
	v_mov_b32_e32 v124, v27
	s_set_gpr_idx_off
	;; [unrolled: 4-line block ×4, first 2 shown]
	ds_read2_b64 v[118:121], v111 offset0:2 offset1:3
	s_add_i32 s19, s8, -1
	s_waitcnt lgkmcnt(1)
	v_fmac_f32_e32 v110, v122, v114
	s_set_gpr_idx_on s18, gpr_idx(SRC0)
	v_mov_b32_e32 v114, v27
	s_set_gpr_idx_off
	v_fmac_f32_e32 v110, v123, v115
	s_set_gpr_idx_on s19, gpr_idx(SRC0)
	v_mov_b32_e32 v115, v27
	s_set_gpr_idx_off
	;; [unrolled: 4-line block ×3, first 2 shown]
	v_fmac_f32_e32 v110, v125, v117
	s_add_u32 s8, s8, 8
	s_waitcnt lgkmcnt(0)
	v_fmac_f32_e32 v110, v126, v118
	v_add_u32_e32 v111, s8, v113
	v_fmac_f32_e32 v110, v114, v119
	s_addc_u32 s9, s9, 0
	s_add_i32 s12, s12, 32
	s_add_i32 s13, s8, -7
	v_cmp_eq_u32_e32 vcc, 25, v111
	v_fmac_f32_e32 v110, v115, v120
	v_mov_b32_e32 v111, s13
	s_or_b64 s[10:11], vcc, s[10:11]
	v_fmac_f32_e32 v110, v116, v121
	s_andn2_b64 exec, exec, s[10:11]
	s_cbranch_execnz .LBB24_89
; %bb.90:
	s_or_b64 exec, exec, s[10:11]
.LBB24_91:
	s_or_b64 exec, exec, s[0:1]
	v_and_b32_e32 v52, 7, v112
	v_cmp_ne_u32_e32 vcc, 0, v52
	s_and_saveexec_b64 s[8:9], vcc
	s_cbranch_execz .LBB24_95
; %bb.92:
	v_mov_b32_e32 v53, 0x70
	v_lshl_add_u32 v53, v111, 2, v53
	v_mov_b32_e32 v54, 0
	s_mov_b64 s[10:11], 0
.LBB24_93:                              ; =>This Inner Loop Header: Depth=1
	v_cmp_eq_u32_e32 vcc, 1, v111
	v_cndmask_b32_e32 v55, v27, v28, vcc
	v_add_u32_e32 v52, -1, v52
	v_cmp_eq_u32_e32 vcc, 2, v111
	v_cndmask_b32_e32 v55, v55, v29, vcc
	v_cmp_eq_u32_e32 vcc, 0, v52
	v_cmp_eq_u32_e64 s[0:1], 3, v111
	v_cndmask_b32_e64 v55, v55, v30, s[0:1]
	s_or_b64 s[10:11], vcc, s[10:11]
	v_cmp_eq_u32_e32 vcc, 4, v111
	v_cndmask_b32_e32 v55, v55, v31, vcc
	v_cmp_eq_u32_e32 vcc, 5, v111
	v_cndmask_b32_e32 v55, v55, v32, vcc
	v_cmp_eq_u32_e32 vcc, 6, v111
	v_cndmask_b32_e32 v55, v55, v33, vcc
	v_cmp_eq_u32_e32 vcc, 7, v111
	v_cndmask_b32_e32 v55, v55, v34, vcc
	v_cmp_eq_u32_e32 vcc, 8, v111
	v_cndmask_b32_e32 v55, v55, v35, vcc
	v_cmp_eq_u32_e32 vcc, 9, v111
	v_cndmask_b32_e32 v55, v55, v36, vcc
	v_cmp_eq_u32_e32 vcc, 10, v111
	v_cndmask_b32_e32 v55, v55, v37, vcc
	v_cmp_eq_u32_e32 vcc, 11, v111
	v_cndmask_b32_e32 v55, v55, v38, vcc
	v_cmp_eq_u32_e32 vcc, 12, v111
	v_cndmask_b32_e32 v55, v55, v39, vcc
	v_cmp_eq_u32_e32 vcc, 13, v111
	v_cndmask_b32_e32 v55, v55, v40, vcc
	v_cmp_eq_u32_e32 vcc, 14, v111
	v_cndmask_b32_e32 v55, v55, v41, vcc
	v_cmp_eq_u32_e32 vcc, 15, v111
	v_cndmask_b32_e32 v55, v55, v42, vcc
	v_cmp_eq_u32_e32 vcc, 16, v111
	v_cndmask_b32_e32 v55, v55, v43, vcc
	v_cmp_eq_u32_e32 vcc, 17, v111
	v_cndmask_b32_e32 v55, v55, v44, vcc
	v_cmp_eq_u32_e32 vcc, 18, v111
	v_cndmask_b32_e32 v55, v55, v45, vcc
	v_cmp_eq_u32_e32 vcc, 19, v111
	v_cndmask_b32_e32 v55, v55, v46, vcc
	v_cmp_eq_u32_e32 vcc, 20, v111
	ds_read_b32 v56, v53
	v_cndmask_b32_e32 v55, v55, v47, vcc
	v_cmp_eq_u32_e32 vcc, 21, v111
	v_cndmask_b32_e32 v55, v55, v48, vcc
	v_cmp_eq_u32_e32 vcc, 22, v111
	;; [unrolled: 2-line block ×4, first 2 shown]
	v_add_co_u32_e64 v111, s[0:1], 1, v111
	v_cndmask_b32_e32 v55, v55, v51, vcc
	v_add_u32_e32 v53, 4, v53
	v_addc_co_u32_e64 v54, s[0:1], 0, v54, s[0:1]
	s_waitcnt lgkmcnt(0)
	v_fmac_f32_e32 v110, v55, v56
	s_andn2_b64 exec, exec, s[10:11]
	s_cbranch_execnz .LBB24_93
; %bb.94:
	s_or_b64 exec, exec, s[10:11]
.LBB24_95:
	s_or_b64 exec, exec, s[8:9]
.LBB24_96:
	s_or_b64 exec, exec, s[6:7]
	v_mov_b32_e32 v44, 0
	ds_read_b32 v44, v44 offset:68
	s_waitcnt lgkmcnt(0)
	v_mul_f32_e32 v44, v110, v44
.LBB24_97:
	s_or_b64 exec, exec, s[4:5]
	v_cmp_lt_u32_e64 s[0:1], 16, v0
	ds_write_b32 v109, v43
	s_waitcnt lgkmcnt(0)
	; wave barrier
	s_and_saveexec_b64 s[4:5], s[0:1]
	s_cbranch_execz .LBB24_113
; %bb.98:
	s_andn2_b64 vcc, exec, s[54:55]
	s_cbranch_vccnz .LBB24_100
; %bb.99:
	v_cmp_eq_u32_e32 vcc, 1, v0
	v_cndmask_b32_e32 v110, v27, v28, vcc
	v_cmp_eq_u32_e32 vcc, 2, v0
	v_cndmask_b32_e32 v110, v110, v29, vcc
	;; [unrolled: 2-line block ×20, first 2 shown]
	v_cmp_eq_u32_e32 vcc, 21, v0
	ds_read_b32 v111, v109
	v_cndmask_b32_e32 v110, v110, v48, vcc
	v_cmp_eq_u32_e32 vcc, 22, v0
	v_cndmask_b32_e32 v110, v110, v49, vcc
	v_cmp_eq_u32_e32 vcc, 23, v0
	;; [unrolled: 2-line block ×3, first 2 shown]
	v_cndmask_b32_e32 v110, v110, v51, vcc
	s_waitcnt lgkmcnt(0)
	v_mul_f32_e32 v110, v110, v111
	s_cbranch_execz .LBB24_101
	s_branch .LBB24_102
.LBB24_100:
                                        ; implicit-def: $vgpr110
.LBB24_101:
	ds_read_b32 v110, v109
.LBB24_102:
	s_and_saveexec_b64 s[6:7], s[2:3]
	s_cbranch_execz .LBB24_112
; %bb.103:
	v_subrev_u32_e32 v113, 18, v0
	v_mov_b32_e32 v111, 17
	v_subrev_u32_e32 v112, 17, v0
	v_cmp_lt_u32_e32 vcc, 6, v113
	s_and_saveexec_b64 s[2:3], vcc
	s_cbranch_execz .LBB24_107
; %bb.104:
	v_and_b32_e32 v111, -8, v112
	v_sub_u32_e32 v113, 0, v111
	s_mov_b64 s[8:9], 24
	s_movk_i32 s12, 0xb4
	s_mov_b64 s[10:11], 0
.LBB24_105:                             ; =>This Inner Loop Header: Depth=1
	s_add_i32 s13, s8, -7
	v_mov_b32_e32 v111, s12
	s_add_i32 s14, s8, -6
	s_set_gpr_idx_on s13, gpr_idx(SRC0)
	v_mov_b32_e32 v120, v27
	s_set_gpr_idx_off
	ds_read2_b32 v[114:115], v111 offset1:1
	s_add_i32 s15, s8, -5
	s_set_gpr_idx_on s14, gpr_idx(SRC0)
	v_mov_b32_e32 v121, v27
	s_set_gpr_idx_off
	s_add_i32 s16, s8, -4
	s_set_gpr_idx_on s15, gpr_idx(SRC0)
	v_mov_b32_e32 v122, v27
	s_set_gpr_idx_off
	ds_read2_b32 v[116:117], v111 offset0:2 offset1:3
	s_add_i32 s17, s8, -3
	s_set_gpr_idx_on s16, gpr_idx(SRC0)
	v_mov_b32_e32 v123, v27
	s_set_gpr_idx_off
	s_add_i32 s18, s8, -2
	s_set_gpr_idx_on s17, gpr_idx(SRC0)
	v_mov_b32_e32 v124, v27
	s_set_gpr_idx_off
	ds_read2_b32 v[118:119], v111 offset0:4 offset1:5
	s_add_i32 s19, s8, -1
	s_waitcnt lgkmcnt(2)
	v_fmac_f32_e32 v110, v120, v114
	s_set_gpr_idx_on s18, gpr_idx(SRC0)
	v_mov_b32_e32 v120, v27
	s_set_gpr_idx_off
	v_fmac_f32_e32 v110, v121, v115
	s_set_gpr_idx_on s19, gpr_idx(SRC0)
	v_mov_b32_e32 v121, v27
	s_set_gpr_idx_off
	ds_read2_b32 v[114:115], v111 offset0:6 offset1:7
	s_waitcnt lgkmcnt(2)
	v_fmac_f32_e32 v110, v122, v116
	s_set_gpr_idx_on s8, gpr_idx(SRC0)
	v_mov_b32_e32 v116, v27
	s_set_gpr_idx_off
	v_fmac_f32_e32 v110, v123, v117
	s_add_u32 s8, s8, 8
	s_waitcnt lgkmcnt(1)
	v_fmac_f32_e32 v110, v124, v118
	v_add_u32_e32 v111, s8, v113
	v_fmac_f32_e32 v110, v120, v119
	s_addc_u32 s9, s9, 0
	s_add_i32 s12, s12, 32
	s_add_i32 s13, s8, -7
	v_cmp_eq_u32_e32 vcc, 24, v111
	s_waitcnt lgkmcnt(0)
	v_fmac_f32_e32 v110, v121, v114
	v_mov_b32_e32 v111, s13
	s_or_b64 s[10:11], vcc, s[10:11]
	v_fmac_f32_e32 v110, v116, v115
	s_andn2_b64 exec, exec, s[10:11]
	s_cbranch_execnz .LBB24_105
; %bb.106:
	s_or_b64 exec, exec, s[10:11]
.LBB24_107:
	s_or_b64 exec, exec, s[2:3]
	v_and_b32_e32 v52, 7, v112
	v_cmp_ne_u32_e32 vcc, 0, v52
	s_and_saveexec_b64 s[8:9], vcc
	s_cbranch_execz .LBB24_111
; %bb.108:
	v_mov_b32_e32 v53, 0x70
	v_lshl_add_u32 v53, v111, 2, v53
	v_mov_b32_e32 v54, 0
	s_mov_b64 s[10:11], 0
.LBB24_109:                             ; =>This Inner Loop Header: Depth=1
	v_cmp_eq_u32_e32 vcc, 1, v111
	v_cndmask_b32_e32 v55, v27, v28, vcc
	v_add_u32_e32 v52, -1, v52
	v_cmp_eq_u32_e32 vcc, 2, v111
	v_cndmask_b32_e32 v55, v55, v29, vcc
	v_cmp_eq_u32_e32 vcc, 0, v52
	v_cmp_eq_u32_e64 s[2:3], 3, v111
	v_cndmask_b32_e64 v55, v55, v30, s[2:3]
	s_or_b64 s[10:11], vcc, s[10:11]
	v_cmp_eq_u32_e32 vcc, 4, v111
	v_cndmask_b32_e32 v55, v55, v31, vcc
	v_cmp_eq_u32_e32 vcc, 5, v111
	v_cndmask_b32_e32 v55, v55, v32, vcc
	;; [unrolled: 2-line block ×16, first 2 shown]
	v_cmp_eq_u32_e32 vcc, 20, v111
	ds_read_b32 v56, v53
	v_cndmask_b32_e32 v55, v55, v47, vcc
	v_cmp_eq_u32_e32 vcc, 21, v111
	v_cndmask_b32_e32 v55, v55, v48, vcc
	v_cmp_eq_u32_e32 vcc, 22, v111
	;; [unrolled: 2-line block ×4, first 2 shown]
	v_add_co_u32_e64 v111, s[2:3], 1, v111
	v_cndmask_b32_e32 v55, v55, v51, vcc
	v_add_u32_e32 v53, 4, v53
	v_addc_co_u32_e64 v54, s[2:3], 0, v54, s[2:3]
	s_waitcnt lgkmcnt(0)
	v_fmac_f32_e32 v110, v55, v56
	s_andn2_b64 exec, exec, s[10:11]
	s_cbranch_execnz .LBB24_109
; %bb.110:
	s_or_b64 exec, exec, s[10:11]
.LBB24_111:
	s_or_b64 exec, exec, s[8:9]
.LBB24_112:
	s_or_b64 exec, exec, s[6:7]
	v_mov_b32_e32 v43, 0
	ds_read_b32 v43, v43 offset:64
	s_waitcnt lgkmcnt(0)
	v_mul_f32_e32 v43, v110, v43
.LBB24_113:
	s_or_b64 exec, exec, s[4:5]
	v_cmp_lt_u32_e64 s[2:3], 15, v0
	ds_write_b32 v109, v42
	s_waitcnt lgkmcnt(0)
	; wave barrier
	s_and_saveexec_b64 s[4:5], s[2:3]
	s_cbranch_execz .LBB24_129
; %bb.114:
	s_andn2_b64 vcc, exec, s[54:55]
	s_cbranch_vccnz .LBB24_116
; %bb.115:
	v_cmp_eq_u32_e32 vcc, 1, v0
	v_cndmask_b32_e32 v110, v27, v28, vcc
	v_cmp_eq_u32_e32 vcc, 2, v0
	v_cndmask_b32_e32 v110, v110, v29, vcc
	;; [unrolled: 2-line block ×20, first 2 shown]
	v_cmp_eq_u32_e32 vcc, 21, v0
	ds_read_b32 v111, v109
	v_cndmask_b32_e32 v110, v110, v48, vcc
	v_cmp_eq_u32_e32 vcc, 22, v0
	v_cndmask_b32_e32 v110, v110, v49, vcc
	v_cmp_eq_u32_e32 vcc, 23, v0
	;; [unrolled: 2-line block ×3, first 2 shown]
	v_cndmask_b32_e32 v110, v110, v51, vcc
	s_waitcnt lgkmcnt(0)
	v_mul_f32_e32 v110, v110, v111
	s_cbranch_execz .LBB24_117
	s_branch .LBB24_118
.LBB24_116:
                                        ; implicit-def: $vgpr110
.LBB24_117:
	ds_read_b32 v110, v109
.LBB24_118:
	s_and_saveexec_b64 s[6:7], s[0:1]
	s_cbranch_execz .LBB24_128
; %bb.119:
	v_subrev_u32_e32 v111, 17, v0
	v_cmp_lt_u32_e32 vcc, 6, v111
	v_mov_b32_e32 v111, 16
	s_and_saveexec_b64 s[0:1], vcc
	s_cbranch_execz .LBB24_123
; %bb.120:
	v_and_b32_e32 v111, 24, v0
	v_sub_u32_e32 v112, 0, v111
	s_mov_b64 s[8:9], 23
	s_movk_i32 s12, 0xb0
	s_mov_b64 s[10:11], 0
.LBB24_121:                             ; =>This Inner Loop Header: Depth=1
	s_add_i32 s13, s8, -7
	v_mov_b32_e32 v111, s12
	s_add_i32 s14, s8, -6
	s_set_gpr_idx_on s13, gpr_idx(SRC0)
	v_mov_b32_e32 v121, v27
	s_set_gpr_idx_off
	s_add_i32 s15, s8, -5
	ds_read_b128 v[113:116], v111
	ds_read_b128 v[117:120], v111 offset:16
	s_set_gpr_idx_on s14, gpr_idx(SRC0)
	v_mov_b32_e32 v111, v27
	s_set_gpr_idx_off
	s_add_i32 s16, s8, -4
	s_set_gpr_idx_on s15, gpr_idx(SRC0)
	v_mov_b32_e32 v122, v27
	s_set_gpr_idx_off
	s_add_i32 s17, s8, -3
	;; [unrolled: 4-line block ×4, first 2 shown]
	s_waitcnt lgkmcnt(1)
	v_fmac_f32_e32 v110, v121, v113
	s_set_gpr_idx_on s18, gpr_idx(SRC0)
	v_mov_b32_e32 v113, v27
	s_set_gpr_idx_off
	v_fmac_f32_e32 v110, v111, v114
	s_set_gpr_idx_on s19, gpr_idx(SRC0)
	v_mov_b32_e32 v114, v27
	s_set_gpr_idx_off
	;; [unrolled: 4-line block ×3, first 2 shown]
	v_fmac_f32_e32 v110, v123, v116
	s_add_u32 s8, s8, 8
	s_waitcnt lgkmcnt(0)
	v_fmac_f32_e32 v110, v124, v117
	v_add_u32_e32 v111, s8, v112
	v_fmac_f32_e32 v110, v113, v118
	s_addc_u32 s9, s9, 0
	s_add_i32 s12, s12, 32
	s_add_i32 s13, s8, -7
	v_cmp_eq_u32_e32 vcc, 7, v111
	v_fmac_f32_e32 v110, v114, v119
	v_mov_b32_e32 v111, s13
	s_or_b64 s[10:11], vcc, s[10:11]
	v_fmac_f32_e32 v110, v115, v120
	s_andn2_b64 exec, exec, s[10:11]
	s_cbranch_execnz .LBB24_121
; %bb.122:
	s_or_b64 exec, exec, s[10:11]
.LBB24_123:
	s_or_b64 exec, exec, s[0:1]
	v_and_b32_e32 v52, 7, v0
	v_cmp_ne_u32_e32 vcc, 0, v52
	s_and_saveexec_b64 s[8:9], vcc
	s_cbranch_execz .LBB24_127
; %bb.124:
	v_mov_b32_e32 v53, 0x70
	v_lshl_add_u32 v53, v111, 2, v53
	v_mov_b32_e32 v54, 0
	s_mov_b64 s[10:11], 0
.LBB24_125:                             ; =>This Inner Loop Header: Depth=1
	v_cmp_eq_u32_e32 vcc, 1, v111
	v_cndmask_b32_e32 v55, v27, v28, vcc
	v_add_u32_e32 v52, -1, v52
	v_cmp_eq_u32_e32 vcc, 2, v111
	v_cndmask_b32_e32 v55, v55, v29, vcc
	v_cmp_eq_u32_e32 vcc, 0, v52
	v_cmp_eq_u32_e64 s[0:1], 3, v111
	v_cndmask_b32_e64 v55, v55, v30, s[0:1]
	s_or_b64 s[10:11], vcc, s[10:11]
	v_cmp_eq_u32_e32 vcc, 4, v111
	v_cndmask_b32_e32 v55, v55, v31, vcc
	v_cmp_eq_u32_e32 vcc, 5, v111
	v_cndmask_b32_e32 v55, v55, v32, vcc
	;; [unrolled: 2-line block ×16, first 2 shown]
	v_cmp_eq_u32_e32 vcc, 20, v111
	ds_read_b32 v56, v53
	v_cndmask_b32_e32 v55, v55, v47, vcc
	v_cmp_eq_u32_e32 vcc, 21, v111
	v_cndmask_b32_e32 v55, v55, v48, vcc
	v_cmp_eq_u32_e32 vcc, 22, v111
	;; [unrolled: 2-line block ×4, first 2 shown]
	v_add_co_u32_e64 v111, s[0:1], 1, v111
	v_cndmask_b32_e32 v55, v55, v51, vcc
	v_add_u32_e32 v53, 4, v53
	v_addc_co_u32_e64 v54, s[0:1], 0, v54, s[0:1]
	s_waitcnt lgkmcnt(0)
	v_fmac_f32_e32 v110, v55, v56
	s_andn2_b64 exec, exec, s[10:11]
	s_cbranch_execnz .LBB24_125
; %bb.126:
	s_or_b64 exec, exec, s[10:11]
.LBB24_127:
	s_or_b64 exec, exec, s[8:9]
.LBB24_128:
	s_or_b64 exec, exec, s[6:7]
	v_mov_b32_e32 v42, 0
	ds_read_b32 v42, v42 offset:60
	s_waitcnt lgkmcnt(0)
	v_mul_f32_e32 v42, v110, v42
.LBB24_129:
	s_or_b64 exec, exec, s[4:5]
	v_cmp_lt_u32_e64 s[0:1], 14, v0
	ds_write_b32 v109, v41
	s_waitcnt lgkmcnt(0)
	; wave barrier
	s_and_saveexec_b64 s[4:5], s[0:1]
	s_cbranch_execz .LBB24_145
; %bb.130:
	s_andn2_b64 vcc, exec, s[54:55]
	s_cbranch_vccnz .LBB24_132
; %bb.131:
	v_cmp_eq_u32_e32 vcc, 1, v0
	v_cndmask_b32_e32 v110, v27, v28, vcc
	v_cmp_eq_u32_e32 vcc, 2, v0
	v_cndmask_b32_e32 v110, v110, v29, vcc
	;; [unrolled: 2-line block ×20, first 2 shown]
	v_cmp_eq_u32_e32 vcc, 21, v0
	ds_read_b32 v111, v109
	v_cndmask_b32_e32 v110, v110, v48, vcc
	v_cmp_eq_u32_e32 vcc, 22, v0
	v_cndmask_b32_e32 v110, v110, v49, vcc
	v_cmp_eq_u32_e32 vcc, 23, v0
	;; [unrolled: 2-line block ×3, first 2 shown]
	v_cndmask_b32_e32 v110, v110, v51, vcc
	s_waitcnt lgkmcnt(0)
	v_mul_f32_e32 v110, v110, v111
	s_cbranch_execz .LBB24_133
	s_branch .LBB24_134
.LBB24_132:
                                        ; implicit-def: $vgpr110
.LBB24_133:
	ds_read_b32 v110, v109
.LBB24_134:
	s_and_saveexec_b64 s[6:7], s[2:3]
	s_cbranch_execz .LBB24_144
; %bb.135:
	v_add_u32_e32 v111, -16, v0
	v_add_u32_e32 v112, -15, v0
	v_cmp_lt_u32_e32 vcc, 6, v111
	v_mov_b32_e32 v111, 15
	s_and_saveexec_b64 s[2:3], vcc
	s_cbranch_execz .LBB24_139
; %bb.136:
	v_and_b32_e32 v111, -8, v112
	v_sub_u32_e32 v113, 0, v111
	s_mov_b64 s[8:9], 22
	s_movk_i32 s12, 0xac
	s_mov_b64 s[10:11], 0
.LBB24_137:                             ; =>This Inner Loop Header: Depth=1
	s_add_i32 s13, s8, -7
	v_mov_b32_e32 v111, s12
	s_add_i32 s14, s8, -6
	s_set_gpr_idx_on s13, gpr_idx(SRC0)
	v_mov_b32_e32 v120, v27
	s_set_gpr_idx_off
	ds_read2_b32 v[114:115], v111 offset1:1
	s_add_i32 s15, s8, -5
	s_set_gpr_idx_on s14, gpr_idx(SRC0)
	v_mov_b32_e32 v121, v27
	s_set_gpr_idx_off
	s_add_i32 s16, s8, -4
	s_set_gpr_idx_on s15, gpr_idx(SRC0)
	v_mov_b32_e32 v122, v27
	s_set_gpr_idx_off
	ds_read2_b32 v[116:117], v111 offset0:2 offset1:3
	s_add_i32 s17, s8, -3
	s_set_gpr_idx_on s16, gpr_idx(SRC0)
	v_mov_b32_e32 v123, v27
	s_set_gpr_idx_off
	s_add_i32 s18, s8, -2
	s_set_gpr_idx_on s17, gpr_idx(SRC0)
	v_mov_b32_e32 v124, v27
	s_set_gpr_idx_off
	ds_read2_b32 v[118:119], v111 offset0:4 offset1:5
	s_add_i32 s19, s8, -1
	s_waitcnt lgkmcnt(2)
	v_fmac_f32_e32 v110, v120, v114
	s_set_gpr_idx_on s18, gpr_idx(SRC0)
	v_mov_b32_e32 v120, v27
	s_set_gpr_idx_off
	v_fmac_f32_e32 v110, v121, v115
	s_set_gpr_idx_on s19, gpr_idx(SRC0)
	v_mov_b32_e32 v121, v27
	s_set_gpr_idx_off
	ds_read2_b32 v[114:115], v111 offset0:6 offset1:7
	s_waitcnt lgkmcnt(2)
	v_fmac_f32_e32 v110, v122, v116
	s_set_gpr_idx_on s8, gpr_idx(SRC0)
	v_mov_b32_e32 v116, v27
	s_set_gpr_idx_off
	v_fmac_f32_e32 v110, v123, v117
	s_add_u32 s8, s8, 8
	s_waitcnt lgkmcnt(1)
	v_fmac_f32_e32 v110, v124, v118
	v_add_u32_e32 v111, s8, v113
	v_fmac_f32_e32 v110, v120, v119
	s_addc_u32 s9, s9, 0
	s_add_i32 s12, s12, 32
	s_add_i32 s13, s8, -7
	v_cmp_eq_u32_e32 vcc, 22, v111
	s_waitcnt lgkmcnt(0)
	v_fmac_f32_e32 v110, v121, v114
	v_mov_b32_e32 v111, s13
	s_or_b64 s[10:11], vcc, s[10:11]
	v_fmac_f32_e32 v110, v116, v115
	s_andn2_b64 exec, exec, s[10:11]
	s_cbranch_execnz .LBB24_137
; %bb.138:
	s_or_b64 exec, exec, s[10:11]
.LBB24_139:
	s_or_b64 exec, exec, s[2:3]
	v_and_b32_e32 v52, 7, v112
	v_cmp_ne_u32_e32 vcc, 0, v52
	s_and_saveexec_b64 s[8:9], vcc
	s_cbranch_execz .LBB24_143
; %bb.140:
	v_mov_b32_e32 v53, 0x70
	v_lshl_add_u32 v53, v111, 2, v53
	v_mov_b32_e32 v54, 0
	s_mov_b64 s[10:11], 0
.LBB24_141:                             ; =>This Inner Loop Header: Depth=1
	v_cmp_eq_u32_e32 vcc, 1, v111
	v_cndmask_b32_e32 v55, v27, v28, vcc
	v_add_u32_e32 v52, -1, v52
	v_cmp_eq_u32_e32 vcc, 2, v111
	v_cndmask_b32_e32 v55, v55, v29, vcc
	v_cmp_eq_u32_e32 vcc, 0, v52
	v_cmp_eq_u32_e64 s[2:3], 3, v111
	v_cndmask_b32_e64 v55, v55, v30, s[2:3]
	s_or_b64 s[10:11], vcc, s[10:11]
	v_cmp_eq_u32_e32 vcc, 4, v111
	v_cndmask_b32_e32 v55, v55, v31, vcc
	v_cmp_eq_u32_e32 vcc, 5, v111
	v_cndmask_b32_e32 v55, v55, v32, vcc
	;; [unrolled: 2-line block ×16, first 2 shown]
	v_cmp_eq_u32_e32 vcc, 20, v111
	ds_read_b32 v56, v53
	v_cndmask_b32_e32 v55, v55, v47, vcc
	v_cmp_eq_u32_e32 vcc, 21, v111
	v_cndmask_b32_e32 v55, v55, v48, vcc
	v_cmp_eq_u32_e32 vcc, 22, v111
	;; [unrolled: 2-line block ×4, first 2 shown]
	v_add_co_u32_e64 v111, s[2:3], 1, v111
	v_cndmask_b32_e32 v55, v55, v51, vcc
	v_add_u32_e32 v53, 4, v53
	v_addc_co_u32_e64 v54, s[2:3], 0, v54, s[2:3]
	s_waitcnt lgkmcnt(0)
	v_fmac_f32_e32 v110, v55, v56
	s_andn2_b64 exec, exec, s[10:11]
	s_cbranch_execnz .LBB24_141
; %bb.142:
	s_or_b64 exec, exec, s[10:11]
.LBB24_143:
	s_or_b64 exec, exec, s[8:9]
.LBB24_144:
	s_or_b64 exec, exec, s[6:7]
	v_mov_b32_e32 v41, 0
	ds_read_b32 v41, v41 offset:56
	s_waitcnt lgkmcnt(0)
	v_mul_f32_e32 v41, v110, v41
.LBB24_145:
	s_or_b64 exec, exec, s[4:5]
	v_cmp_lt_u32_e64 s[2:3], 13, v0
	ds_write_b32 v109, v40
	s_waitcnt lgkmcnt(0)
	; wave barrier
	s_and_saveexec_b64 s[4:5], s[2:3]
	s_cbranch_execz .LBB24_161
; %bb.146:
	s_andn2_b64 vcc, exec, s[54:55]
	s_cbranch_vccnz .LBB24_148
; %bb.147:
	v_cmp_eq_u32_e32 vcc, 1, v0
	v_cndmask_b32_e32 v110, v27, v28, vcc
	v_cmp_eq_u32_e32 vcc, 2, v0
	v_cndmask_b32_e32 v110, v110, v29, vcc
	;; [unrolled: 2-line block ×20, first 2 shown]
	v_cmp_eq_u32_e32 vcc, 21, v0
	ds_read_b32 v111, v109
	v_cndmask_b32_e32 v110, v110, v48, vcc
	v_cmp_eq_u32_e32 vcc, 22, v0
	v_cndmask_b32_e32 v110, v110, v49, vcc
	v_cmp_eq_u32_e32 vcc, 23, v0
	;; [unrolled: 2-line block ×3, first 2 shown]
	v_cndmask_b32_e32 v110, v110, v51, vcc
	s_waitcnt lgkmcnt(0)
	v_mul_f32_e32 v110, v110, v111
	s_cbranch_execz .LBB24_149
	s_branch .LBB24_150
.LBB24_148:
                                        ; implicit-def: $vgpr110
.LBB24_149:
	ds_read_b32 v110, v109
.LBB24_150:
	s_and_saveexec_b64 s[6:7], s[0:1]
	s_cbranch_execz .LBB24_160
; %bb.151:
	v_add_u32_e32 v111, -15, v0
	v_add_u32_e32 v112, -14, v0
	v_cmp_lt_u32_e32 vcc, 6, v111
	v_mov_b32_e32 v111, 14
	s_and_saveexec_b64 s[0:1], vcc
	s_cbranch_execz .LBB24_155
; %bb.152:
	v_and_b32_e32 v111, -8, v112
	v_sub_u32_e32 v113, 0, v111
	s_mov_b64 s[8:9], 21
	s_movk_i32 s12, 0xa8
	s_mov_b64 s[10:11], 0
.LBB24_153:                             ; =>This Inner Loop Header: Depth=1
	s_add_i32 s13, s8, -7
	v_mov_b32_e32 v111, s12
	s_add_i32 s14, s8, -6
	s_set_gpr_idx_on s13, gpr_idx(SRC0)
	v_mov_b32_e32 v122, v27
	s_set_gpr_idx_off
	ds_read2_b64 v[114:117], v111 offset1:1
	s_add_i32 s15, s8, -5
	s_set_gpr_idx_on s14, gpr_idx(SRC0)
	v_mov_b32_e32 v123, v27
	s_set_gpr_idx_off
	s_add_i32 s16, s8, -4
	s_set_gpr_idx_on s15, gpr_idx(SRC0)
	v_mov_b32_e32 v124, v27
	s_set_gpr_idx_off
	;; [unrolled: 4-line block ×4, first 2 shown]
	ds_read2_b64 v[118:121], v111 offset0:2 offset1:3
	s_add_i32 s19, s8, -1
	s_waitcnt lgkmcnt(1)
	v_fmac_f32_e32 v110, v122, v114
	s_set_gpr_idx_on s18, gpr_idx(SRC0)
	v_mov_b32_e32 v114, v27
	s_set_gpr_idx_off
	v_fmac_f32_e32 v110, v123, v115
	s_set_gpr_idx_on s19, gpr_idx(SRC0)
	v_mov_b32_e32 v115, v27
	s_set_gpr_idx_off
	;; [unrolled: 4-line block ×3, first 2 shown]
	v_fmac_f32_e32 v110, v125, v117
	s_add_u32 s8, s8, 8
	s_waitcnt lgkmcnt(0)
	v_fmac_f32_e32 v110, v126, v118
	v_add_u32_e32 v111, s8, v113
	v_fmac_f32_e32 v110, v114, v119
	s_addc_u32 s9, s9, 0
	s_add_i32 s12, s12, 32
	s_add_i32 s13, s8, -7
	v_cmp_eq_u32_e32 vcc, 21, v111
	v_fmac_f32_e32 v110, v115, v120
	v_mov_b32_e32 v111, s13
	s_or_b64 s[10:11], vcc, s[10:11]
	v_fmac_f32_e32 v110, v116, v121
	s_andn2_b64 exec, exec, s[10:11]
	s_cbranch_execnz .LBB24_153
; %bb.154:
	s_or_b64 exec, exec, s[10:11]
.LBB24_155:
	s_or_b64 exec, exec, s[0:1]
	v_and_b32_e32 v52, 7, v112
	v_cmp_ne_u32_e32 vcc, 0, v52
	s_and_saveexec_b64 s[8:9], vcc
	s_cbranch_execz .LBB24_159
; %bb.156:
	v_mov_b32_e32 v53, 0x70
	v_lshl_add_u32 v53, v111, 2, v53
	v_mov_b32_e32 v54, 0
	s_mov_b64 s[10:11], 0
.LBB24_157:                             ; =>This Inner Loop Header: Depth=1
	v_cmp_eq_u32_e32 vcc, 1, v111
	v_cndmask_b32_e32 v55, v27, v28, vcc
	v_add_u32_e32 v52, -1, v52
	v_cmp_eq_u32_e32 vcc, 2, v111
	v_cndmask_b32_e32 v55, v55, v29, vcc
	v_cmp_eq_u32_e32 vcc, 0, v52
	v_cmp_eq_u32_e64 s[0:1], 3, v111
	v_cndmask_b32_e64 v55, v55, v30, s[0:1]
	s_or_b64 s[10:11], vcc, s[10:11]
	v_cmp_eq_u32_e32 vcc, 4, v111
	v_cndmask_b32_e32 v55, v55, v31, vcc
	v_cmp_eq_u32_e32 vcc, 5, v111
	v_cndmask_b32_e32 v55, v55, v32, vcc
	;; [unrolled: 2-line block ×16, first 2 shown]
	v_cmp_eq_u32_e32 vcc, 20, v111
	ds_read_b32 v56, v53
	v_cndmask_b32_e32 v55, v55, v47, vcc
	v_cmp_eq_u32_e32 vcc, 21, v111
	v_cndmask_b32_e32 v55, v55, v48, vcc
	v_cmp_eq_u32_e32 vcc, 22, v111
	;; [unrolled: 2-line block ×4, first 2 shown]
	v_add_co_u32_e64 v111, s[0:1], 1, v111
	v_cndmask_b32_e32 v55, v55, v51, vcc
	v_add_u32_e32 v53, 4, v53
	v_addc_co_u32_e64 v54, s[0:1], 0, v54, s[0:1]
	s_waitcnt lgkmcnt(0)
	v_fmac_f32_e32 v110, v55, v56
	s_andn2_b64 exec, exec, s[10:11]
	s_cbranch_execnz .LBB24_157
; %bb.158:
	s_or_b64 exec, exec, s[10:11]
.LBB24_159:
	s_or_b64 exec, exec, s[8:9]
.LBB24_160:
	s_or_b64 exec, exec, s[6:7]
	v_mov_b32_e32 v40, 0
	ds_read_b32 v40, v40 offset:52
	s_waitcnt lgkmcnt(0)
	v_mul_f32_e32 v40, v110, v40
.LBB24_161:
	s_or_b64 exec, exec, s[4:5]
	v_cmp_lt_u32_e64 s[0:1], 12, v0
	ds_write_b32 v109, v39
	s_waitcnt lgkmcnt(0)
	; wave barrier
	s_and_saveexec_b64 s[4:5], s[0:1]
	s_cbranch_execz .LBB24_177
; %bb.162:
	s_andn2_b64 vcc, exec, s[54:55]
	s_cbranch_vccnz .LBB24_164
; %bb.163:
	v_cmp_eq_u32_e32 vcc, 1, v0
	v_cndmask_b32_e32 v110, v27, v28, vcc
	v_cmp_eq_u32_e32 vcc, 2, v0
	v_cndmask_b32_e32 v110, v110, v29, vcc
	;; [unrolled: 2-line block ×20, first 2 shown]
	v_cmp_eq_u32_e32 vcc, 21, v0
	ds_read_b32 v111, v109
	v_cndmask_b32_e32 v110, v110, v48, vcc
	v_cmp_eq_u32_e32 vcc, 22, v0
	v_cndmask_b32_e32 v110, v110, v49, vcc
	v_cmp_eq_u32_e32 vcc, 23, v0
	;; [unrolled: 2-line block ×3, first 2 shown]
	v_cndmask_b32_e32 v110, v110, v51, vcc
	s_waitcnt lgkmcnt(0)
	v_mul_f32_e32 v110, v110, v111
	s_cbranch_execz .LBB24_165
	s_branch .LBB24_166
.LBB24_164:
                                        ; implicit-def: $vgpr110
.LBB24_165:
	ds_read_b32 v110, v109
.LBB24_166:
	s_and_saveexec_b64 s[6:7], s[2:3]
	s_cbranch_execz .LBB24_176
; %bb.167:
	v_add_u32_e32 v111, -14, v0
	v_add_u32_e32 v112, -13, v0
	v_cmp_lt_u32_e32 vcc, 6, v111
	v_mov_b32_e32 v111, 13
	s_and_saveexec_b64 s[2:3], vcc
	s_cbranch_execz .LBB24_171
; %bb.168:
	v_and_b32_e32 v111, -8, v112
	v_sub_u32_e32 v113, 0, v111
	s_mov_b64 s[8:9], 20
	s_movk_i32 s12, 0xa4
	s_mov_b64 s[10:11], 0
.LBB24_169:                             ; =>This Inner Loop Header: Depth=1
	s_add_i32 s13, s8, -7
	v_mov_b32_e32 v111, s12
	s_add_i32 s14, s8, -6
	s_set_gpr_idx_on s13, gpr_idx(SRC0)
	v_mov_b32_e32 v120, v27
	s_set_gpr_idx_off
	ds_read2_b32 v[114:115], v111 offset1:1
	s_add_i32 s15, s8, -5
	s_set_gpr_idx_on s14, gpr_idx(SRC0)
	v_mov_b32_e32 v121, v27
	s_set_gpr_idx_off
	s_add_i32 s16, s8, -4
	s_set_gpr_idx_on s15, gpr_idx(SRC0)
	v_mov_b32_e32 v122, v27
	s_set_gpr_idx_off
	ds_read2_b32 v[116:117], v111 offset0:2 offset1:3
	s_add_i32 s17, s8, -3
	s_set_gpr_idx_on s16, gpr_idx(SRC0)
	v_mov_b32_e32 v123, v27
	s_set_gpr_idx_off
	s_add_i32 s18, s8, -2
	s_set_gpr_idx_on s17, gpr_idx(SRC0)
	v_mov_b32_e32 v124, v27
	s_set_gpr_idx_off
	ds_read2_b32 v[118:119], v111 offset0:4 offset1:5
	s_add_i32 s19, s8, -1
	s_waitcnt lgkmcnt(2)
	v_fmac_f32_e32 v110, v120, v114
	s_set_gpr_idx_on s18, gpr_idx(SRC0)
	v_mov_b32_e32 v120, v27
	s_set_gpr_idx_off
	v_fmac_f32_e32 v110, v121, v115
	s_set_gpr_idx_on s19, gpr_idx(SRC0)
	v_mov_b32_e32 v121, v27
	s_set_gpr_idx_off
	ds_read2_b32 v[114:115], v111 offset0:6 offset1:7
	s_waitcnt lgkmcnt(2)
	v_fmac_f32_e32 v110, v122, v116
	s_set_gpr_idx_on s8, gpr_idx(SRC0)
	v_mov_b32_e32 v116, v27
	s_set_gpr_idx_off
	v_fmac_f32_e32 v110, v123, v117
	s_add_u32 s8, s8, 8
	s_waitcnt lgkmcnt(1)
	v_fmac_f32_e32 v110, v124, v118
	v_add_u32_e32 v111, s8, v113
	v_fmac_f32_e32 v110, v120, v119
	s_addc_u32 s9, s9, 0
	s_add_i32 s12, s12, 32
	s_add_i32 s13, s8, -7
	v_cmp_eq_u32_e32 vcc, 20, v111
	s_waitcnt lgkmcnt(0)
	v_fmac_f32_e32 v110, v121, v114
	v_mov_b32_e32 v111, s13
	s_or_b64 s[10:11], vcc, s[10:11]
	v_fmac_f32_e32 v110, v116, v115
	s_andn2_b64 exec, exec, s[10:11]
	s_cbranch_execnz .LBB24_169
; %bb.170:
	s_or_b64 exec, exec, s[10:11]
.LBB24_171:
	s_or_b64 exec, exec, s[2:3]
	v_and_b32_e32 v52, 7, v112
	v_cmp_ne_u32_e32 vcc, 0, v52
	s_and_saveexec_b64 s[8:9], vcc
	s_cbranch_execz .LBB24_175
; %bb.172:
	v_mov_b32_e32 v53, 0x70
	v_lshl_add_u32 v53, v111, 2, v53
	v_mov_b32_e32 v54, 0
	s_mov_b64 s[10:11], 0
.LBB24_173:                             ; =>This Inner Loop Header: Depth=1
	v_cmp_eq_u32_e32 vcc, 1, v111
	v_cndmask_b32_e32 v55, v27, v28, vcc
	v_add_u32_e32 v52, -1, v52
	v_cmp_eq_u32_e32 vcc, 2, v111
	v_cndmask_b32_e32 v55, v55, v29, vcc
	v_cmp_eq_u32_e32 vcc, 0, v52
	v_cmp_eq_u32_e64 s[2:3], 3, v111
	v_cndmask_b32_e64 v55, v55, v30, s[2:3]
	s_or_b64 s[10:11], vcc, s[10:11]
	v_cmp_eq_u32_e32 vcc, 4, v111
	v_cndmask_b32_e32 v55, v55, v31, vcc
	v_cmp_eq_u32_e32 vcc, 5, v111
	v_cndmask_b32_e32 v55, v55, v32, vcc
	;; [unrolled: 2-line block ×16, first 2 shown]
	v_cmp_eq_u32_e32 vcc, 20, v111
	ds_read_b32 v56, v53
	v_cndmask_b32_e32 v55, v55, v47, vcc
	v_cmp_eq_u32_e32 vcc, 21, v111
	v_cndmask_b32_e32 v55, v55, v48, vcc
	v_cmp_eq_u32_e32 vcc, 22, v111
	;; [unrolled: 2-line block ×4, first 2 shown]
	v_add_co_u32_e64 v111, s[2:3], 1, v111
	v_cndmask_b32_e32 v55, v55, v51, vcc
	v_add_u32_e32 v53, 4, v53
	v_addc_co_u32_e64 v54, s[2:3], 0, v54, s[2:3]
	s_waitcnt lgkmcnt(0)
	v_fmac_f32_e32 v110, v55, v56
	s_andn2_b64 exec, exec, s[10:11]
	s_cbranch_execnz .LBB24_173
; %bb.174:
	s_or_b64 exec, exec, s[10:11]
.LBB24_175:
	s_or_b64 exec, exec, s[8:9]
.LBB24_176:
	s_or_b64 exec, exec, s[6:7]
	v_mov_b32_e32 v39, 0
	ds_read_b32 v39, v39 offset:48
	s_waitcnt lgkmcnt(0)
	v_mul_f32_e32 v39, v110, v39
.LBB24_177:
	s_or_b64 exec, exec, s[4:5]
	v_cmp_lt_u32_e64 s[2:3], 11, v0
	ds_write_b32 v109, v38
	s_waitcnt lgkmcnt(0)
	; wave barrier
	s_and_saveexec_b64 s[4:5], s[2:3]
	s_cbranch_execz .LBB24_193
; %bb.178:
	s_andn2_b64 vcc, exec, s[54:55]
	s_cbranch_vccnz .LBB24_180
; %bb.179:
	v_cmp_eq_u32_e32 vcc, 1, v0
	v_cndmask_b32_e32 v110, v27, v28, vcc
	v_cmp_eq_u32_e32 vcc, 2, v0
	v_cndmask_b32_e32 v110, v110, v29, vcc
	;; [unrolled: 2-line block ×20, first 2 shown]
	v_cmp_eq_u32_e32 vcc, 21, v0
	ds_read_b32 v111, v109
	v_cndmask_b32_e32 v110, v110, v48, vcc
	v_cmp_eq_u32_e32 vcc, 22, v0
	v_cndmask_b32_e32 v110, v110, v49, vcc
	v_cmp_eq_u32_e32 vcc, 23, v0
	;; [unrolled: 2-line block ×3, first 2 shown]
	v_cndmask_b32_e32 v110, v110, v51, vcc
	s_waitcnt lgkmcnt(0)
	v_mul_f32_e32 v110, v110, v111
	s_cbranch_execz .LBB24_181
	s_branch .LBB24_182
.LBB24_180:
                                        ; implicit-def: $vgpr110
.LBB24_181:
	ds_read_b32 v110, v109
.LBB24_182:
	s_and_saveexec_b64 s[6:7], s[0:1]
	s_cbranch_execz .LBB24_192
; %bb.183:
	v_add_u32_e32 v111, -13, v0
	v_add_u32_e32 v112, -12, v0
	v_cmp_lt_u32_e32 vcc, 6, v111
	v_mov_b32_e32 v111, 12
	s_and_saveexec_b64 s[0:1], vcc
	s_cbranch_execz .LBB24_187
; %bb.184:
	v_and_b32_e32 v111, -8, v112
	v_sub_u32_e32 v113, 0, v111
	s_mov_b64 s[8:9], 19
	s_movk_i32 s12, 0xa0
	s_mov_b64 s[10:11], 0
.LBB24_185:                             ; =>This Inner Loop Header: Depth=1
	s_add_i32 s13, s8, -7
	v_mov_b32_e32 v111, s12
	s_add_i32 s14, s8, -6
	s_set_gpr_idx_on s13, gpr_idx(SRC0)
	v_mov_b32_e32 v122, v27
	s_set_gpr_idx_off
	s_add_i32 s15, s8, -5
	ds_read_b128 v[114:117], v111
	ds_read_b128 v[118:121], v111 offset:16
	s_set_gpr_idx_on s14, gpr_idx(SRC0)
	v_mov_b32_e32 v111, v27
	s_set_gpr_idx_off
	s_add_i32 s16, s8, -4
	s_set_gpr_idx_on s15, gpr_idx(SRC0)
	v_mov_b32_e32 v123, v27
	s_set_gpr_idx_off
	s_add_i32 s17, s8, -3
	;; [unrolled: 4-line block ×4, first 2 shown]
	s_waitcnt lgkmcnt(1)
	v_fmac_f32_e32 v110, v122, v114
	s_set_gpr_idx_on s18, gpr_idx(SRC0)
	v_mov_b32_e32 v114, v27
	s_set_gpr_idx_off
	v_fmac_f32_e32 v110, v111, v115
	s_set_gpr_idx_on s19, gpr_idx(SRC0)
	v_mov_b32_e32 v115, v27
	s_set_gpr_idx_off
	;; [unrolled: 4-line block ×3, first 2 shown]
	v_fmac_f32_e32 v110, v124, v117
	s_add_u32 s8, s8, 8
	s_waitcnt lgkmcnt(0)
	v_fmac_f32_e32 v110, v125, v118
	v_add_u32_e32 v111, s8, v113
	v_fmac_f32_e32 v110, v114, v119
	s_addc_u32 s9, s9, 0
	s_add_i32 s12, s12, 32
	s_add_i32 s13, s8, -7
	v_cmp_eq_u32_e32 vcc, 19, v111
	v_fmac_f32_e32 v110, v115, v120
	v_mov_b32_e32 v111, s13
	s_or_b64 s[10:11], vcc, s[10:11]
	v_fmac_f32_e32 v110, v116, v121
	s_andn2_b64 exec, exec, s[10:11]
	s_cbranch_execnz .LBB24_185
; %bb.186:
	s_or_b64 exec, exec, s[10:11]
.LBB24_187:
	s_or_b64 exec, exec, s[0:1]
	v_and_b32_e32 v52, 7, v112
	v_cmp_ne_u32_e32 vcc, 0, v52
	s_and_saveexec_b64 s[8:9], vcc
	s_cbranch_execz .LBB24_191
; %bb.188:
	v_mov_b32_e32 v53, 0x70
	v_lshl_add_u32 v53, v111, 2, v53
	v_mov_b32_e32 v54, 0
	s_mov_b64 s[10:11], 0
.LBB24_189:                             ; =>This Inner Loop Header: Depth=1
	v_cmp_eq_u32_e32 vcc, 1, v111
	v_cndmask_b32_e32 v55, v27, v28, vcc
	v_add_u32_e32 v52, -1, v52
	v_cmp_eq_u32_e32 vcc, 2, v111
	v_cndmask_b32_e32 v55, v55, v29, vcc
	v_cmp_eq_u32_e32 vcc, 0, v52
	v_cmp_eq_u32_e64 s[0:1], 3, v111
	v_cndmask_b32_e64 v55, v55, v30, s[0:1]
	s_or_b64 s[10:11], vcc, s[10:11]
	v_cmp_eq_u32_e32 vcc, 4, v111
	v_cndmask_b32_e32 v55, v55, v31, vcc
	v_cmp_eq_u32_e32 vcc, 5, v111
	v_cndmask_b32_e32 v55, v55, v32, vcc
	;; [unrolled: 2-line block ×16, first 2 shown]
	v_cmp_eq_u32_e32 vcc, 20, v111
	ds_read_b32 v56, v53
	v_cndmask_b32_e32 v55, v55, v47, vcc
	v_cmp_eq_u32_e32 vcc, 21, v111
	v_cndmask_b32_e32 v55, v55, v48, vcc
	v_cmp_eq_u32_e32 vcc, 22, v111
	;; [unrolled: 2-line block ×4, first 2 shown]
	v_add_co_u32_e64 v111, s[0:1], 1, v111
	v_cndmask_b32_e32 v55, v55, v51, vcc
	v_add_u32_e32 v53, 4, v53
	v_addc_co_u32_e64 v54, s[0:1], 0, v54, s[0:1]
	s_waitcnt lgkmcnt(0)
	v_fmac_f32_e32 v110, v55, v56
	s_andn2_b64 exec, exec, s[10:11]
	s_cbranch_execnz .LBB24_189
; %bb.190:
	s_or_b64 exec, exec, s[10:11]
.LBB24_191:
	s_or_b64 exec, exec, s[8:9]
.LBB24_192:
	s_or_b64 exec, exec, s[6:7]
	v_mov_b32_e32 v38, 0
	ds_read_b32 v38, v38 offset:44
	s_waitcnt lgkmcnt(0)
	v_mul_f32_e32 v38, v110, v38
.LBB24_193:
	s_or_b64 exec, exec, s[4:5]
	v_cmp_lt_u32_e64 s[0:1], 10, v0
	ds_write_b32 v109, v37
	s_waitcnt lgkmcnt(0)
	; wave barrier
	s_and_saveexec_b64 s[4:5], s[0:1]
	s_cbranch_execz .LBB24_209
; %bb.194:
	s_andn2_b64 vcc, exec, s[54:55]
	s_cbranch_vccnz .LBB24_196
; %bb.195:
	v_cmp_eq_u32_e32 vcc, 1, v0
	v_cndmask_b32_e32 v110, v27, v28, vcc
	v_cmp_eq_u32_e32 vcc, 2, v0
	v_cndmask_b32_e32 v110, v110, v29, vcc
	;; [unrolled: 2-line block ×20, first 2 shown]
	v_cmp_eq_u32_e32 vcc, 21, v0
	ds_read_b32 v111, v109
	v_cndmask_b32_e32 v110, v110, v48, vcc
	v_cmp_eq_u32_e32 vcc, 22, v0
	v_cndmask_b32_e32 v110, v110, v49, vcc
	v_cmp_eq_u32_e32 vcc, 23, v0
	;; [unrolled: 2-line block ×3, first 2 shown]
	v_cndmask_b32_e32 v110, v110, v51, vcc
	s_waitcnt lgkmcnt(0)
	v_mul_f32_e32 v110, v110, v111
	s_cbranch_execz .LBB24_197
	s_branch .LBB24_198
.LBB24_196:
                                        ; implicit-def: $vgpr110
.LBB24_197:
	ds_read_b32 v110, v109
.LBB24_198:
	s_and_saveexec_b64 s[6:7], s[2:3]
	s_cbranch_execz .LBB24_208
; %bb.199:
	v_add_u32_e32 v111, -12, v0
	v_add_u32_e32 v112, -11, v0
	v_cmp_lt_u32_e32 vcc, 6, v111
	v_mov_b32_e32 v111, 11
	s_and_saveexec_b64 s[2:3], vcc
	s_cbranch_execz .LBB24_203
; %bb.200:
	v_and_b32_e32 v111, -8, v112
	v_sub_u32_e32 v113, 0, v111
	s_mov_b64 s[8:9], 18
	s_movk_i32 s12, 0x9c
	s_mov_b64 s[10:11], 0
.LBB24_201:                             ; =>This Inner Loop Header: Depth=1
	s_add_i32 s13, s8, -7
	v_mov_b32_e32 v111, s12
	s_add_i32 s14, s8, -6
	s_set_gpr_idx_on s13, gpr_idx(SRC0)
	v_mov_b32_e32 v120, v27
	s_set_gpr_idx_off
	ds_read2_b32 v[114:115], v111 offset1:1
	s_add_i32 s15, s8, -5
	s_set_gpr_idx_on s14, gpr_idx(SRC0)
	v_mov_b32_e32 v121, v27
	s_set_gpr_idx_off
	s_add_i32 s16, s8, -4
	s_set_gpr_idx_on s15, gpr_idx(SRC0)
	v_mov_b32_e32 v122, v27
	s_set_gpr_idx_off
	ds_read2_b32 v[116:117], v111 offset0:2 offset1:3
	s_add_i32 s17, s8, -3
	s_set_gpr_idx_on s16, gpr_idx(SRC0)
	v_mov_b32_e32 v123, v27
	s_set_gpr_idx_off
	s_add_i32 s18, s8, -2
	s_set_gpr_idx_on s17, gpr_idx(SRC0)
	v_mov_b32_e32 v124, v27
	s_set_gpr_idx_off
	ds_read2_b32 v[118:119], v111 offset0:4 offset1:5
	s_add_i32 s19, s8, -1
	s_waitcnt lgkmcnt(2)
	v_fmac_f32_e32 v110, v120, v114
	s_set_gpr_idx_on s18, gpr_idx(SRC0)
	v_mov_b32_e32 v120, v27
	s_set_gpr_idx_off
	v_fmac_f32_e32 v110, v121, v115
	s_set_gpr_idx_on s19, gpr_idx(SRC0)
	v_mov_b32_e32 v121, v27
	s_set_gpr_idx_off
	ds_read2_b32 v[114:115], v111 offset0:6 offset1:7
	s_waitcnt lgkmcnt(2)
	v_fmac_f32_e32 v110, v122, v116
	s_set_gpr_idx_on s8, gpr_idx(SRC0)
	v_mov_b32_e32 v116, v27
	s_set_gpr_idx_off
	v_fmac_f32_e32 v110, v123, v117
	s_add_u32 s8, s8, 8
	s_waitcnt lgkmcnt(1)
	v_fmac_f32_e32 v110, v124, v118
	v_add_u32_e32 v111, s8, v113
	v_fmac_f32_e32 v110, v120, v119
	s_addc_u32 s9, s9, 0
	s_add_i32 s12, s12, 32
	s_add_i32 s13, s8, -7
	v_cmp_eq_u32_e32 vcc, 18, v111
	s_waitcnt lgkmcnt(0)
	v_fmac_f32_e32 v110, v121, v114
	v_mov_b32_e32 v111, s13
	s_or_b64 s[10:11], vcc, s[10:11]
	v_fmac_f32_e32 v110, v116, v115
	s_andn2_b64 exec, exec, s[10:11]
	s_cbranch_execnz .LBB24_201
; %bb.202:
	s_or_b64 exec, exec, s[10:11]
.LBB24_203:
	s_or_b64 exec, exec, s[2:3]
	v_and_b32_e32 v52, 7, v112
	v_cmp_ne_u32_e32 vcc, 0, v52
	s_and_saveexec_b64 s[8:9], vcc
	s_cbranch_execz .LBB24_207
; %bb.204:
	v_mov_b32_e32 v53, 0x70
	v_lshl_add_u32 v53, v111, 2, v53
	v_mov_b32_e32 v54, 0
	s_mov_b64 s[10:11], 0
.LBB24_205:                             ; =>This Inner Loop Header: Depth=1
	v_cmp_eq_u32_e32 vcc, 1, v111
	v_cndmask_b32_e32 v55, v27, v28, vcc
	v_add_u32_e32 v52, -1, v52
	v_cmp_eq_u32_e32 vcc, 2, v111
	v_cndmask_b32_e32 v55, v55, v29, vcc
	v_cmp_eq_u32_e32 vcc, 0, v52
	v_cmp_eq_u32_e64 s[2:3], 3, v111
	v_cndmask_b32_e64 v55, v55, v30, s[2:3]
	s_or_b64 s[10:11], vcc, s[10:11]
	v_cmp_eq_u32_e32 vcc, 4, v111
	v_cndmask_b32_e32 v55, v55, v31, vcc
	v_cmp_eq_u32_e32 vcc, 5, v111
	v_cndmask_b32_e32 v55, v55, v32, vcc
	;; [unrolled: 2-line block ×16, first 2 shown]
	v_cmp_eq_u32_e32 vcc, 20, v111
	ds_read_b32 v56, v53
	v_cndmask_b32_e32 v55, v55, v47, vcc
	v_cmp_eq_u32_e32 vcc, 21, v111
	v_cndmask_b32_e32 v55, v55, v48, vcc
	v_cmp_eq_u32_e32 vcc, 22, v111
	;; [unrolled: 2-line block ×4, first 2 shown]
	v_add_co_u32_e64 v111, s[2:3], 1, v111
	v_cndmask_b32_e32 v55, v55, v51, vcc
	v_add_u32_e32 v53, 4, v53
	v_addc_co_u32_e64 v54, s[2:3], 0, v54, s[2:3]
	s_waitcnt lgkmcnt(0)
	v_fmac_f32_e32 v110, v55, v56
	s_andn2_b64 exec, exec, s[10:11]
	s_cbranch_execnz .LBB24_205
; %bb.206:
	s_or_b64 exec, exec, s[10:11]
.LBB24_207:
	s_or_b64 exec, exec, s[8:9]
.LBB24_208:
	s_or_b64 exec, exec, s[6:7]
	v_mov_b32_e32 v37, 0
	ds_read_b32 v37, v37 offset:40
	s_waitcnt lgkmcnt(0)
	v_mul_f32_e32 v37, v110, v37
.LBB24_209:
	s_or_b64 exec, exec, s[4:5]
	v_cmp_lt_u32_e64 s[2:3], 9, v0
	ds_write_b32 v109, v36
	s_waitcnt lgkmcnt(0)
	; wave barrier
	s_and_saveexec_b64 s[4:5], s[2:3]
	s_cbranch_execz .LBB24_225
; %bb.210:
	s_andn2_b64 vcc, exec, s[54:55]
	s_cbranch_vccnz .LBB24_212
; %bb.211:
	v_cmp_eq_u32_e32 vcc, 1, v0
	v_cndmask_b32_e32 v110, v27, v28, vcc
	v_cmp_eq_u32_e32 vcc, 2, v0
	v_cndmask_b32_e32 v110, v110, v29, vcc
	;; [unrolled: 2-line block ×20, first 2 shown]
	v_cmp_eq_u32_e32 vcc, 21, v0
	ds_read_b32 v111, v109
	v_cndmask_b32_e32 v110, v110, v48, vcc
	v_cmp_eq_u32_e32 vcc, 22, v0
	v_cndmask_b32_e32 v110, v110, v49, vcc
	v_cmp_eq_u32_e32 vcc, 23, v0
	;; [unrolled: 2-line block ×3, first 2 shown]
	v_cndmask_b32_e32 v110, v110, v51, vcc
	s_waitcnt lgkmcnt(0)
	v_mul_f32_e32 v110, v110, v111
	s_cbranch_execz .LBB24_213
	s_branch .LBB24_214
.LBB24_212:
                                        ; implicit-def: $vgpr110
.LBB24_213:
	ds_read_b32 v110, v109
.LBB24_214:
	s_and_saveexec_b64 s[6:7], s[0:1]
	s_cbranch_execz .LBB24_224
; %bb.215:
	v_add_u32_e32 v111, -11, v0
	v_add_u32_e32 v112, -10, v0
	v_cmp_lt_u32_e32 vcc, 6, v111
	v_mov_b32_e32 v111, 10
	s_and_saveexec_b64 s[0:1], vcc
	s_cbranch_execz .LBB24_219
; %bb.216:
	v_and_b32_e32 v111, -8, v112
	v_sub_u32_e32 v113, 0, v111
	s_mov_b64 s[8:9], 17
	s_movk_i32 s12, 0x98
	s_mov_b64 s[10:11], 0
.LBB24_217:                             ; =>This Inner Loop Header: Depth=1
	s_add_i32 s13, s8, -7
	v_mov_b32_e32 v111, s12
	s_add_i32 s14, s8, -6
	s_set_gpr_idx_on s13, gpr_idx(SRC0)
	v_mov_b32_e32 v122, v27
	s_set_gpr_idx_off
	ds_read2_b64 v[114:117], v111 offset1:1
	s_add_i32 s15, s8, -5
	s_set_gpr_idx_on s14, gpr_idx(SRC0)
	v_mov_b32_e32 v123, v27
	s_set_gpr_idx_off
	s_add_i32 s16, s8, -4
	s_set_gpr_idx_on s15, gpr_idx(SRC0)
	v_mov_b32_e32 v124, v27
	s_set_gpr_idx_off
	;; [unrolled: 4-line block ×4, first 2 shown]
	ds_read2_b64 v[118:121], v111 offset0:2 offset1:3
	s_add_i32 s19, s8, -1
	s_waitcnt lgkmcnt(1)
	v_fmac_f32_e32 v110, v122, v114
	s_set_gpr_idx_on s18, gpr_idx(SRC0)
	v_mov_b32_e32 v114, v27
	s_set_gpr_idx_off
	v_fmac_f32_e32 v110, v123, v115
	s_set_gpr_idx_on s19, gpr_idx(SRC0)
	v_mov_b32_e32 v115, v27
	s_set_gpr_idx_off
	v_fmac_f32_e32 v110, v124, v116
	s_set_gpr_idx_on s8, gpr_idx(SRC0)
	v_mov_b32_e32 v116, v27
	s_set_gpr_idx_off
	v_fmac_f32_e32 v110, v125, v117
	s_add_u32 s8, s8, 8
	s_waitcnt lgkmcnt(0)
	v_fmac_f32_e32 v110, v126, v118
	v_add_u32_e32 v111, s8, v113
	v_fmac_f32_e32 v110, v114, v119
	s_addc_u32 s9, s9, 0
	s_add_i32 s12, s12, 32
	s_add_i32 s13, s8, -7
	v_cmp_eq_u32_e32 vcc, 17, v111
	v_fmac_f32_e32 v110, v115, v120
	v_mov_b32_e32 v111, s13
	s_or_b64 s[10:11], vcc, s[10:11]
	v_fmac_f32_e32 v110, v116, v121
	s_andn2_b64 exec, exec, s[10:11]
	s_cbranch_execnz .LBB24_217
; %bb.218:
	s_or_b64 exec, exec, s[10:11]
.LBB24_219:
	s_or_b64 exec, exec, s[0:1]
	v_and_b32_e32 v52, 7, v112
	v_cmp_ne_u32_e32 vcc, 0, v52
	s_and_saveexec_b64 s[8:9], vcc
	s_cbranch_execz .LBB24_223
; %bb.220:
	v_mov_b32_e32 v53, 0x70
	v_lshl_add_u32 v53, v111, 2, v53
	v_mov_b32_e32 v54, 0
	s_mov_b64 s[10:11], 0
.LBB24_221:                             ; =>This Inner Loop Header: Depth=1
	v_cmp_eq_u32_e32 vcc, 1, v111
	v_cndmask_b32_e32 v55, v27, v28, vcc
	v_add_u32_e32 v52, -1, v52
	v_cmp_eq_u32_e32 vcc, 2, v111
	v_cndmask_b32_e32 v55, v55, v29, vcc
	v_cmp_eq_u32_e32 vcc, 0, v52
	v_cmp_eq_u32_e64 s[0:1], 3, v111
	v_cndmask_b32_e64 v55, v55, v30, s[0:1]
	s_or_b64 s[10:11], vcc, s[10:11]
	v_cmp_eq_u32_e32 vcc, 4, v111
	v_cndmask_b32_e32 v55, v55, v31, vcc
	v_cmp_eq_u32_e32 vcc, 5, v111
	v_cndmask_b32_e32 v55, v55, v32, vcc
	;; [unrolled: 2-line block ×16, first 2 shown]
	v_cmp_eq_u32_e32 vcc, 20, v111
	ds_read_b32 v56, v53
	v_cndmask_b32_e32 v55, v55, v47, vcc
	v_cmp_eq_u32_e32 vcc, 21, v111
	v_cndmask_b32_e32 v55, v55, v48, vcc
	v_cmp_eq_u32_e32 vcc, 22, v111
	;; [unrolled: 2-line block ×4, first 2 shown]
	v_add_co_u32_e64 v111, s[0:1], 1, v111
	v_cndmask_b32_e32 v55, v55, v51, vcc
	v_add_u32_e32 v53, 4, v53
	v_addc_co_u32_e64 v54, s[0:1], 0, v54, s[0:1]
	s_waitcnt lgkmcnt(0)
	v_fmac_f32_e32 v110, v55, v56
	s_andn2_b64 exec, exec, s[10:11]
	s_cbranch_execnz .LBB24_221
; %bb.222:
	s_or_b64 exec, exec, s[10:11]
.LBB24_223:
	s_or_b64 exec, exec, s[8:9]
.LBB24_224:
	s_or_b64 exec, exec, s[6:7]
	v_mov_b32_e32 v36, 0
	ds_read_b32 v36, v36 offset:36
	s_waitcnt lgkmcnt(0)
	v_mul_f32_e32 v36, v110, v36
.LBB24_225:
	s_or_b64 exec, exec, s[4:5]
	v_cmp_lt_u32_e64 s[0:1], 8, v0
	ds_write_b32 v109, v35
	s_waitcnt lgkmcnt(0)
	; wave barrier
	s_and_saveexec_b64 s[4:5], s[0:1]
	s_cbranch_execz .LBB24_241
; %bb.226:
	s_andn2_b64 vcc, exec, s[54:55]
	s_cbranch_vccnz .LBB24_228
; %bb.227:
	v_cmp_eq_u32_e32 vcc, 1, v0
	v_cndmask_b32_e32 v110, v27, v28, vcc
	v_cmp_eq_u32_e32 vcc, 2, v0
	v_cndmask_b32_e32 v110, v110, v29, vcc
	;; [unrolled: 2-line block ×20, first 2 shown]
	v_cmp_eq_u32_e32 vcc, 21, v0
	ds_read_b32 v111, v109
	v_cndmask_b32_e32 v110, v110, v48, vcc
	v_cmp_eq_u32_e32 vcc, 22, v0
	v_cndmask_b32_e32 v110, v110, v49, vcc
	v_cmp_eq_u32_e32 vcc, 23, v0
	;; [unrolled: 2-line block ×3, first 2 shown]
	v_cndmask_b32_e32 v110, v110, v51, vcc
	s_waitcnt lgkmcnt(0)
	v_mul_f32_e32 v110, v110, v111
	s_cbranch_execz .LBB24_229
	s_branch .LBB24_230
.LBB24_228:
                                        ; implicit-def: $vgpr110
.LBB24_229:
	ds_read_b32 v110, v109
.LBB24_230:
	s_and_saveexec_b64 s[6:7], s[2:3]
	s_cbranch_execz .LBB24_240
; %bb.231:
	v_add_u32_e32 v111, -10, v0
	v_add_u32_e32 v112, -9, v0
	v_cmp_lt_u32_e32 vcc, 6, v111
	v_mov_b32_e32 v111, 9
	s_and_saveexec_b64 s[2:3], vcc
	s_cbranch_execz .LBB24_235
; %bb.232:
	v_and_b32_e32 v111, -8, v112
	v_sub_u32_e32 v113, 0, v111
	s_mov_b64 s[8:9], 16
	s_movk_i32 s12, 0x94
	s_mov_b64 s[10:11], 0
.LBB24_233:                             ; =>This Inner Loop Header: Depth=1
	s_add_i32 s13, s8, -7
	v_mov_b32_e32 v111, s12
	s_add_i32 s14, s8, -6
	s_set_gpr_idx_on s13, gpr_idx(SRC0)
	v_mov_b32_e32 v120, v27
	s_set_gpr_idx_off
	ds_read2_b32 v[114:115], v111 offset1:1
	s_add_i32 s15, s8, -5
	s_set_gpr_idx_on s14, gpr_idx(SRC0)
	v_mov_b32_e32 v121, v27
	s_set_gpr_idx_off
	s_add_i32 s16, s8, -4
	s_set_gpr_idx_on s15, gpr_idx(SRC0)
	v_mov_b32_e32 v122, v27
	s_set_gpr_idx_off
	ds_read2_b32 v[116:117], v111 offset0:2 offset1:3
	s_add_i32 s17, s8, -3
	s_set_gpr_idx_on s16, gpr_idx(SRC0)
	v_mov_b32_e32 v123, v27
	s_set_gpr_idx_off
	s_add_i32 s18, s8, -2
	s_set_gpr_idx_on s17, gpr_idx(SRC0)
	v_mov_b32_e32 v124, v27
	s_set_gpr_idx_off
	ds_read2_b32 v[118:119], v111 offset0:4 offset1:5
	s_add_i32 s19, s8, -1
	s_waitcnt lgkmcnt(2)
	v_fmac_f32_e32 v110, v120, v114
	s_set_gpr_idx_on s18, gpr_idx(SRC0)
	v_mov_b32_e32 v120, v27
	s_set_gpr_idx_off
	v_fmac_f32_e32 v110, v121, v115
	s_set_gpr_idx_on s19, gpr_idx(SRC0)
	v_mov_b32_e32 v121, v27
	s_set_gpr_idx_off
	ds_read2_b32 v[114:115], v111 offset0:6 offset1:7
	s_waitcnt lgkmcnt(2)
	v_fmac_f32_e32 v110, v122, v116
	s_set_gpr_idx_on s8, gpr_idx(SRC0)
	v_mov_b32_e32 v116, v27
	s_set_gpr_idx_off
	v_fmac_f32_e32 v110, v123, v117
	s_add_u32 s8, s8, 8
	s_waitcnt lgkmcnt(1)
	v_fmac_f32_e32 v110, v124, v118
	v_add_u32_e32 v111, s8, v113
	v_fmac_f32_e32 v110, v120, v119
	s_addc_u32 s9, s9, 0
	s_add_i32 s12, s12, 32
	s_add_i32 s13, s8, -7
	v_cmp_eq_u32_e32 vcc, 16, v111
	s_waitcnt lgkmcnt(0)
	v_fmac_f32_e32 v110, v121, v114
	v_mov_b32_e32 v111, s13
	s_or_b64 s[10:11], vcc, s[10:11]
	v_fmac_f32_e32 v110, v116, v115
	s_andn2_b64 exec, exec, s[10:11]
	s_cbranch_execnz .LBB24_233
; %bb.234:
	s_or_b64 exec, exec, s[10:11]
.LBB24_235:
	s_or_b64 exec, exec, s[2:3]
	v_and_b32_e32 v52, 7, v112
	v_cmp_ne_u32_e32 vcc, 0, v52
	s_and_saveexec_b64 s[8:9], vcc
	s_cbranch_execz .LBB24_239
; %bb.236:
	v_mov_b32_e32 v53, 0x70
	v_lshl_add_u32 v53, v111, 2, v53
	v_mov_b32_e32 v54, 0
	s_mov_b64 s[10:11], 0
.LBB24_237:                             ; =>This Inner Loop Header: Depth=1
	v_cmp_eq_u32_e32 vcc, 1, v111
	v_cndmask_b32_e32 v55, v27, v28, vcc
	v_add_u32_e32 v52, -1, v52
	v_cmp_eq_u32_e32 vcc, 2, v111
	v_cndmask_b32_e32 v55, v55, v29, vcc
	v_cmp_eq_u32_e32 vcc, 0, v52
	v_cmp_eq_u32_e64 s[2:3], 3, v111
	v_cndmask_b32_e64 v55, v55, v30, s[2:3]
	s_or_b64 s[10:11], vcc, s[10:11]
	v_cmp_eq_u32_e32 vcc, 4, v111
	v_cndmask_b32_e32 v55, v55, v31, vcc
	v_cmp_eq_u32_e32 vcc, 5, v111
	v_cndmask_b32_e32 v55, v55, v32, vcc
	;; [unrolled: 2-line block ×16, first 2 shown]
	v_cmp_eq_u32_e32 vcc, 20, v111
	ds_read_b32 v56, v53
	v_cndmask_b32_e32 v55, v55, v47, vcc
	v_cmp_eq_u32_e32 vcc, 21, v111
	v_cndmask_b32_e32 v55, v55, v48, vcc
	v_cmp_eq_u32_e32 vcc, 22, v111
	;; [unrolled: 2-line block ×4, first 2 shown]
	v_add_co_u32_e64 v111, s[2:3], 1, v111
	v_cndmask_b32_e32 v55, v55, v51, vcc
	v_add_u32_e32 v53, 4, v53
	v_addc_co_u32_e64 v54, s[2:3], 0, v54, s[2:3]
	s_waitcnt lgkmcnt(0)
	v_fmac_f32_e32 v110, v55, v56
	s_andn2_b64 exec, exec, s[10:11]
	s_cbranch_execnz .LBB24_237
; %bb.238:
	s_or_b64 exec, exec, s[10:11]
.LBB24_239:
	s_or_b64 exec, exec, s[8:9]
.LBB24_240:
	s_or_b64 exec, exec, s[6:7]
	v_mov_b32_e32 v35, 0
	ds_read_b32 v35, v35 offset:32
	s_waitcnt lgkmcnt(0)
	v_mul_f32_e32 v35, v110, v35
.LBB24_241:
	s_or_b64 exec, exec, s[4:5]
	v_cmp_lt_u32_e64 s[2:3], 7, v0
	ds_write_b32 v109, v34
	s_waitcnt lgkmcnt(0)
	; wave barrier
	s_and_saveexec_b64 s[4:5], s[2:3]
	s_cbranch_execz .LBB24_257
; %bb.242:
	s_andn2_b64 vcc, exec, s[54:55]
	s_cbranch_vccnz .LBB24_244
; %bb.243:
	v_cmp_eq_u32_e32 vcc, 1, v0
	v_cndmask_b32_e32 v110, v27, v28, vcc
	v_cmp_eq_u32_e32 vcc, 2, v0
	v_cndmask_b32_e32 v110, v110, v29, vcc
	v_cmp_eq_u32_e32 vcc, 3, v0
	v_cndmask_b32_e32 v110, v110, v30, vcc
	v_cmp_eq_u32_e32 vcc, 4, v0
	v_cndmask_b32_e32 v110, v110, v31, vcc
	v_cmp_eq_u32_e32 vcc, 5, v0
	v_cndmask_b32_e32 v110, v110, v32, vcc
	v_cmp_eq_u32_e32 vcc, 6, v0
	v_cndmask_b32_e32 v110, v110, v33, vcc
	v_cmp_eq_u32_e32 vcc, 7, v0
	v_cndmask_b32_e32 v110, v110, v34, vcc
	v_cmp_eq_u32_e32 vcc, 8, v0
	v_cndmask_b32_e32 v110, v110, v35, vcc
	v_cmp_eq_u32_e32 vcc, 9, v0
	v_cndmask_b32_e32 v110, v110, v36, vcc
	v_cmp_eq_u32_e32 vcc, 10, v0
	v_cndmask_b32_e32 v110, v110, v37, vcc
	v_cmp_eq_u32_e32 vcc, 11, v0
	v_cndmask_b32_e32 v110, v110, v38, vcc
	v_cmp_eq_u32_e32 vcc, 12, v0
	v_cndmask_b32_e32 v110, v110, v39, vcc
	v_cmp_eq_u32_e32 vcc, 13, v0
	v_cndmask_b32_e32 v110, v110, v40, vcc
	v_cmp_eq_u32_e32 vcc, 14, v0
	v_cndmask_b32_e32 v110, v110, v41, vcc
	v_cmp_eq_u32_e32 vcc, 15, v0
	v_cndmask_b32_e32 v110, v110, v42, vcc
	v_cmp_eq_u32_e32 vcc, 16, v0
	v_cndmask_b32_e32 v110, v110, v43, vcc
	v_cmp_eq_u32_e32 vcc, 17, v0
	v_cndmask_b32_e32 v110, v110, v44, vcc
	v_cmp_eq_u32_e32 vcc, 18, v0
	v_cndmask_b32_e32 v110, v110, v45, vcc
	v_cmp_eq_u32_e32 vcc, 19, v0
	v_cndmask_b32_e32 v110, v110, v46, vcc
	v_cmp_eq_u32_e32 vcc, 20, v0
	v_cndmask_b32_e32 v110, v110, v47, vcc
	v_cmp_eq_u32_e32 vcc, 21, v0
	ds_read_b32 v111, v109
	v_cndmask_b32_e32 v110, v110, v48, vcc
	v_cmp_eq_u32_e32 vcc, 22, v0
	v_cndmask_b32_e32 v110, v110, v49, vcc
	v_cmp_eq_u32_e32 vcc, 23, v0
	;; [unrolled: 2-line block ×3, first 2 shown]
	v_cndmask_b32_e32 v110, v110, v51, vcc
	s_waitcnt lgkmcnt(0)
	v_mul_f32_e32 v110, v110, v111
	s_cbranch_execz .LBB24_245
	s_branch .LBB24_246
.LBB24_244:
                                        ; implicit-def: $vgpr110
.LBB24_245:
	ds_read_b32 v110, v109
.LBB24_246:
	s_and_saveexec_b64 s[6:7], s[0:1]
	s_cbranch_execz .LBB24_256
; %bb.247:
	v_add_u32_e32 v111, -9, v0
	v_cmp_lt_u32_e32 vcc, 6, v111
	v_mov_b32_e32 v111, 8
	s_and_saveexec_b64 s[0:1], vcc
	s_cbranch_execz .LBB24_251
; %bb.248:
	v_and_b32_e32 v111, 24, v0
	v_sub_u32_e32 v112, 0, v111
	s_mov_b64 s[8:9], 15
	s_movk_i32 s12, 0x90
	s_mov_b64 s[10:11], 0
.LBB24_249:                             ; =>This Inner Loop Header: Depth=1
	s_add_i32 s13, s8, -7
	v_mov_b32_e32 v111, s12
	s_add_i32 s14, s8, -6
	s_set_gpr_idx_on s13, gpr_idx(SRC0)
	v_mov_b32_e32 v121, v27
	s_set_gpr_idx_off
	s_add_i32 s15, s8, -5
	ds_read_b128 v[113:116], v111
	ds_read_b128 v[117:120], v111 offset:16
	s_set_gpr_idx_on s14, gpr_idx(SRC0)
	v_mov_b32_e32 v111, v27
	s_set_gpr_idx_off
	s_add_i32 s16, s8, -4
	s_set_gpr_idx_on s15, gpr_idx(SRC0)
	v_mov_b32_e32 v122, v27
	s_set_gpr_idx_off
	s_add_i32 s17, s8, -3
	s_set_gpr_idx_on s16, gpr_idx(SRC0)
	v_mov_b32_e32 v123, v27
	s_set_gpr_idx_off
	s_add_i32 s18, s8, -2
	s_set_gpr_idx_on s17, gpr_idx(SRC0)
	v_mov_b32_e32 v124, v27
	s_set_gpr_idx_off
	s_add_i32 s19, s8, -1
	s_waitcnt lgkmcnt(1)
	v_fmac_f32_e32 v110, v121, v113
	s_set_gpr_idx_on s18, gpr_idx(SRC0)
	v_mov_b32_e32 v113, v27
	s_set_gpr_idx_off
	v_fmac_f32_e32 v110, v111, v114
	s_set_gpr_idx_on s19, gpr_idx(SRC0)
	v_mov_b32_e32 v114, v27
	s_set_gpr_idx_off
	v_fmac_f32_e32 v110, v122, v115
	s_set_gpr_idx_on s8, gpr_idx(SRC0)
	v_mov_b32_e32 v115, v27
	s_set_gpr_idx_off
	v_fmac_f32_e32 v110, v123, v116
	s_add_u32 s8, s8, 8
	s_waitcnt lgkmcnt(0)
	v_fmac_f32_e32 v110, v124, v117
	v_add_u32_e32 v111, s8, v112
	v_fmac_f32_e32 v110, v113, v118
	s_addc_u32 s9, s9, 0
	s_add_i32 s12, s12, 32
	s_add_i32 s13, s8, -7
	v_cmp_eq_u32_e32 vcc, 7, v111
	v_fmac_f32_e32 v110, v114, v119
	v_mov_b32_e32 v111, s13
	s_or_b64 s[10:11], vcc, s[10:11]
	v_fmac_f32_e32 v110, v115, v120
	s_andn2_b64 exec, exec, s[10:11]
	s_cbranch_execnz .LBB24_249
; %bb.250:
	s_or_b64 exec, exec, s[10:11]
.LBB24_251:
	s_or_b64 exec, exec, s[0:1]
	v_and_b32_e32 v52, 7, v0
	v_cmp_ne_u32_e32 vcc, 0, v52
	s_and_saveexec_b64 s[8:9], vcc
	s_cbranch_execz .LBB24_255
; %bb.252:
	v_mov_b32_e32 v53, 0x70
	v_lshl_add_u32 v53, v111, 2, v53
	v_mov_b32_e32 v54, 0
	s_mov_b64 s[10:11], 0
.LBB24_253:                             ; =>This Inner Loop Header: Depth=1
	v_cmp_eq_u32_e32 vcc, 1, v111
	v_cndmask_b32_e32 v55, v27, v28, vcc
	v_add_u32_e32 v52, -1, v52
	v_cmp_eq_u32_e32 vcc, 2, v111
	v_cndmask_b32_e32 v55, v55, v29, vcc
	v_cmp_eq_u32_e32 vcc, 0, v52
	v_cmp_eq_u32_e64 s[0:1], 3, v111
	v_cndmask_b32_e64 v55, v55, v30, s[0:1]
	s_or_b64 s[10:11], vcc, s[10:11]
	v_cmp_eq_u32_e32 vcc, 4, v111
	v_cndmask_b32_e32 v55, v55, v31, vcc
	v_cmp_eq_u32_e32 vcc, 5, v111
	v_cndmask_b32_e32 v55, v55, v32, vcc
	;; [unrolled: 2-line block ×16, first 2 shown]
	v_cmp_eq_u32_e32 vcc, 20, v111
	ds_read_b32 v56, v53
	v_cndmask_b32_e32 v55, v55, v47, vcc
	v_cmp_eq_u32_e32 vcc, 21, v111
	v_cndmask_b32_e32 v55, v55, v48, vcc
	v_cmp_eq_u32_e32 vcc, 22, v111
	;; [unrolled: 2-line block ×4, first 2 shown]
	v_add_co_u32_e64 v111, s[0:1], 1, v111
	v_cndmask_b32_e32 v55, v55, v51, vcc
	v_add_u32_e32 v53, 4, v53
	v_addc_co_u32_e64 v54, s[0:1], 0, v54, s[0:1]
	s_waitcnt lgkmcnt(0)
	v_fmac_f32_e32 v110, v55, v56
	s_andn2_b64 exec, exec, s[10:11]
	s_cbranch_execnz .LBB24_253
; %bb.254:
	s_or_b64 exec, exec, s[10:11]
.LBB24_255:
	s_or_b64 exec, exec, s[8:9]
.LBB24_256:
	s_or_b64 exec, exec, s[6:7]
	v_mov_b32_e32 v34, 0
	ds_read_b32 v34, v34 offset:28
	s_waitcnt lgkmcnt(0)
	v_mul_f32_e32 v34, v110, v34
.LBB24_257:
	s_or_b64 exec, exec, s[4:5]
	v_cmp_lt_u32_e64 s[0:1], 6, v0
	ds_write_b32 v109, v33
	s_waitcnt lgkmcnt(0)
	; wave barrier
	s_and_saveexec_b64 s[4:5], s[0:1]
	s_cbranch_execz .LBB24_273
; %bb.258:
	s_andn2_b64 vcc, exec, s[54:55]
	s_cbranch_vccnz .LBB24_260
; %bb.259:
	v_cmp_eq_u32_e32 vcc, 1, v0
	v_cndmask_b32_e32 v110, v27, v28, vcc
	v_cmp_eq_u32_e32 vcc, 2, v0
	v_cndmask_b32_e32 v110, v110, v29, vcc
	;; [unrolled: 2-line block ×20, first 2 shown]
	v_cmp_eq_u32_e32 vcc, 21, v0
	ds_read_b32 v111, v109
	v_cndmask_b32_e32 v110, v110, v48, vcc
	v_cmp_eq_u32_e32 vcc, 22, v0
	v_cndmask_b32_e32 v110, v110, v49, vcc
	v_cmp_eq_u32_e32 vcc, 23, v0
	;; [unrolled: 2-line block ×3, first 2 shown]
	v_cndmask_b32_e32 v110, v110, v51, vcc
	s_waitcnt lgkmcnt(0)
	v_mul_f32_e32 v110, v110, v111
	s_cbranch_execz .LBB24_261
	s_branch .LBB24_262
.LBB24_260:
                                        ; implicit-def: $vgpr110
.LBB24_261:
	ds_read_b32 v110, v109
.LBB24_262:
	s_and_saveexec_b64 s[6:7], s[2:3]
	s_cbranch_execz .LBB24_272
; %bb.263:
	v_add_u32_e32 v111, -8, v0
	v_add_u32_e32 v112, -7, v0
	v_cmp_lt_u32_e32 vcc, 6, v111
	v_mov_b32_e32 v111, 7
	s_and_saveexec_b64 s[2:3], vcc
	s_cbranch_execz .LBB24_267
; %bb.264:
	v_and_b32_e32 v111, -8, v112
	v_sub_u32_e32 v113, 0, v111
	s_mov_b64 s[8:9], 14
	s_movk_i32 s12, 0x8c
	s_mov_b64 s[10:11], 0
.LBB24_265:                             ; =>This Inner Loop Header: Depth=1
	s_add_i32 s13, s8, -7
	v_mov_b32_e32 v111, s12
	s_add_i32 s14, s8, -6
	s_set_gpr_idx_on s13, gpr_idx(SRC0)
	v_mov_b32_e32 v120, v27
	s_set_gpr_idx_off
	ds_read2_b32 v[114:115], v111 offset1:1
	s_add_i32 s15, s8, -5
	s_set_gpr_idx_on s14, gpr_idx(SRC0)
	v_mov_b32_e32 v121, v27
	s_set_gpr_idx_off
	s_add_i32 s16, s8, -4
	s_set_gpr_idx_on s15, gpr_idx(SRC0)
	v_mov_b32_e32 v122, v27
	s_set_gpr_idx_off
	ds_read2_b32 v[116:117], v111 offset0:2 offset1:3
	s_add_i32 s17, s8, -3
	s_set_gpr_idx_on s16, gpr_idx(SRC0)
	v_mov_b32_e32 v123, v27
	s_set_gpr_idx_off
	s_add_i32 s18, s8, -2
	s_set_gpr_idx_on s17, gpr_idx(SRC0)
	v_mov_b32_e32 v124, v27
	s_set_gpr_idx_off
	ds_read2_b32 v[118:119], v111 offset0:4 offset1:5
	s_add_i32 s19, s8, -1
	s_waitcnt lgkmcnt(2)
	v_fmac_f32_e32 v110, v120, v114
	s_set_gpr_idx_on s18, gpr_idx(SRC0)
	v_mov_b32_e32 v120, v27
	s_set_gpr_idx_off
	v_fmac_f32_e32 v110, v121, v115
	s_set_gpr_idx_on s19, gpr_idx(SRC0)
	v_mov_b32_e32 v121, v27
	s_set_gpr_idx_off
	ds_read2_b32 v[114:115], v111 offset0:6 offset1:7
	s_waitcnt lgkmcnt(2)
	v_fmac_f32_e32 v110, v122, v116
	s_set_gpr_idx_on s8, gpr_idx(SRC0)
	v_mov_b32_e32 v116, v27
	s_set_gpr_idx_off
	v_fmac_f32_e32 v110, v123, v117
	s_add_u32 s8, s8, 8
	s_waitcnt lgkmcnt(1)
	v_fmac_f32_e32 v110, v124, v118
	v_add_u32_e32 v111, s8, v113
	v_fmac_f32_e32 v110, v120, v119
	s_addc_u32 s9, s9, 0
	s_add_i32 s12, s12, 32
	s_add_i32 s13, s8, -7
	v_cmp_eq_u32_e32 vcc, 14, v111
	s_waitcnt lgkmcnt(0)
	v_fmac_f32_e32 v110, v121, v114
	v_mov_b32_e32 v111, s13
	s_or_b64 s[10:11], vcc, s[10:11]
	v_fmac_f32_e32 v110, v116, v115
	s_andn2_b64 exec, exec, s[10:11]
	s_cbranch_execnz .LBB24_265
; %bb.266:
	s_or_b64 exec, exec, s[10:11]
.LBB24_267:
	s_or_b64 exec, exec, s[2:3]
	v_and_b32_e32 v52, 7, v112
	v_cmp_ne_u32_e32 vcc, 0, v52
	s_and_saveexec_b64 s[8:9], vcc
	s_cbranch_execz .LBB24_271
; %bb.268:
	v_mov_b32_e32 v53, 0x70
	v_lshl_add_u32 v53, v111, 2, v53
	v_mov_b32_e32 v54, 0
	s_mov_b64 s[10:11], 0
.LBB24_269:                             ; =>This Inner Loop Header: Depth=1
	v_cmp_eq_u32_e32 vcc, 1, v111
	v_cndmask_b32_e32 v55, v27, v28, vcc
	v_add_u32_e32 v52, -1, v52
	v_cmp_eq_u32_e32 vcc, 2, v111
	v_cndmask_b32_e32 v55, v55, v29, vcc
	v_cmp_eq_u32_e32 vcc, 0, v52
	v_cmp_eq_u32_e64 s[2:3], 3, v111
	v_cndmask_b32_e64 v55, v55, v30, s[2:3]
	s_or_b64 s[10:11], vcc, s[10:11]
	v_cmp_eq_u32_e32 vcc, 4, v111
	v_cndmask_b32_e32 v55, v55, v31, vcc
	v_cmp_eq_u32_e32 vcc, 5, v111
	v_cndmask_b32_e32 v55, v55, v32, vcc
	;; [unrolled: 2-line block ×16, first 2 shown]
	v_cmp_eq_u32_e32 vcc, 20, v111
	ds_read_b32 v56, v53
	v_cndmask_b32_e32 v55, v55, v47, vcc
	v_cmp_eq_u32_e32 vcc, 21, v111
	v_cndmask_b32_e32 v55, v55, v48, vcc
	v_cmp_eq_u32_e32 vcc, 22, v111
	v_cndmask_b32_e32 v55, v55, v49, vcc
	v_cmp_eq_u32_e32 vcc, 23, v111
	v_cndmask_b32_e32 v55, v55, v50, vcc
	v_cmp_eq_u32_e32 vcc, 24, v111
	v_add_co_u32_e64 v111, s[2:3], 1, v111
	v_cndmask_b32_e32 v55, v55, v51, vcc
	v_add_u32_e32 v53, 4, v53
	v_addc_co_u32_e64 v54, s[2:3], 0, v54, s[2:3]
	s_waitcnt lgkmcnt(0)
	v_fmac_f32_e32 v110, v55, v56
	s_andn2_b64 exec, exec, s[10:11]
	s_cbranch_execnz .LBB24_269
; %bb.270:
	s_or_b64 exec, exec, s[10:11]
.LBB24_271:
	s_or_b64 exec, exec, s[8:9]
.LBB24_272:
	s_or_b64 exec, exec, s[6:7]
	v_mov_b32_e32 v33, 0
	ds_read_b32 v33, v33 offset:24
	s_waitcnt lgkmcnt(0)
	v_mul_f32_e32 v33, v110, v33
.LBB24_273:
	s_or_b64 exec, exec, s[4:5]
	v_cmp_lt_u32_e64 s[2:3], 5, v0
	ds_write_b32 v109, v32
	s_waitcnt lgkmcnt(0)
	; wave barrier
	s_and_saveexec_b64 s[4:5], s[2:3]
	s_cbranch_execz .LBB24_289
; %bb.274:
	s_andn2_b64 vcc, exec, s[54:55]
	s_cbranch_vccnz .LBB24_276
; %bb.275:
	v_cmp_eq_u32_e32 vcc, 1, v0
	v_cndmask_b32_e32 v110, v27, v28, vcc
	v_cmp_eq_u32_e32 vcc, 2, v0
	v_cndmask_b32_e32 v110, v110, v29, vcc
	;; [unrolled: 2-line block ×20, first 2 shown]
	v_cmp_eq_u32_e32 vcc, 21, v0
	ds_read_b32 v111, v109
	v_cndmask_b32_e32 v110, v110, v48, vcc
	v_cmp_eq_u32_e32 vcc, 22, v0
	v_cndmask_b32_e32 v110, v110, v49, vcc
	v_cmp_eq_u32_e32 vcc, 23, v0
	;; [unrolled: 2-line block ×3, first 2 shown]
	v_cndmask_b32_e32 v110, v110, v51, vcc
	s_waitcnt lgkmcnt(0)
	v_mul_f32_e32 v110, v110, v111
	s_cbranch_execz .LBB24_277
	s_branch .LBB24_278
.LBB24_276:
                                        ; implicit-def: $vgpr110
.LBB24_277:
	ds_read_b32 v110, v109
.LBB24_278:
	s_and_saveexec_b64 s[6:7], s[0:1]
	s_cbranch_execz .LBB24_288
; %bb.279:
	v_add_u32_e32 v113, -7, v0
	v_add_u32_e32 v112, -6, v0
	v_mov_b32_e32 v111, 6
	v_cmp_lt_u32_e32 vcc, 6, v113
	s_and_saveexec_b64 s[0:1], vcc
	s_cbranch_execz .LBB24_283
; %bb.280:
	v_and_b32_e32 v111, -8, v112
	v_sub_u32_e32 v113, 0, v111
	s_mov_b64 s[8:9], 13
	s_movk_i32 s12, 0x88
	s_mov_b64 s[10:11], 0
.LBB24_281:                             ; =>This Inner Loop Header: Depth=1
	s_add_i32 s13, s8, -7
	v_mov_b32_e32 v111, s12
	s_add_i32 s14, s8, -6
	s_set_gpr_idx_on s13, gpr_idx(SRC0)
	v_mov_b32_e32 v122, v27
	s_set_gpr_idx_off
	ds_read2_b64 v[114:117], v111 offset1:1
	s_add_i32 s15, s8, -5
	s_set_gpr_idx_on s14, gpr_idx(SRC0)
	v_mov_b32_e32 v123, v27
	s_set_gpr_idx_off
	s_add_i32 s16, s8, -4
	s_set_gpr_idx_on s15, gpr_idx(SRC0)
	v_mov_b32_e32 v124, v27
	s_set_gpr_idx_off
	;; [unrolled: 4-line block ×4, first 2 shown]
	ds_read2_b64 v[118:121], v111 offset0:2 offset1:3
	s_add_i32 s19, s8, -1
	s_waitcnt lgkmcnt(1)
	v_fmac_f32_e32 v110, v122, v114
	s_set_gpr_idx_on s18, gpr_idx(SRC0)
	v_mov_b32_e32 v114, v27
	s_set_gpr_idx_off
	v_fmac_f32_e32 v110, v123, v115
	s_set_gpr_idx_on s19, gpr_idx(SRC0)
	v_mov_b32_e32 v115, v27
	s_set_gpr_idx_off
	;; [unrolled: 4-line block ×3, first 2 shown]
	v_fmac_f32_e32 v110, v125, v117
	s_add_u32 s8, s8, 8
	s_waitcnt lgkmcnt(0)
	v_fmac_f32_e32 v110, v126, v118
	v_add_u32_e32 v111, s8, v113
	v_fmac_f32_e32 v110, v114, v119
	s_addc_u32 s9, s9, 0
	s_add_i32 s12, s12, 32
	s_add_i32 s13, s8, -7
	v_cmp_eq_u32_e32 vcc, 13, v111
	v_fmac_f32_e32 v110, v115, v120
	v_mov_b32_e32 v111, s13
	s_or_b64 s[10:11], vcc, s[10:11]
	v_fmac_f32_e32 v110, v116, v121
	s_andn2_b64 exec, exec, s[10:11]
	s_cbranch_execnz .LBB24_281
; %bb.282:
	s_or_b64 exec, exec, s[10:11]
.LBB24_283:
	s_or_b64 exec, exec, s[0:1]
	v_and_b32_e32 v52, 7, v112
	v_cmp_ne_u32_e32 vcc, 0, v52
	s_and_saveexec_b64 s[8:9], vcc
	s_cbranch_execz .LBB24_287
; %bb.284:
	v_mov_b32_e32 v53, 0x70
	v_lshl_add_u32 v53, v111, 2, v53
	v_mov_b32_e32 v54, 0
	s_mov_b64 s[10:11], 0
.LBB24_285:                             ; =>This Inner Loop Header: Depth=1
	v_cmp_eq_u32_e32 vcc, 1, v111
	v_cndmask_b32_e32 v55, v27, v28, vcc
	v_add_u32_e32 v52, -1, v52
	v_cmp_eq_u32_e32 vcc, 2, v111
	v_cndmask_b32_e32 v55, v55, v29, vcc
	v_cmp_eq_u32_e32 vcc, 0, v52
	v_cmp_eq_u32_e64 s[0:1], 3, v111
	v_cndmask_b32_e64 v55, v55, v30, s[0:1]
	s_or_b64 s[10:11], vcc, s[10:11]
	v_cmp_eq_u32_e32 vcc, 4, v111
	v_cndmask_b32_e32 v55, v55, v31, vcc
	v_cmp_eq_u32_e32 vcc, 5, v111
	v_cndmask_b32_e32 v55, v55, v32, vcc
	;; [unrolled: 2-line block ×16, first 2 shown]
	v_cmp_eq_u32_e32 vcc, 20, v111
	ds_read_b32 v56, v53
	v_cndmask_b32_e32 v55, v55, v47, vcc
	v_cmp_eq_u32_e32 vcc, 21, v111
	v_cndmask_b32_e32 v55, v55, v48, vcc
	v_cmp_eq_u32_e32 vcc, 22, v111
	;; [unrolled: 2-line block ×4, first 2 shown]
	v_add_co_u32_e64 v111, s[0:1], 1, v111
	v_cndmask_b32_e32 v55, v55, v51, vcc
	v_add_u32_e32 v53, 4, v53
	v_addc_co_u32_e64 v54, s[0:1], 0, v54, s[0:1]
	s_waitcnt lgkmcnt(0)
	v_fmac_f32_e32 v110, v55, v56
	s_andn2_b64 exec, exec, s[10:11]
	s_cbranch_execnz .LBB24_285
; %bb.286:
	s_or_b64 exec, exec, s[10:11]
.LBB24_287:
	s_or_b64 exec, exec, s[8:9]
.LBB24_288:
	s_or_b64 exec, exec, s[6:7]
	v_mov_b32_e32 v32, 0
	ds_read_b32 v32, v32 offset:20
	s_waitcnt lgkmcnt(0)
	v_mul_f32_e32 v32, v110, v32
.LBB24_289:
	s_or_b64 exec, exec, s[4:5]
	v_cmp_lt_u32_e64 s[0:1], 4, v0
	ds_write_b32 v109, v31
	s_waitcnt lgkmcnt(0)
	; wave barrier
	s_and_saveexec_b64 s[4:5], s[0:1]
	s_cbranch_execz .LBB24_305
; %bb.290:
	s_andn2_b64 vcc, exec, s[54:55]
	s_cbranch_vccnz .LBB24_292
; %bb.291:
	v_cmp_eq_u32_e32 vcc, 1, v0
	v_cndmask_b32_e32 v110, v27, v28, vcc
	v_cmp_eq_u32_e32 vcc, 2, v0
	v_cndmask_b32_e32 v110, v110, v29, vcc
	;; [unrolled: 2-line block ×20, first 2 shown]
	v_cmp_eq_u32_e32 vcc, 21, v0
	ds_read_b32 v111, v109
	v_cndmask_b32_e32 v110, v110, v48, vcc
	v_cmp_eq_u32_e32 vcc, 22, v0
	v_cndmask_b32_e32 v110, v110, v49, vcc
	v_cmp_eq_u32_e32 vcc, 23, v0
	;; [unrolled: 2-line block ×3, first 2 shown]
	v_cndmask_b32_e32 v110, v110, v51, vcc
	s_waitcnt lgkmcnt(0)
	v_mul_f32_e32 v110, v110, v111
	s_cbranch_execz .LBB24_293
	s_branch .LBB24_294
.LBB24_292:
                                        ; implicit-def: $vgpr110
.LBB24_293:
	ds_read_b32 v110, v109
.LBB24_294:
	s_and_saveexec_b64 s[6:7], s[2:3]
	s_cbranch_execz .LBB24_304
; %bb.295:
	v_add_u32_e32 v111, -6, v0
	v_add_u32_e32 v112, -5, v0
	v_cmp_lt_u32_e32 vcc, 6, v111
	v_mov_b32_e32 v111, 5
	s_and_saveexec_b64 s[2:3], vcc
	s_cbranch_execz .LBB24_299
; %bb.296:
	v_and_b32_e32 v111, -8, v112
	v_sub_u32_e32 v113, 0, v111
	s_mov_b64 s[8:9], 12
	s_movk_i32 s12, 0x84
	s_mov_b64 s[10:11], 0
.LBB24_297:                             ; =>This Inner Loop Header: Depth=1
	s_add_i32 s13, s8, -7
	v_mov_b32_e32 v111, s12
	s_add_i32 s14, s8, -6
	s_set_gpr_idx_on s13, gpr_idx(SRC0)
	v_mov_b32_e32 v120, v27
	s_set_gpr_idx_off
	ds_read2_b32 v[114:115], v111 offset1:1
	s_add_i32 s15, s8, -5
	s_set_gpr_idx_on s14, gpr_idx(SRC0)
	v_mov_b32_e32 v121, v27
	s_set_gpr_idx_off
	s_add_i32 s16, s8, -4
	s_set_gpr_idx_on s15, gpr_idx(SRC0)
	v_mov_b32_e32 v122, v27
	s_set_gpr_idx_off
	ds_read2_b32 v[116:117], v111 offset0:2 offset1:3
	s_add_i32 s17, s8, -3
	s_set_gpr_idx_on s16, gpr_idx(SRC0)
	v_mov_b32_e32 v123, v27
	s_set_gpr_idx_off
	s_add_i32 s18, s8, -2
	s_set_gpr_idx_on s17, gpr_idx(SRC0)
	v_mov_b32_e32 v124, v27
	s_set_gpr_idx_off
	ds_read2_b32 v[118:119], v111 offset0:4 offset1:5
	s_add_i32 s19, s8, -1
	s_waitcnt lgkmcnt(2)
	v_fmac_f32_e32 v110, v120, v114
	s_set_gpr_idx_on s18, gpr_idx(SRC0)
	v_mov_b32_e32 v120, v27
	s_set_gpr_idx_off
	v_fmac_f32_e32 v110, v121, v115
	s_set_gpr_idx_on s19, gpr_idx(SRC0)
	v_mov_b32_e32 v121, v27
	s_set_gpr_idx_off
	ds_read2_b32 v[114:115], v111 offset0:6 offset1:7
	s_waitcnt lgkmcnt(2)
	v_fmac_f32_e32 v110, v122, v116
	s_set_gpr_idx_on s8, gpr_idx(SRC0)
	v_mov_b32_e32 v116, v27
	s_set_gpr_idx_off
	v_fmac_f32_e32 v110, v123, v117
	s_add_u32 s8, s8, 8
	s_waitcnt lgkmcnt(1)
	v_fmac_f32_e32 v110, v124, v118
	v_add_u32_e32 v111, s8, v113
	v_fmac_f32_e32 v110, v120, v119
	s_addc_u32 s9, s9, 0
	s_add_i32 s12, s12, 32
	s_add_i32 s13, s8, -7
	v_cmp_eq_u32_e32 vcc, 12, v111
	s_waitcnt lgkmcnt(0)
	v_fmac_f32_e32 v110, v121, v114
	v_mov_b32_e32 v111, s13
	s_or_b64 s[10:11], vcc, s[10:11]
	v_fmac_f32_e32 v110, v116, v115
	s_andn2_b64 exec, exec, s[10:11]
	s_cbranch_execnz .LBB24_297
; %bb.298:
	s_or_b64 exec, exec, s[10:11]
.LBB24_299:
	s_or_b64 exec, exec, s[2:3]
	v_and_b32_e32 v52, 7, v112
	v_cmp_ne_u32_e32 vcc, 0, v52
	s_and_saveexec_b64 s[8:9], vcc
	s_cbranch_execz .LBB24_303
; %bb.300:
	v_mov_b32_e32 v53, 0x70
	v_lshl_add_u32 v53, v111, 2, v53
	v_mov_b32_e32 v54, 0
	s_mov_b64 s[10:11], 0
.LBB24_301:                             ; =>This Inner Loop Header: Depth=1
	v_cmp_eq_u32_e32 vcc, 1, v111
	v_cndmask_b32_e32 v55, v27, v28, vcc
	v_add_u32_e32 v52, -1, v52
	v_cmp_eq_u32_e32 vcc, 2, v111
	v_cndmask_b32_e32 v55, v55, v29, vcc
	v_cmp_eq_u32_e32 vcc, 0, v52
	v_cmp_eq_u32_e64 s[2:3], 3, v111
	v_cndmask_b32_e64 v55, v55, v30, s[2:3]
	s_or_b64 s[10:11], vcc, s[10:11]
	v_cmp_eq_u32_e32 vcc, 4, v111
	v_cndmask_b32_e32 v55, v55, v31, vcc
	v_cmp_eq_u32_e32 vcc, 5, v111
	v_cndmask_b32_e32 v55, v55, v32, vcc
	;; [unrolled: 2-line block ×16, first 2 shown]
	v_cmp_eq_u32_e32 vcc, 20, v111
	ds_read_b32 v56, v53
	v_cndmask_b32_e32 v55, v55, v47, vcc
	v_cmp_eq_u32_e32 vcc, 21, v111
	v_cndmask_b32_e32 v55, v55, v48, vcc
	v_cmp_eq_u32_e32 vcc, 22, v111
	;; [unrolled: 2-line block ×4, first 2 shown]
	v_add_co_u32_e64 v111, s[2:3], 1, v111
	v_cndmask_b32_e32 v55, v55, v51, vcc
	v_add_u32_e32 v53, 4, v53
	v_addc_co_u32_e64 v54, s[2:3], 0, v54, s[2:3]
	s_waitcnt lgkmcnt(0)
	v_fmac_f32_e32 v110, v55, v56
	s_andn2_b64 exec, exec, s[10:11]
	s_cbranch_execnz .LBB24_301
; %bb.302:
	s_or_b64 exec, exec, s[10:11]
.LBB24_303:
	s_or_b64 exec, exec, s[8:9]
.LBB24_304:
	s_or_b64 exec, exec, s[6:7]
	v_mov_b32_e32 v31, 0
	ds_read_b32 v31, v31 offset:16
	s_waitcnt lgkmcnt(0)
	v_mul_f32_e32 v31, v110, v31
.LBB24_305:
	s_or_b64 exec, exec, s[4:5]
	v_cmp_lt_u32_e64 s[2:3], 3, v0
	ds_write_b32 v109, v30
	s_waitcnt lgkmcnt(0)
	; wave barrier
	s_and_saveexec_b64 s[4:5], s[2:3]
	s_cbranch_execz .LBB24_321
; %bb.306:
	s_andn2_b64 vcc, exec, s[54:55]
	s_cbranch_vccnz .LBB24_308
; %bb.307:
	v_cmp_eq_u32_e32 vcc, 1, v0
	v_cndmask_b32_e32 v110, v27, v28, vcc
	v_cmp_eq_u32_e32 vcc, 2, v0
	v_cndmask_b32_e32 v110, v110, v29, vcc
	;; [unrolled: 2-line block ×20, first 2 shown]
	v_cmp_eq_u32_e32 vcc, 21, v0
	ds_read_b32 v111, v109
	v_cndmask_b32_e32 v110, v110, v48, vcc
	v_cmp_eq_u32_e32 vcc, 22, v0
	v_cndmask_b32_e32 v110, v110, v49, vcc
	v_cmp_eq_u32_e32 vcc, 23, v0
	;; [unrolled: 2-line block ×3, first 2 shown]
	v_cndmask_b32_e32 v110, v110, v51, vcc
	s_waitcnt lgkmcnt(0)
	v_mul_f32_e32 v110, v110, v111
	s_cbranch_execz .LBB24_309
	s_branch .LBB24_310
.LBB24_308:
                                        ; implicit-def: $vgpr110
.LBB24_309:
	ds_read_b32 v110, v109
.LBB24_310:
	s_and_saveexec_b64 s[6:7], s[0:1]
	s_cbranch_execz .LBB24_320
; %bb.311:
	v_add_u32_e32 v111, -5, v0
	v_add_u32_e32 v112, -4, v0
	v_cmp_lt_u32_e32 vcc, 6, v111
	v_mov_b32_e32 v111, 4
	s_and_saveexec_b64 s[0:1], vcc
	s_cbranch_execz .LBB24_315
; %bb.312:
	v_and_b32_e32 v111, -8, v112
	v_sub_u32_e32 v113, 0, v111
	s_mov_b64 s[8:9], 5
	s_movk_i32 s12, 0x80
	s_mov_b64 s[10:11], 0
.LBB24_313:                             ; =>This Inner Loop Header: Depth=1
	s_add_i32 s13, s8, -1
	v_mov_b32_e32 v111, s12
	s_set_gpr_idx_on s13, gpr_idx(SRC0)
	v_mov_b32_e32 v122, v27
	s_set_gpr_idx_off
	s_add_i32 s14, s8, 1
	ds_read_b128 v[114:117], v111
	ds_read_b128 v[118:121], v111 offset:16
	s_set_gpr_idx_on s8, gpr_idx(SRC0)
	v_mov_b32_e32 v123, v27
	s_set_gpr_idx_off
	s_add_i32 s15, s8, 2
	s_set_gpr_idx_on s14, gpr_idx(SRC0)
	v_mov_b32_e32 v124, v27
	s_set_gpr_idx_off
	s_add_i32 s16, s8, 3
	;; [unrolled: 4-line block ×4, first 2 shown]
	s_waitcnt lgkmcnt(1)
	v_fmac_f32_e32 v110, v122, v114
	s_set_gpr_idx_on s17, gpr_idx(SRC0)
	v_mov_b32_e32 v114, v27
	s_set_gpr_idx_off
	s_add_i32 s19, s8, 6
	v_fmac_f32_e32 v110, v123, v115
	s_set_gpr_idx_on s18, gpr_idx(SRC0)
	v_mov_b32_e32 v115, v27
	s_set_gpr_idx_off
	v_fmac_f32_e32 v110, v124, v116
	s_set_gpr_idx_on s19, gpr_idx(SRC0)
	v_mov_b32_e32 v116, v27
	s_set_gpr_idx_off
	v_fmac_f32_e32 v110, v125, v117
	s_add_u32 s8, s8, 8
	s_waitcnt lgkmcnt(0)
	v_fmac_f32_e32 v110, v126, v118
	v_add_u32_e32 v111, s8, v113
	v_fmac_f32_e32 v110, v114, v119
	s_addc_u32 s9, s9, 0
	s_add_i32 s12, s12, 32
	s_add_i32 s13, s8, -1
	v_cmp_eq_u32_e32 vcc, 5, v111
	v_fmac_f32_e32 v110, v115, v120
	v_mov_b32_e32 v111, s13
	s_or_b64 s[10:11], vcc, s[10:11]
	v_fmac_f32_e32 v110, v116, v121
	s_andn2_b64 exec, exec, s[10:11]
	s_cbranch_execnz .LBB24_313
; %bb.314:
	s_or_b64 exec, exec, s[10:11]
.LBB24_315:
	s_or_b64 exec, exec, s[0:1]
	v_and_b32_e32 v52, 7, v112
	v_cmp_ne_u32_e32 vcc, 0, v52
	s_and_saveexec_b64 s[8:9], vcc
	s_cbranch_execz .LBB24_319
; %bb.316:
	v_mov_b32_e32 v53, 0x70
	v_lshl_add_u32 v53, v111, 2, v53
	v_mov_b32_e32 v54, 0
	s_mov_b64 s[10:11], 0
.LBB24_317:                             ; =>This Inner Loop Header: Depth=1
	v_cmp_eq_u32_e32 vcc, 1, v111
	v_cndmask_b32_e32 v55, v27, v28, vcc
	v_add_u32_e32 v52, -1, v52
	v_cmp_eq_u32_e32 vcc, 2, v111
	v_cndmask_b32_e32 v55, v55, v29, vcc
	v_cmp_eq_u32_e32 vcc, 0, v52
	v_cmp_eq_u32_e64 s[0:1], 3, v111
	v_cndmask_b32_e64 v55, v55, v30, s[0:1]
	s_or_b64 s[10:11], vcc, s[10:11]
	v_cmp_eq_u32_e32 vcc, 4, v111
	v_cndmask_b32_e32 v55, v55, v31, vcc
	v_cmp_eq_u32_e32 vcc, 5, v111
	v_cndmask_b32_e32 v55, v55, v32, vcc
	;; [unrolled: 2-line block ×16, first 2 shown]
	v_cmp_eq_u32_e32 vcc, 20, v111
	ds_read_b32 v56, v53
	v_cndmask_b32_e32 v55, v55, v47, vcc
	v_cmp_eq_u32_e32 vcc, 21, v111
	v_cndmask_b32_e32 v55, v55, v48, vcc
	v_cmp_eq_u32_e32 vcc, 22, v111
	;; [unrolled: 2-line block ×4, first 2 shown]
	v_add_co_u32_e64 v111, s[0:1], 1, v111
	v_cndmask_b32_e32 v55, v55, v51, vcc
	v_add_u32_e32 v53, 4, v53
	v_addc_co_u32_e64 v54, s[0:1], 0, v54, s[0:1]
	s_waitcnt lgkmcnt(0)
	v_fmac_f32_e32 v110, v55, v56
	s_andn2_b64 exec, exec, s[10:11]
	s_cbranch_execnz .LBB24_317
; %bb.318:
	s_or_b64 exec, exec, s[10:11]
.LBB24_319:
	s_or_b64 exec, exec, s[8:9]
.LBB24_320:
	s_or_b64 exec, exec, s[6:7]
	v_mov_b32_e32 v30, 0
	ds_read_b32 v30, v30 offset:12
	s_waitcnt lgkmcnt(0)
	v_mul_f32_e32 v30, v110, v30
.LBB24_321:
	s_or_b64 exec, exec, s[4:5]
	v_cmp_lt_u32_e64 s[0:1], 2, v0
	ds_write_b32 v109, v29
	s_waitcnt lgkmcnt(0)
	; wave barrier
	s_and_saveexec_b64 s[4:5], s[0:1]
	s_cbranch_execz .LBB24_337
; %bb.322:
	s_andn2_b64 vcc, exec, s[54:55]
	s_cbranch_vccnz .LBB24_324
; %bb.323:
	v_cmp_eq_u32_e32 vcc, 1, v0
	v_cndmask_b32_e32 v110, v27, v28, vcc
	v_cmp_eq_u32_e32 vcc, 2, v0
	v_cndmask_b32_e32 v110, v110, v29, vcc
	v_cmp_eq_u32_e32 vcc, 3, v0
	v_cndmask_b32_e32 v110, v110, v30, vcc
	v_cmp_eq_u32_e32 vcc, 4, v0
	v_cndmask_b32_e32 v110, v110, v31, vcc
	v_cmp_eq_u32_e32 vcc, 5, v0
	v_cndmask_b32_e32 v110, v110, v32, vcc
	v_cmp_eq_u32_e32 vcc, 6, v0
	v_cndmask_b32_e32 v110, v110, v33, vcc
	v_cmp_eq_u32_e32 vcc, 7, v0
	v_cndmask_b32_e32 v110, v110, v34, vcc
	v_cmp_eq_u32_e32 vcc, 8, v0
	v_cndmask_b32_e32 v110, v110, v35, vcc
	v_cmp_eq_u32_e32 vcc, 9, v0
	v_cndmask_b32_e32 v110, v110, v36, vcc
	v_cmp_eq_u32_e32 vcc, 10, v0
	v_cndmask_b32_e32 v110, v110, v37, vcc
	v_cmp_eq_u32_e32 vcc, 11, v0
	v_cndmask_b32_e32 v110, v110, v38, vcc
	v_cmp_eq_u32_e32 vcc, 12, v0
	v_cndmask_b32_e32 v110, v110, v39, vcc
	v_cmp_eq_u32_e32 vcc, 13, v0
	v_cndmask_b32_e32 v110, v110, v40, vcc
	v_cmp_eq_u32_e32 vcc, 14, v0
	v_cndmask_b32_e32 v110, v110, v41, vcc
	v_cmp_eq_u32_e32 vcc, 15, v0
	v_cndmask_b32_e32 v110, v110, v42, vcc
	v_cmp_eq_u32_e32 vcc, 16, v0
	v_cndmask_b32_e32 v110, v110, v43, vcc
	v_cmp_eq_u32_e32 vcc, 17, v0
	v_cndmask_b32_e32 v110, v110, v44, vcc
	v_cmp_eq_u32_e32 vcc, 18, v0
	v_cndmask_b32_e32 v110, v110, v45, vcc
	v_cmp_eq_u32_e32 vcc, 19, v0
	v_cndmask_b32_e32 v110, v110, v46, vcc
	v_cmp_eq_u32_e32 vcc, 20, v0
	v_cndmask_b32_e32 v110, v110, v47, vcc
	v_cmp_eq_u32_e32 vcc, 21, v0
	ds_read_b32 v111, v109
	v_cndmask_b32_e32 v110, v110, v48, vcc
	v_cmp_eq_u32_e32 vcc, 22, v0
	v_cndmask_b32_e32 v110, v110, v49, vcc
	v_cmp_eq_u32_e32 vcc, 23, v0
	;; [unrolled: 2-line block ×3, first 2 shown]
	v_cndmask_b32_e32 v110, v110, v51, vcc
	s_waitcnt lgkmcnt(0)
	v_mul_f32_e32 v110, v110, v111
	s_cbranch_execz .LBB24_325
	s_branch .LBB24_326
.LBB24_324:
                                        ; implicit-def: $vgpr110
.LBB24_325:
	ds_read_b32 v110, v109
.LBB24_326:
	s_and_saveexec_b64 s[6:7], s[2:3]
	s_cbranch_execz .LBB24_336
; %bb.327:
	v_add_u32_e32 v111, -4, v0
	v_add_u32_e32 v112, -3, v0
	v_cmp_lt_u32_e32 vcc, 6, v111
	v_mov_b32_e32 v111, 3
	s_and_saveexec_b64 s[2:3], vcc
	s_cbranch_execz .LBB24_331
; %bb.328:
	v_and_b32_e32 v111, -8, v112
	v_sub_u32_e32 v113, 0, v111
	s_mov_b64 s[8:9], 10
	s_movk_i32 s12, 0x7c
	s_mov_b64 s[10:11], 0
.LBB24_329:                             ; =>This Inner Loop Header: Depth=1
	s_add_i32 s13, s8, -7
	v_mov_b32_e32 v111, s12
	s_add_i32 s14, s8, -6
	s_set_gpr_idx_on s13, gpr_idx(SRC0)
	v_mov_b32_e32 v120, v27
	s_set_gpr_idx_off
	ds_read2_b32 v[114:115], v111 offset1:1
	s_add_i32 s15, s8, -5
	s_set_gpr_idx_on s14, gpr_idx(SRC0)
	v_mov_b32_e32 v121, v27
	s_set_gpr_idx_off
	s_add_i32 s16, s8, -4
	s_set_gpr_idx_on s15, gpr_idx(SRC0)
	v_mov_b32_e32 v122, v27
	s_set_gpr_idx_off
	ds_read2_b32 v[116:117], v111 offset0:2 offset1:3
	s_add_i32 s17, s8, -3
	s_set_gpr_idx_on s16, gpr_idx(SRC0)
	v_mov_b32_e32 v123, v27
	s_set_gpr_idx_off
	s_add_i32 s18, s8, -2
	s_set_gpr_idx_on s17, gpr_idx(SRC0)
	v_mov_b32_e32 v124, v27
	s_set_gpr_idx_off
	ds_read2_b32 v[118:119], v111 offset0:4 offset1:5
	s_add_i32 s19, s8, -1
	s_waitcnt lgkmcnt(2)
	v_fmac_f32_e32 v110, v120, v114
	s_set_gpr_idx_on s18, gpr_idx(SRC0)
	v_mov_b32_e32 v120, v27
	s_set_gpr_idx_off
	v_fmac_f32_e32 v110, v121, v115
	s_set_gpr_idx_on s19, gpr_idx(SRC0)
	v_mov_b32_e32 v121, v27
	s_set_gpr_idx_off
	ds_read2_b32 v[114:115], v111 offset0:6 offset1:7
	s_waitcnt lgkmcnt(2)
	v_fmac_f32_e32 v110, v122, v116
	s_set_gpr_idx_on s8, gpr_idx(SRC0)
	v_mov_b32_e32 v116, v27
	s_set_gpr_idx_off
	v_fmac_f32_e32 v110, v123, v117
	s_add_u32 s8, s8, 8
	s_waitcnt lgkmcnt(1)
	v_fmac_f32_e32 v110, v124, v118
	v_add_u32_e32 v111, s8, v113
	v_fmac_f32_e32 v110, v120, v119
	s_addc_u32 s9, s9, 0
	s_add_i32 s12, s12, 32
	s_add_i32 s13, s8, -7
	v_cmp_eq_u32_e32 vcc, 10, v111
	s_waitcnt lgkmcnt(0)
	v_fmac_f32_e32 v110, v121, v114
	v_mov_b32_e32 v111, s13
	s_or_b64 s[10:11], vcc, s[10:11]
	v_fmac_f32_e32 v110, v116, v115
	s_andn2_b64 exec, exec, s[10:11]
	s_cbranch_execnz .LBB24_329
; %bb.330:
	s_or_b64 exec, exec, s[10:11]
.LBB24_331:
	s_or_b64 exec, exec, s[2:3]
	v_and_b32_e32 v52, 7, v112
	v_cmp_ne_u32_e32 vcc, 0, v52
	s_and_saveexec_b64 s[8:9], vcc
	s_cbranch_execz .LBB24_335
; %bb.332:
	v_mov_b32_e32 v53, 0x70
	v_lshl_add_u32 v53, v111, 2, v53
	v_mov_b32_e32 v54, 0
	s_mov_b64 s[10:11], 0
.LBB24_333:                             ; =>This Inner Loop Header: Depth=1
	v_cmp_eq_u32_e32 vcc, 1, v111
	v_cndmask_b32_e32 v55, v27, v28, vcc
	v_add_u32_e32 v52, -1, v52
	v_cmp_eq_u32_e32 vcc, 2, v111
	v_cndmask_b32_e32 v55, v55, v29, vcc
	v_cmp_eq_u32_e32 vcc, 0, v52
	v_cmp_eq_u32_e64 s[2:3], 3, v111
	v_cndmask_b32_e64 v55, v55, v30, s[2:3]
	s_or_b64 s[10:11], vcc, s[10:11]
	v_cmp_eq_u32_e32 vcc, 4, v111
	v_cndmask_b32_e32 v55, v55, v31, vcc
	v_cmp_eq_u32_e32 vcc, 5, v111
	v_cndmask_b32_e32 v55, v55, v32, vcc
	v_cmp_eq_u32_e32 vcc, 6, v111
	v_cndmask_b32_e32 v55, v55, v33, vcc
	v_cmp_eq_u32_e32 vcc, 7, v111
	v_cndmask_b32_e32 v55, v55, v34, vcc
	v_cmp_eq_u32_e32 vcc, 8, v111
	v_cndmask_b32_e32 v55, v55, v35, vcc
	v_cmp_eq_u32_e32 vcc, 9, v111
	v_cndmask_b32_e32 v55, v55, v36, vcc
	v_cmp_eq_u32_e32 vcc, 10, v111
	v_cndmask_b32_e32 v55, v55, v37, vcc
	v_cmp_eq_u32_e32 vcc, 11, v111
	v_cndmask_b32_e32 v55, v55, v38, vcc
	v_cmp_eq_u32_e32 vcc, 12, v111
	v_cndmask_b32_e32 v55, v55, v39, vcc
	v_cmp_eq_u32_e32 vcc, 13, v111
	v_cndmask_b32_e32 v55, v55, v40, vcc
	v_cmp_eq_u32_e32 vcc, 14, v111
	v_cndmask_b32_e32 v55, v55, v41, vcc
	v_cmp_eq_u32_e32 vcc, 15, v111
	v_cndmask_b32_e32 v55, v55, v42, vcc
	v_cmp_eq_u32_e32 vcc, 16, v111
	v_cndmask_b32_e32 v55, v55, v43, vcc
	v_cmp_eq_u32_e32 vcc, 17, v111
	v_cndmask_b32_e32 v55, v55, v44, vcc
	v_cmp_eq_u32_e32 vcc, 18, v111
	v_cndmask_b32_e32 v55, v55, v45, vcc
	v_cmp_eq_u32_e32 vcc, 19, v111
	v_cndmask_b32_e32 v55, v55, v46, vcc
	v_cmp_eq_u32_e32 vcc, 20, v111
	ds_read_b32 v56, v53
	v_cndmask_b32_e32 v55, v55, v47, vcc
	v_cmp_eq_u32_e32 vcc, 21, v111
	v_cndmask_b32_e32 v55, v55, v48, vcc
	v_cmp_eq_u32_e32 vcc, 22, v111
	;; [unrolled: 2-line block ×4, first 2 shown]
	v_add_co_u32_e64 v111, s[2:3], 1, v111
	v_cndmask_b32_e32 v55, v55, v51, vcc
	v_add_u32_e32 v53, 4, v53
	v_addc_co_u32_e64 v54, s[2:3], 0, v54, s[2:3]
	s_waitcnt lgkmcnt(0)
	v_fmac_f32_e32 v110, v55, v56
	s_andn2_b64 exec, exec, s[10:11]
	s_cbranch_execnz .LBB24_333
; %bb.334:
	s_or_b64 exec, exec, s[10:11]
.LBB24_335:
	s_or_b64 exec, exec, s[8:9]
.LBB24_336:
	s_or_b64 exec, exec, s[6:7]
	v_mov_b32_e32 v29, 0
	ds_read_b32 v29, v29 offset:8
	s_waitcnt lgkmcnt(0)
	v_mul_f32_e32 v29, v110, v29
.LBB24_337:
	s_or_b64 exec, exec, s[4:5]
	v_cmp_lt_u32_e64 s[2:3], 1, v0
	ds_write_b32 v109, v28
	s_waitcnt lgkmcnt(0)
	; wave barrier
	s_and_saveexec_b64 s[4:5], s[2:3]
	s_cbranch_execz .LBB24_353
; %bb.338:
	s_andn2_b64 vcc, exec, s[54:55]
	s_cbranch_vccnz .LBB24_340
; %bb.339:
	v_cmp_eq_u32_e32 vcc, 1, v0
	v_cndmask_b32_e32 v110, v27, v28, vcc
	v_cmp_eq_u32_e32 vcc, 2, v0
	v_cndmask_b32_e32 v110, v110, v29, vcc
	;; [unrolled: 2-line block ×20, first 2 shown]
	v_cmp_eq_u32_e32 vcc, 21, v0
	ds_read_b32 v111, v109
	v_cndmask_b32_e32 v110, v110, v48, vcc
	v_cmp_eq_u32_e32 vcc, 22, v0
	v_cndmask_b32_e32 v110, v110, v49, vcc
	v_cmp_eq_u32_e32 vcc, 23, v0
	;; [unrolled: 2-line block ×3, first 2 shown]
	v_cndmask_b32_e32 v110, v110, v51, vcc
	s_waitcnt lgkmcnt(0)
	v_mul_f32_e32 v110, v110, v111
	s_cbranch_execz .LBB24_341
	s_branch .LBB24_342
.LBB24_340:
                                        ; implicit-def: $vgpr110
.LBB24_341:
	ds_read_b32 v110, v109
.LBB24_342:
	s_and_saveexec_b64 s[6:7], s[0:1]
	s_cbranch_execz .LBB24_352
; %bb.343:
	v_add_u32_e32 v111, -3, v0
	v_add_u32_e32 v112, -2, v0
	v_cmp_lt_u32_e32 vcc, 6, v111
	v_mov_b32_e32 v111, 2
	s_and_saveexec_b64 s[0:1], vcc
	s_cbranch_execz .LBB24_347
; %bb.344:
	v_and_b32_e32 v111, -8, v112
	v_sub_u32_e32 v113, 0, v111
	s_mov_b64 s[8:9], 9
	s_movk_i32 s12, 0x78
	s_mov_b64 s[10:11], 0
.LBB24_345:                             ; =>This Inner Loop Header: Depth=1
	s_add_i32 s13, s8, -7
	v_mov_b32_e32 v111, s12
	s_add_i32 s14, s8, -6
	s_set_gpr_idx_on s13, gpr_idx(SRC0)
	v_mov_b32_e32 v122, v27
	s_set_gpr_idx_off
	ds_read2_b64 v[114:117], v111 offset1:1
	s_add_i32 s15, s8, -5
	s_set_gpr_idx_on s14, gpr_idx(SRC0)
	v_mov_b32_e32 v123, v27
	s_set_gpr_idx_off
	s_add_i32 s16, s8, -4
	s_set_gpr_idx_on s15, gpr_idx(SRC0)
	v_mov_b32_e32 v124, v27
	s_set_gpr_idx_off
	;; [unrolled: 4-line block ×4, first 2 shown]
	ds_read2_b64 v[118:121], v111 offset0:2 offset1:3
	s_add_i32 s19, s8, -1
	s_waitcnt lgkmcnt(1)
	v_fmac_f32_e32 v110, v122, v114
	s_set_gpr_idx_on s18, gpr_idx(SRC0)
	v_mov_b32_e32 v114, v27
	s_set_gpr_idx_off
	v_fmac_f32_e32 v110, v123, v115
	s_set_gpr_idx_on s19, gpr_idx(SRC0)
	v_mov_b32_e32 v115, v27
	s_set_gpr_idx_off
	;; [unrolled: 4-line block ×3, first 2 shown]
	v_fmac_f32_e32 v110, v125, v117
	s_add_u32 s8, s8, 8
	s_waitcnt lgkmcnt(0)
	v_fmac_f32_e32 v110, v126, v118
	v_add_u32_e32 v111, s8, v113
	v_fmac_f32_e32 v110, v114, v119
	s_addc_u32 s9, s9, 0
	s_add_i32 s12, s12, 32
	s_add_i32 s13, s8, -7
	v_cmp_eq_u32_e32 vcc, 9, v111
	v_fmac_f32_e32 v110, v115, v120
	v_mov_b32_e32 v111, s13
	s_or_b64 s[10:11], vcc, s[10:11]
	v_fmac_f32_e32 v110, v116, v121
	s_andn2_b64 exec, exec, s[10:11]
	s_cbranch_execnz .LBB24_345
; %bb.346:
	s_or_b64 exec, exec, s[10:11]
.LBB24_347:
	s_or_b64 exec, exec, s[0:1]
	v_and_b32_e32 v52, 7, v112
	v_cmp_ne_u32_e32 vcc, 0, v52
	s_and_saveexec_b64 s[8:9], vcc
	s_cbranch_execz .LBB24_351
; %bb.348:
	v_mov_b32_e32 v53, 0x70
	v_lshl_add_u32 v53, v111, 2, v53
	v_mov_b32_e32 v54, 0
	s_mov_b64 s[10:11], 0
.LBB24_349:                             ; =>This Inner Loop Header: Depth=1
	v_cmp_eq_u32_e32 vcc, 1, v111
	v_cndmask_b32_e32 v55, v27, v28, vcc
	v_add_u32_e32 v52, -1, v52
	v_cmp_eq_u32_e32 vcc, 2, v111
	v_cndmask_b32_e32 v55, v55, v29, vcc
	v_cmp_eq_u32_e32 vcc, 0, v52
	v_cmp_eq_u32_e64 s[0:1], 3, v111
	v_cndmask_b32_e64 v55, v55, v30, s[0:1]
	s_or_b64 s[10:11], vcc, s[10:11]
	v_cmp_eq_u32_e32 vcc, 4, v111
	v_cndmask_b32_e32 v55, v55, v31, vcc
	v_cmp_eq_u32_e32 vcc, 5, v111
	v_cndmask_b32_e32 v55, v55, v32, vcc
	;; [unrolled: 2-line block ×16, first 2 shown]
	v_cmp_eq_u32_e32 vcc, 20, v111
	ds_read_b32 v56, v53
	v_cndmask_b32_e32 v55, v55, v47, vcc
	v_cmp_eq_u32_e32 vcc, 21, v111
	v_cndmask_b32_e32 v55, v55, v48, vcc
	v_cmp_eq_u32_e32 vcc, 22, v111
	;; [unrolled: 2-line block ×4, first 2 shown]
	v_add_co_u32_e64 v111, s[0:1], 1, v111
	v_cndmask_b32_e32 v55, v55, v51, vcc
	v_add_u32_e32 v53, 4, v53
	v_addc_co_u32_e64 v54, s[0:1], 0, v54, s[0:1]
	s_waitcnt lgkmcnt(0)
	v_fmac_f32_e32 v110, v55, v56
	s_andn2_b64 exec, exec, s[10:11]
	s_cbranch_execnz .LBB24_349
; %bb.350:
	s_or_b64 exec, exec, s[10:11]
.LBB24_351:
	s_or_b64 exec, exec, s[8:9]
.LBB24_352:
	s_or_b64 exec, exec, s[6:7]
	v_mov_b32_e32 v28, 0
	ds_read_b32 v28, v28 offset:4
	s_waitcnt lgkmcnt(0)
	v_mul_f32_e32 v28, v110, v28
.LBB24_353:
	s_or_b64 exec, exec, s[4:5]
	v_cmp_ne_u32_e32 vcc, 0, v0
	ds_write_b32 v109, v27
	s_waitcnt lgkmcnt(0)
	; wave barrier
	s_and_saveexec_b64 s[4:5], vcc
	s_cbranch_execz .LBB24_369
; %bb.354:
	s_andn2_b64 vcc, exec, s[54:55]
	s_cbranch_vccnz .LBB24_356
; %bb.355:
	v_cmp_eq_u32_e32 vcc, 1, v0
	v_cndmask_b32_e32 v110, v27, v28, vcc
	v_cmp_eq_u32_e32 vcc, 2, v0
	v_cndmask_b32_e32 v110, v110, v29, vcc
	;; [unrolled: 2-line block ×20, first 2 shown]
	v_cmp_eq_u32_e32 vcc, 21, v0
	ds_read_b32 v111, v109
	v_cndmask_b32_e32 v110, v110, v48, vcc
	v_cmp_eq_u32_e32 vcc, 22, v0
	v_cndmask_b32_e32 v110, v110, v49, vcc
	v_cmp_eq_u32_e32 vcc, 23, v0
	;; [unrolled: 2-line block ×3, first 2 shown]
	v_cndmask_b32_e32 v110, v110, v51, vcc
	s_waitcnt lgkmcnt(0)
	v_mul_f32_e32 v110, v110, v111
	s_cbranch_execz .LBB24_357
	s_branch .LBB24_358
.LBB24_356:
                                        ; implicit-def: $vgpr110
.LBB24_357:
	ds_read_b32 v110, v109
.LBB24_358:
	s_and_saveexec_b64 s[6:7], s[2:3]
	s_cbranch_execz .LBB24_368
; %bb.359:
	v_add_u32_e32 v111, -2, v0
	v_add_u32_e32 v112, -1, v0
	v_cmp_lt_u32_e32 vcc, 6, v111
	v_mov_b32_e32 v111, 1
	s_and_saveexec_b64 s[0:1], vcc
	s_cbranch_execz .LBB24_363
; %bb.360:
	v_and_b32_e32 v111, -8, v112
	v_sub_u32_e32 v113, 0, v111
	s_mov_b64 s[2:3], 8
	s_movk_i32 s10, 0x74
	s_mov_b64 s[8:9], 0
.LBB24_361:                             ; =>This Inner Loop Header: Depth=1
	s_add_i32 s11, s2, -7
	v_mov_b32_e32 v111, s10
	s_add_i32 s12, s2, -6
	s_set_gpr_idx_on s11, gpr_idx(SRC0)
	v_mov_b32_e32 v120, v27
	s_set_gpr_idx_off
	ds_read2_b32 v[114:115], v111 offset1:1
	s_add_i32 s13, s2, -5
	s_set_gpr_idx_on s12, gpr_idx(SRC0)
	v_mov_b32_e32 v121, v27
	s_set_gpr_idx_off
	s_add_i32 s14, s2, -4
	s_set_gpr_idx_on s13, gpr_idx(SRC0)
	v_mov_b32_e32 v122, v27
	s_set_gpr_idx_off
	ds_read2_b32 v[116:117], v111 offset0:2 offset1:3
	s_add_i32 s15, s2, -3
	s_set_gpr_idx_on s14, gpr_idx(SRC0)
	v_mov_b32_e32 v123, v27
	s_set_gpr_idx_off
	s_add_i32 s16, s2, -2
	s_set_gpr_idx_on s15, gpr_idx(SRC0)
	v_mov_b32_e32 v124, v27
	s_set_gpr_idx_off
	ds_read2_b32 v[118:119], v111 offset0:4 offset1:5
	s_add_i32 s17, s2, -1
	s_waitcnt lgkmcnt(2)
	v_fmac_f32_e32 v110, v120, v114
	s_set_gpr_idx_on s16, gpr_idx(SRC0)
	v_mov_b32_e32 v120, v27
	s_set_gpr_idx_off
	v_fmac_f32_e32 v110, v121, v115
	s_set_gpr_idx_on s17, gpr_idx(SRC0)
	v_mov_b32_e32 v121, v27
	s_set_gpr_idx_off
	ds_read2_b32 v[114:115], v111 offset0:6 offset1:7
	s_waitcnt lgkmcnt(2)
	v_fmac_f32_e32 v110, v122, v116
	s_set_gpr_idx_on s2, gpr_idx(SRC0)
	v_mov_b32_e32 v116, v27
	s_set_gpr_idx_off
	v_fmac_f32_e32 v110, v123, v117
	s_add_u32 s2, s2, 8
	s_waitcnt lgkmcnt(1)
	v_fmac_f32_e32 v110, v124, v118
	v_add_u32_e32 v111, s2, v113
	v_fmac_f32_e32 v110, v120, v119
	s_addc_u32 s3, s3, 0
	s_add_i32 s10, s10, 32
	s_add_i32 s11, s2, -7
	v_cmp_eq_u32_e32 vcc, 8, v111
	s_waitcnt lgkmcnt(0)
	v_fmac_f32_e32 v110, v121, v114
	v_mov_b32_e32 v111, s11
	s_or_b64 s[8:9], vcc, s[8:9]
	v_fmac_f32_e32 v110, v116, v115
	s_andn2_b64 exec, exec, s[8:9]
	s_cbranch_execnz .LBB24_361
; %bb.362:
	s_or_b64 exec, exec, s[8:9]
.LBB24_363:
	s_or_b64 exec, exec, s[0:1]
	v_and_b32_e32 v52, 7, v112
	v_cmp_ne_u32_e32 vcc, 0, v52
	s_and_saveexec_b64 s[2:3], vcc
	s_cbranch_execz .LBB24_367
; %bb.364:
	v_mov_b32_e32 v53, 0x70
	v_lshl_add_u32 v53, v111, 2, v53
	v_mov_b32_e32 v54, 0
	s_mov_b64 s[8:9], 0
.LBB24_365:                             ; =>This Inner Loop Header: Depth=1
	v_cmp_eq_u32_e32 vcc, 1, v111
	v_cndmask_b32_e32 v55, v27, v28, vcc
	v_add_u32_e32 v52, -1, v52
	v_cmp_eq_u32_e32 vcc, 2, v111
	v_cndmask_b32_e32 v55, v55, v29, vcc
	v_cmp_eq_u32_e32 vcc, 0, v52
	v_cmp_eq_u32_e64 s[0:1], 3, v111
	v_cndmask_b32_e64 v55, v55, v30, s[0:1]
	s_or_b64 s[8:9], vcc, s[8:9]
	v_cmp_eq_u32_e32 vcc, 4, v111
	v_cndmask_b32_e32 v55, v55, v31, vcc
	v_cmp_eq_u32_e32 vcc, 5, v111
	v_cndmask_b32_e32 v55, v55, v32, vcc
	;; [unrolled: 2-line block ×16, first 2 shown]
	v_cmp_eq_u32_e32 vcc, 20, v111
	ds_read_b32 v56, v53
	v_cndmask_b32_e32 v55, v55, v47, vcc
	v_cmp_eq_u32_e32 vcc, 21, v111
	v_cndmask_b32_e32 v55, v55, v48, vcc
	v_cmp_eq_u32_e32 vcc, 22, v111
	;; [unrolled: 2-line block ×4, first 2 shown]
	v_add_co_u32_e64 v111, s[0:1], 1, v111
	v_cndmask_b32_e32 v55, v55, v51, vcc
	v_add_u32_e32 v53, 4, v53
	v_addc_co_u32_e64 v54, s[0:1], 0, v54, s[0:1]
	s_waitcnt lgkmcnt(0)
	v_fmac_f32_e32 v110, v55, v56
	s_andn2_b64 exec, exec, s[8:9]
	s_cbranch_execnz .LBB24_365
; %bb.366:
	s_or_b64 exec, exec, s[8:9]
.LBB24_367:
	s_or_b64 exec, exec, s[2:3]
.LBB24_368:
	s_or_b64 exec, exec, s[6:7]
	v_mov_b32_e32 v27, 0
	ds_read_b32 v27, v27
	s_waitcnt lgkmcnt(0)
	v_mul_f32_e32 v27, v110, v27
.LBB24_369:
	s_or_b64 exec, exec, s[4:5]
	s_branch .LBB24_613
.LBB24_370:
	v_cmp_eq_u32_e64 s[2:3], 0, v0
	s_waitcnt vmcnt(23)
	ds_write_b32 v109, v3
	s_waitcnt lgkmcnt(0)
	; wave barrier
	s_and_saveexec_b64 s[0:1], s[2:3]
	s_cbranch_execz .LBB24_376
; %bb.371:
	s_and_b64 vcc, exec, s[54:55]
	s_cbranch_vccz .LBB24_373
; %bb.372:
	v_cmp_eq_u32_e32 vcc, 1, v0
	v_cndmask_b32_e32 v3, v2, v3, vcc
	v_cmp_eq_u32_e32 vcc, 2, v0
	s_waitcnt vmcnt(22)
	v_cndmask_b32_e32 v3, v3, v4, vcc
	v_cmp_eq_u32_e32 vcc, 3, v0
	s_waitcnt vmcnt(21)
	;; [unrolled: 3-line block ×19, first 2 shown]
	v_cndmask_b32_e32 v3, v3, v22, vcc
	v_cmp_eq_u32_e32 vcc, 21, v0
	ds_read_b32 v27, v109
	s_waitcnt vmcnt(3)
	v_cndmask_b32_e32 v3, v3, v23, vcc
	v_cmp_eq_u32_e32 vcc, 22, v0
	s_waitcnt vmcnt(2)
	v_cndmask_b32_e32 v3, v3, v24, vcc
	v_cmp_eq_u32_e32 vcc, 23, v0
	;; [unrolled: 3-line block ×3, first 2 shown]
	s_waitcnt vmcnt(0)
	v_cndmask_b32_e32 v3, v3, v26, vcc
	s_waitcnt lgkmcnt(0)
	v_mul_f32_e32 v3, v3, v27
	s_cbranch_execz .LBB24_374
	s_branch .LBB24_375
.LBB24_373:
                                        ; implicit-def: $vgpr3
.LBB24_374:
	ds_read_b32 v3, v109
.LBB24_375:
	v_mov_b32_e32 v27, 0
	ds_read_b32 v27, v27 offset:4
	s_waitcnt lgkmcnt(0)
	v_mul_f32_e32 v3, v3, v27
.LBB24_376:
	s_or_b64 exec, exec, s[0:1]
	v_cndmask_b32_e64 v27, 0, 1, s[54:55]
	v_cmp_gt_u32_e32 vcc, 2, v0
	v_cmp_ne_u32_e64 s[0:1], 1, v27
	s_waitcnt vmcnt(22)
	ds_write_b32 v109, v4
	s_waitcnt lgkmcnt(0)
	; wave barrier
	s_and_saveexec_b64 s[4:5], vcc
	s_cbranch_execz .LBB24_382
; %bb.377:
	s_and_b64 vcc, exec, s[0:1]
	s_cbranch_vccnz .LBB24_379
; %bb.378:
	v_cmp_eq_u32_e32 vcc, 1, v0
	v_cndmask_b32_e32 v27, v2, v3, vcc
	v_cmp_eq_u32_e32 vcc, 2, v0
	v_cndmask_b32_e32 v4, v27, v4, vcc
	v_cmp_eq_u32_e32 vcc, 3, v0
	s_waitcnt vmcnt(21)
	v_cndmask_b32_e32 v4, v4, v5, vcc
	v_cmp_eq_u32_e32 vcc, 4, v0
	s_waitcnt vmcnt(20)
	;; [unrolled: 3-line block ×18, first 2 shown]
	v_cndmask_b32_e32 v4, v4, v22, vcc
	v_cmp_eq_u32_e32 vcc, 21, v0
	ds_read_b32 v27, v109
	s_waitcnt vmcnt(3)
	v_cndmask_b32_e32 v4, v4, v23, vcc
	v_cmp_eq_u32_e32 vcc, 22, v0
	s_waitcnt vmcnt(2)
	v_cndmask_b32_e32 v4, v4, v24, vcc
	v_cmp_eq_u32_e32 vcc, 23, v0
	;; [unrolled: 3-line block ×3, first 2 shown]
	s_waitcnt vmcnt(0)
	v_cndmask_b32_e32 v4, v4, v26, vcc
	s_waitcnt lgkmcnt(0)
	v_mul_f32_e32 v4, v4, v27
	s_cbranch_execz .LBB24_380
	s_branch .LBB24_381
.LBB24_379:
                                        ; implicit-def: $vgpr4
.LBB24_380:
	ds_read_b32 v4, v109
.LBB24_381:
	v_mov_b32_e32 v27, 0
	ds_read2_b32 v[27:28], v27 offset0:2 offset1:29
	s_waitcnt lgkmcnt(0)
	v_fma_f32 v28, v3, v28, v4
	v_cndmask_b32_e64 v4, v4, v28, s[2:3]
	v_mul_f32_e32 v4, v4, v27
.LBB24_382:
	s_or_b64 exec, exec, s[4:5]
	v_add_u32_e32 v29, 1, v0
	v_cmp_gt_u32_e64 s[4:5], 3, v0
	s_waitcnt vmcnt(21)
	ds_write_b32 v109, v5
	s_waitcnt lgkmcnt(0)
	; wave barrier
	s_and_saveexec_b64 s[6:7], s[4:5]
	s_cbranch_execz .LBB24_390
; %bb.383:
	s_and_b64 vcc, exec, s[0:1]
	s_cbranch_vccnz .LBB24_385
; %bb.384:
	v_cmp_eq_u32_e32 vcc, 1, v0
	v_cndmask_b32_e32 v27, v2, v3, vcc
	v_cmp_eq_u32_e32 vcc, 2, v0
	v_cndmask_b32_e32 v27, v27, v4, vcc
	;; [unrolled: 2-line block ×3, first 2 shown]
	v_cmp_eq_u32_e32 vcc, 4, v0
	s_waitcnt vmcnt(20)
	v_cndmask_b32_e32 v27, v27, v6, vcc
	v_cmp_eq_u32_e32 vcc, 5, v0
	s_waitcnt vmcnt(19)
	v_cndmask_b32_e32 v27, v27, v7, vcc
	;; [unrolled: 3-line block ×17, first 2 shown]
	v_cmp_eq_u32_e32 vcc, 21, v0
	ds_read_b32 v28, v109
	s_waitcnt vmcnt(3)
	v_cndmask_b32_e32 v27, v27, v23, vcc
	v_cmp_eq_u32_e32 vcc, 22, v0
	s_waitcnt vmcnt(2)
	v_cndmask_b32_e32 v27, v27, v24, vcc
	v_cmp_eq_u32_e32 vcc, 23, v0
	;; [unrolled: 3-line block ×3, first 2 shown]
	s_waitcnt vmcnt(0)
	v_cndmask_b32_e32 v27, v27, v26, vcc
	s_waitcnt lgkmcnt(0)
	v_mul_f32_e32 v27, v27, v28
	s_cbranch_execz .LBB24_386
	s_branch .LBB24_387
.LBB24_385:
                                        ; implicit-def: $vgpr27
.LBB24_386:
	ds_read_b32 v27, v109
.LBB24_387:
	v_cmp_ne_u32_e32 vcc, 2, v0
	s_and_saveexec_b64 s[8:9], vcc
	s_cbranch_execz .LBB24_389
; %bb.388:
	v_cmp_eq_u32_e32 vcc, 1, v29
	v_cndmask_b32_e32 v28, v2, v3, vcc
	v_cmp_eq_u32_e32 vcc, 2, v29
	v_cndmask_b32_e32 v28, v28, v4, vcc
	;; [unrolled: 2-line block ×3, first 2 shown]
	v_cmp_eq_u32_e32 vcc, 4, v29
	s_waitcnt vmcnt(20)
	v_cndmask_b32_e32 v5, v5, v6, vcc
	v_cmp_eq_u32_e32 vcc, 5, v29
	s_waitcnt vmcnt(19)
	v_cndmask_b32_e32 v5, v5, v7, vcc
	;; [unrolled: 3-line block ×17, first 2 shown]
	v_cmp_eq_u32_e32 vcc, 21, v29
	v_mov_b32_e32 v28, 0
	s_waitcnt vmcnt(3)
	v_cndmask_b32_e32 v5, v5, v23, vcc
	v_cmp_eq_u32_e32 vcc, 22, v29
	ds_read_b32 v30, v109 offset:4
	ds_read_b32 v28, v28 offset:120
	s_waitcnt vmcnt(2)
	v_cndmask_b32_e32 v5, v5, v24, vcc
	v_cmp_eq_u32_e32 vcc, 23, v29
	s_waitcnt vmcnt(1)
	v_cndmask_b32_e32 v5, v5, v25, vcc
	v_cmp_eq_u32_e32 vcc, 24, v29
	s_waitcnt vmcnt(0)
	v_cndmask_b32_e32 v5, v5, v26, vcc
	s_waitcnt lgkmcnt(1)
	v_fmac_f32_e32 v27, v5, v30
	s_waitcnt lgkmcnt(0)
	v_fma_f32 v5, v4, v28, v27
	v_cndmask_b32_e64 v27, v27, v5, s[2:3]
.LBB24_389:
	s_or_b64 exec, exec, s[8:9]
	v_mov_b32_e32 v5, 0
	ds_read_b32 v5, v5 offset:12
	s_waitcnt lgkmcnt(0)
	v_mul_f32_e32 v5, v27, v5
.LBB24_390:
	s_or_b64 exec, exec, s[6:7]
	v_cmp_gt_u32_e32 vcc, 4, v0
	s_waitcnt vmcnt(20)
	ds_write_b32 v109, v6
	s_waitcnt lgkmcnt(0)
	; wave barrier
	s_and_saveexec_b64 s[8:9], vcc
	s_cbranch_execz .LBB24_400
; %bb.391:
	s_and_b64 vcc, exec, s[0:1]
	s_cbranch_vccnz .LBB24_393
; %bb.392:
	v_cmp_eq_u32_e32 vcc, 1, v0
	v_cndmask_b32_e32 v27, v2, v3, vcc
	v_cmp_eq_u32_e32 vcc, 2, v0
	v_cndmask_b32_e32 v27, v27, v4, vcc
	;; [unrolled: 2-line block ×4, first 2 shown]
	v_cmp_eq_u32_e32 vcc, 5, v0
	s_waitcnt vmcnt(19)
	v_cndmask_b32_e32 v27, v27, v7, vcc
	v_cmp_eq_u32_e32 vcc, 6, v0
	s_waitcnt vmcnt(18)
	v_cndmask_b32_e32 v27, v27, v8, vcc
	;; [unrolled: 3-line block ×16, first 2 shown]
	v_cmp_eq_u32_e32 vcc, 21, v0
	ds_read_b32 v28, v109
	s_waitcnt vmcnt(3)
	v_cndmask_b32_e32 v27, v27, v23, vcc
	v_cmp_eq_u32_e32 vcc, 22, v0
	s_waitcnt vmcnt(2)
	v_cndmask_b32_e32 v27, v27, v24, vcc
	v_cmp_eq_u32_e32 vcc, 23, v0
	;; [unrolled: 3-line block ×3, first 2 shown]
	s_waitcnt vmcnt(0)
	v_cndmask_b32_e32 v27, v27, v26, vcc
	s_waitcnt lgkmcnt(0)
	v_mul_f32_e32 v30, v27, v28
	s_cbranch_execz .LBB24_394
	s_branch .LBB24_395
.LBB24_393:
                                        ; implicit-def: $vgpr30
.LBB24_394:
	ds_read_b32 v30, v109
.LBB24_395:
	v_cmp_ne_u32_e32 vcc, 3, v0
	s_and_saveexec_b64 s[10:11], vcc
	s_cbranch_execz .LBB24_399
; %bb.396:
	v_mov_b32_e32 v27, 0x74
	v_lshl_add_u32 v31, v0, 2, v27
	v_mov_b32_e32 v28, v1
	s_mov_b64 s[12:13], 0
	v_mov_b32_e32 v27, v0
.LBB24_397:                             ; =>This Inner Loop Header: Depth=1
	v_add_co_u32_e32 v27, vcc, 1, v27
	v_addc_co_u32_e32 v28, vcc, 0, v28, vcc
	v_cmp_eq_u32_e32 vcc, 1, v27
	v_cndmask_b32_e32 v33, v2, v3, vcc
	v_cmp_lt_u32_e32 vcc, 2, v27
	v_cmp_eq_u32_e64 s[6:7], 2, v27
	v_cndmask_b32_e64 v33, v33, v4, s[6:7]
	s_or_b64 s[12:13], vcc, s[12:13]
	v_cmp_eq_u32_e32 vcc, 3, v27
	v_cndmask_b32_e32 v33, v33, v5, vcc
	v_cmp_eq_u32_e32 vcc, 4, v27
	v_cndmask_b32_e32 v33, v33, v6, vcc
	v_cmp_eq_u32_e32 vcc, 5, v27
	s_waitcnt vmcnt(19)
	v_cndmask_b32_e32 v33, v33, v7, vcc
	v_cmp_eq_u32_e32 vcc, 6, v27
	s_waitcnt vmcnt(18)
	;; [unrolled: 3-line block ×15, first 2 shown]
	v_cndmask_b32_e32 v33, v33, v21, vcc
	v_cmp_eq_u32_e32 vcc, 20, v27
	ds_read_b32 v32, v31
	s_waitcnt vmcnt(4)
	v_cndmask_b32_e32 v33, v33, v22, vcc
	v_cmp_eq_u32_e32 vcc, 21, v27
	s_waitcnt vmcnt(3)
	v_cndmask_b32_e32 v33, v33, v23, vcc
	v_cmp_eq_u32_e32 vcc, 22, v27
	;; [unrolled: 3-line block ×4, first 2 shown]
	s_waitcnt vmcnt(0)
	v_cndmask_b32_e32 v33, v33, v26, vcc
	v_add_u32_e32 v31, 4, v31
	s_waitcnt lgkmcnt(0)
	v_fmac_f32_e32 v30, v33, v32
	s_andn2_b64 exec, exec, s[12:13]
	s_cbranch_execnz .LBB24_397
; %bb.398:
	s_or_b64 exec, exec, s[12:13]
.LBB24_399:
	s_or_b64 exec, exec, s[10:11]
	v_mov_b32_e32 v6, 0
	ds_read_b32 v6, v6 offset:16
	s_waitcnt lgkmcnt(0)
	v_mul_f32_e32 v6, v30, v6
.LBB24_400:
	s_or_b64 exec, exec, s[8:9]
	v_cmp_gt_u32_e64 s[6:7], 5, v0
	s_waitcnt vmcnt(19)
	ds_write_b32 v109, v7
	s_waitcnt lgkmcnt(0)
	; wave barrier
	s_and_saveexec_b64 s[10:11], s[6:7]
	s_cbranch_execz .LBB24_410
; %bb.401:
	s_and_b64 vcc, exec, s[0:1]
	s_cbranch_vccnz .LBB24_403
; %bb.402:
	v_cmp_eq_u32_e32 vcc, 1, v0
	v_cndmask_b32_e32 v27, v2, v3, vcc
	v_cmp_eq_u32_e32 vcc, 2, v0
	v_cndmask_b32_e32 v27, v27, v4, vcc
	;; [unrolled: 2-line block ×5, first 2 shown]
	v_cmp_eq_u32_e32 vcc, 6, v0
	s_waitcnt vmcnt(18)
	v_cndmask_b32_e32 v27, v27, v8, vcc
	v_cmp_eq_u32_e32 vcc, 7, v0
	s_waitcnt vmcnt(17)
	v_cndmask_b32_e32 v27, v27, v9, vcc
	;; [unrolled: 3-line block ×15, first 2 shown]
	v_cmp_eq_u32_e32 vcc, 21, v0
	ds_read_b32 v28, v109
	s_waitcnt vmcnt(3)
	v_cndmask_b32_e32 v27, v27, v23, vcc
	v_cmp_eq_u32_e32 vcc, 22, v0
	s_waitcnt vmcnt(2)
	v_cndmask_b32_e32 v27, v27, v24, vcc
	v_cmp_eq_u32_e32 vcc, 23, v0
	s_waitcnt vmcnt(1)
	v_cndmask_b32_e32 v27, v27, v25, vcc
	v_cmp_eq_u32_e32 vcc, 24, v0
	s_waitcnt vmcnt(0)
	v_cndmask_b32_e32 v27, v27, v26, vcc
	s_waitcnt lgkmcnt(0)
	v_mul_f32_e32 v30, v27, v28
	s_cbranch_execz .LBB24_404
	s_branch .LBB24_405
.LBB24_403:
                                        ; implicit-def: $vgpr30
.LBB24_404:
	ds_read_b32 v30, v109
.LBB24_405:
	v_cmp_ne_u32_e32 vcc, 4, v0
	s_and_saveexec_b64 s[12:13], vcc
	s_cbranch_execz .LBB24_409
; %bb.406:
	v_mov_b32_e32 v27, 0x74
	v_lshl_add_u32 v31, v0, 2, v27
	v_mov_b32_e32 v28, v1
	s_mov_b64 s[14:15], 0
	v_mov_b32_e32 v27, v0
.LBB24_407:                             ; =>This Inner Loop Header: Depth=1
	v_add_co_u32_e32 v27, vcc, 1, v27
	v_addc_co_u32_e32 v28, vcc, 0, v28, vcc
	v_cmp_eq_u32_e32 vcc, 1, v27
	v_cndmask_b32_e32 v33, v2, v3, vcc
	v_cmp_lt_u32_e32 vcc, 3, v27
	v_cmp_eq_u32_e64 s[8:9], 2, v27
	v_cndmask_b32_e64 v33, v33, v4, s[8:9]
	s_or_b64 s[14:15], vcc, s[14:15]
	v_cmp_eq_u32_e32 vcc, 3, v27
	v_cndmask_b32_e32 v33, v33, v5, vcc
	v_cmp_eq_u32_e32 vcc, 4, v27
	v_cndmask_b32_e32 v33, v33, v6, vcc
	v_cmp_eq_u32_e32 vcc, 5, v27
	v_cndmask_b32_e32 v33, v33, v7, vcc
	v_cmp_eq_u32_e32 vcc, 6, v27
	s_waitcnt vmcnt(18)
	v_cndmask_b32_e32 v33, v33, v8, vcc
	v_cmp_eq_u32_e32 vcc, 7, v27
	s_waitcnt vmcnt(17)
	v_cndmask_b32_e32 v33, v33, v9, vcc
	;; [unrolled: 3-line block ×14, first 2 shown]
	v_cmp_eq_u32_e32 vcc, 20, v27
	ds_read_b32 v32, v31
	s_waitcnt vmcnt(4)
	v_cndmask_b32_e32 v33, v33, v22, vcc
	v_cmp_eq_u32_e32 vcc, 21, v27
	s_waitcnt vmcnt(3)
	v_cndmask_b32_e32 v33, v33, v23, vcc
	v_cmp_eq_u32_e32 vcc, 22, v27
	;; [unrolled: 3-line block ×4, first 2 shown]
	s_waitcnt vmcnt(0)
	v_cndmask_b32_e32 v33, v33, v26, vcc
	v_add_u32_e32 v31, 4, v31
	s_waitcnt lgkmcnt(0)
	v_fmac_f32_e32 v30, v33, v32
	s_andn2_b64 exec, exec, s[14:15]
	s_cbranch_execnz .LBB24_407
; %bb.408:
	s_or_b64 exec, exec, s[14:15]
.LBB24_409:
	s_or_b64 exec, exec, s[12:13]
	v_mov_b32_e32 v7, 0
	ds_read_b32 v7, v7 offset:20
	s_waitcnt lgkmcnt(0)
	v_mul_f32_e32 v7, v30, v7
.LBB24_410:
	s_or_b64 exec, exec, s[10:11]
	v_cmp_gt_u32_e32 vcc, 6, v0
	s_waitcnt vmcnt(18)
	ds_write_b32 v109, v8
	s_waitcnt lgkmcnt(0)
	; wave barrier
	s_and_saveexec_b64 s[10:11], vcc
	s_cbranch_execz .LBB24_420
; %bb.411:
	s_and_b64 vcc, exec, s[0:1]
	s_cbranch_vccnz .LBB24_413
; %bb.412:
	v_cmp_eq_u32_e32 vcc, 1, v0
	v_cndmask_b32_e32 v27, v2, v3, vcc
	v_cmp_eq_u32_e32 vcc, 2, v0
	v_cndmask_b32_e32 v27, v27, v4, vcc
	v_cmp_eq_u32_e32 vcc, 3, v0
	v_cndmask_b32_e32 v27, v27, v5, vcc
	v_cmp_eq_u32_e32 vcc, 4, v0
	v_cndmask_b32_e32 v27, v27, v6, vcc
	v_cmp_eq_u32_e32 vcc, 5, v0
	v_cndmask_b32_e32 v27, v27, v7, vcc
	v_cmp_eq_u32_e32 vcc, 6, v0
	v_cndmask_b32_e32 v27, v27, v8, vcc
	v_cmp_eq_u32_e32 vcc, 7, v0
	s_waitcnt vmcnt(17)
	v_cndmask_b32_e32 v27, v27, v9, vcc
	v_cmp_eq_u32_e32 vcc, 8, v0
	s_waitcnt vmcnt(16)
	v_cndmask_b32_e32 v27, v27, v10, vcc
	;; [unrolled: 3-line block ×14, first 2 shown]
	v_cmp_eq_u32_e32 vcc, 21, v0
	ds_read_b32 v28, v109
	s_waitcnt vmcnt(3)
	v_cndmask_b32_e32 v27, v27, v23, vcc
	v_cmp_eq_u32_e32 vcc, 22, v0
	s_waitcnt vmcnt(2)
	v_cndmask_b32_e32 v27, v27, v24, vcc
	v_cmp_eq_u32_e32 vcc, 23, v0
	;; [unrolled: 3-line block ×3, first 2 shown]
	s_waitcnt vmcnt(0)
	v_cndmask_b32_e32 v27, v27, v26, vcc
	s_waitcnt lgkmcnt(0)
	v_mul_f32_e32 v30, v27, v28
	s_cbranch_execz .LBB24_414
	s_branch .LBB24_415
.LBB24_413:
                                        ; implicit-def: $vgpr30
.LBB24_414:
	ds_read_b32 v30, v109
.LBB24_415:
	v_cmp_ne_u32_e32 vcc, 5, v0
	s_and_saveexec_b64 s[12:13], vcc
	s_cbranch_execz .LBB24_419
; %bb.416:
	v_mov_b32_e32 v27, 0x74
	v_lshl_add_u32 v31, v0, 2, v27
	v_mov_b32_e32 v28, v1
	s_mov_b64 s[14:15], 0
	v_mov_b32_e32 v27, v0
.LBB24_417:                             ; =>This Inner Loop Header: Depth=1
	v_add_co_u32_e32 v27, vcc, 1, v27
	v_addc_co_u32_e32 v28, vcc, 0, v28, vcc
	v_cmp_eq_u32_e32 vcc, 1, v27
	v_cndmask_b32_e32 v33, v2, v3, vcc
	v_cmp_lt_u32_e32 vcc, 4, v27
	v_cmp_eq_u32_e64 s[8:9], 2, v27
	v_cndmask_b32_e64 v33, v33, v4, s[8:9]
	s_or_b64 s[14:15], vcc, s[14:15]
	v_cmp_eq_u32_e32 vcc, 3, v27
	v_cndmask_b32_e32 v33, v33, v5, vcc
	v_cmp_eq_u32_e32 vcc, 4, v27
	v_cndmask_b32_e32 v33, v33, v6, vcc
	;; [unrolled: 2-line block ×4, first 2 shown]
	v_cmp_eq_u32_e32 vcc, 7, v27
	s_waitcnt vmcnt(17)
	v_cndmask_b32_e32 v33, v33, v9, vcc
	v_cmp_eq_u32_e32 vcc, 8, v27
	s_waitcnt vmcnt(16)
	v_cndmask_b32_e32 v33, v33, v10, vcc
	;; [unrolled: 3-line block ×13, first 2 shown]
	v_cmp_eq_u32_e32 vcc, 20, v27
	ds_read_b32 v32, v31
	s_waitcnt vmcnt(4)
	v_cndmask_b32_e32 v33, v33, v22, vcc
	v_cmp_eq_u32_e32 vcc, 21, v27
	s_waitcnt vmcnt(3)
	v_cndmask_b32_e32 v33, v33, v23, vcc
	v_cmp_eq_u32_e32 vcc, 22, v27
	;; [unrolled: 3-line block ×4, first 2 shown]
	s_waitcnt vmcnt(0)
	v_cndmask_b32_e32 v33, v33, v26, vcc
	v_add_u32_e32 v31, 4, v31
	s_waitcnt lgkmcnt(0)
	v_fmac_f32_e32 v30, v33, v32
	s_andn2_b64 exec, exec, s[14:15]
	s_cbranch_execnz .LBB24_417
; %bb.418:
	s_or_b64 exec, exec, s[14:15]
.LBB24_419:
	s_or_b64 exec, exec, s[12:13]
	v_mov_b32_e32 v8, 0
	ds_read_b32 v8, v8 offset:24
	s_waitcnt lgkmcnt(0)
	v_mul_f32_e32 v8, v30, v8
.LBB24_420:
	s_or_b64 exec, exec, s[10:11]
	v_cmp_gt_u32_e64 s[8:9], 7, v0
	s_waitcnt vmcnt(17)
	ds_write_b32 v109, v9
	s_waitcnt lgkmcnt(0)
	; wave barrier
	s_and_saveexec_b64 s[12:13], s[8:9]
	s_cbranch_execz .LBB24_430
; %bb.421:
	s_and_b64 vcc, exec, s[0:1]
	s_cbranch_vccnz .LBB24_423
; %bb.422:
	v_cmp_eq_u32_e32 vcc, 1, v0
	v_cndmask_b32_e32 v27, v2, v3, vcc
	v_cmp_eq_u32_e32 vcc, 2, v0
	v_cndmask_b32_e32 v27, v27, v4, vcc
	;; [unrolled: 2-line block ×7, first 2 shown]
	v_cmp_eq_u32_e32 vcc, 8, v0
	s_waitcnt vmcnt(16)
	v_cndmask_b32_e32 v27, v27, v10, vcc
	v_cmp_eq_u32_e32 vcc, 9, v0
	s_waitcnt vmcnt(15)
	v_cndmask_b32_e32 v27, v27, v11, vcc
	;; [unrolled: 3-line block ×13, first 2 shown]
	v_cmp_eq_u32_e32 vcc, 21, v0
	ds_read_b32 v28, v109
	s_waitcnt vmcnt(3)
	v_cndmask_b32_e32 v27, v27, v23, vcc
	v_cmp_eq_u32_e32 vcc, 22, v0
	s_waitcnt vmcnt(2)
	v_cndmask_b32_e32 v27, v27, v24, vcc
	v_cmp_eq_u32_e32 vcc, 23, v0
	;; [unrolled: 3-line block ×3, first 2 shown]
	s_waitcnt vmcnt(0)
	v_cndmask_b32_e32 v27, v27, v26, vcc
	s_waitcnt lgkmcnt(0)
	v_mul_f32_e32 v30, v27, v28
	s_cbranch_execz .LBB24_424
	s_branch .LBB24_425
.LBB24_423:
                                        ; implicit-def: $vgpr30
.LBB24_424:
	ds_read_b32 v30, v109
.LBB24_425:
	v_cmp_ne_u32_e32 vcc, 6, v0
	s_and_saveexec_b64 s[14:15], vcc
	s_cbranch_execz .LBB24_429
; %bb.426:
	v_mov_b32_e32 v27, 0x74
	v_lshl_add_u32 v31, v0, 2, v27
	v_mov_b32_e32 v28, v1
	s_mov_b64 s[16:17], 0
	v_mov_b32_e32 v27, v0
.LBB24_427:                             ; =>This Inner Loop Header: Depth=1
	v_add_co_u32_e32 v27, vcc, 1, v27
	v_addc_co_u32_e32 v28, vcc, 0, v28, vcc
	v_cmp_eq_u32_e32 vcc, 1, v27
	v_cndmask_b32_e32 v33, v2, v3, vcc
	v_cmp_lt_u32_e32 vcc, 5, v27
	v_cmp_eq_u32_e64 s[10:11], 2, v27
	v_cndmask_b32_e64 v33, v33, v4, s[10:11]
	s_or_b64 s[16:17], vcc, s[16:17]
	v_cmp_eq_u32_e32 vcc, 3, v27
	v_cndmask_b32_e32 v33, v33, v5, vcc
	v_cmp_eq_u32_e32 vcc, 4, v27
	v_cndmask_b32_e32 v33, v33, v6, vcc
	;; [unrolled: 2-line block ×5, first 2 shown]
	v_cmp_eq_u32_e32 vcc, 8, v27
	s_waitcnt vmcnt(16)
	v_cndmask_b32_e32 v33, v33, v10, vcc
	v_cmp_eq_u32_e32 vcc, 9, v27
	s_waitcnt vmcnt(15)
	v_cndmask_b32_e32 v33, v33, v11, vcc
	;; [unrolled: 3-line block ×12, first 2 shown]
	v_cmp_eq_u32_e32 vcc, 20, v27
	ds_read_b32 v32, v31
	s_waitcnt vmcnt(4)
	v_cndmask_b32_e32 v33, v33, v22, vcc
	v_cmp_eq_u32_e32 vcc, 21, v27
	s_waitcnt vmcnt(3)
	v_cndmask_b32_e32 v33, v33, v23, vcc
	v_cmp_eq_u32_e32 vcc, 22, v27
	;; [unrolled: 3-line block ×4, first 2 shown]
	s_waitcnt vmcnt(0)
	v_cndmask_b32_e32 v33, v33, v26, vcc
	v_add_u32_e32 v31, 4, v31
	s_waitcnt lgkmcnt(0)
	v_fmac_f32_e32 v30, v33, v32
	s_andn2_b64 exec, exec, s[16:17]
	s_cbranch_execnz .LBB24_427
; %bb.428:
	s_or_b64 exec, exec, s[16:17]
.LBB24_429:
	s_or_b64 exec, exec, s[14:15]
	v_mov_b32_e32 v9, 0
	ds_read_b32 v9, v9 offset:28
	s_waitcnt lgkmcnt(0)
	v_mul_f32_e32 v9, v30, v9
.LBB24_430:
	s_or_b64 exec, exec, s[12:13]
	v_cmp_gt_u32_e32 vcc, 8, v0
	s_waitcnt vmcnt(16)
	ds_write_b32 v109, v10
	s_waitcnt lgkmcnt(0)
	; wave barrier
	s_and_saveexec_b64 s[12:13], vcc
	s_cbranch_execz .LBB24_440
; %bb.431:
	s_and_b64 vcc, exec, s[0:1]
	s_cbranch_vccnz .LBB24_433
; %bb.432:
	v_cmp_eq_u32_e32 vcc, 1, v0
	v_cndmask_b32_e32 v27, v2, v3, vcc
	v_cmp_eq_u32_e32 vcc, 2, v0
	v_cndmask_b32_e32 v27, v27, v4, vcc
	;; [unrolled: 2-line block ×8, first 2 shown]
	v_cmp_eq_u32_e32 vcc, 9, v0
	s_waitcnt vmcnt(15)
	v_cndmask_b32_e32 v27, v27, v11, vcc
	v_cmp_eq_u32_e32 vcc, 10, v0
	s_waitcnt vmcnt(14)
	v_cndmask_b32_e32 v27, v27, v12, vcc
	;; [unrolled: 3-line block ×12, first 2 shown]
	v_cmp_eq_u32_e32 vcc, 21, v0
	ds_read_b32 v28, v109
	s_waitcnt vmcnt(3)
	v_cndmask_b32_e32 v27, v27, v23, vcc
	v_cmp_eq_u32_e32 vcc, 22, v0
	s_waitcnt vmcnt(2)
	v_cndmask_b32_e32 v27, v27, v24, vcc
	v_cmp_eq_u32_e32 vcc, 23, v0
	;; [unrolled: 3-line block ×3, first 2 shown]
	s_waitcnt vmcnt(0)
	v_cndmask_b32_e32 v27, v27, v26, vcc
	s_waitcnt lgkmcnt(0)
	v_mul_f32_e32 v30, v27, v28
	s_cbranch_execz .LBB24_434
	s_branch .LBB24_435
.LBB24_433:
                                        ; implicit-def: $vgpr30
.LBB24_434:
	ds_read_b32 v30, v109
.LBB24_435:
	v_cmp_ne_u32_e32 vcc, 7, v0
	s_and_saveexec_b64 s[14:15], vcc
	s_cbranch_execz .LBB24_439
; %bb.436:
	v_mov_b32_e32 v27, 0x74
	v_lshl_add_u32 v31, v0, 2, v27
	v_mov_b32_e32 v28, v1
	s_mov_b64 s[16:17], 0
	v_mov_b32_e32 v27, v0
.LBB24_437:                             ; =>This Inner Loop Header: Depth=1
	v_add_co_u32_e32 v27, vcc, 1, v27
	v_addc_co_u32_e32 v28, vcc, 0, v28, vcc
	v_cmp_eq_u32_e32 vcc, 1, v27
	v_cndmask_b32_e32 v33, v2, v3, vcc
	v_cmp_lt_u32_e32 vcc, 6, v27
	v_cmp_eq_u32_e64 s[10:11], 2, v27
	v_cndmask_b32_e64 v33, v33, v4, s[10:11]
	s_or_b64 s[16:17], vcc, s[16:17]
	v_cmp_eq_u32_e32 vcc, 3, v27
	v_cndmask_b32_e32 v33, v33, v5, vcc
	v_cmp_eq_u32_e32 vcc, 4, v27
	v_cndmask_b32_e32 v33, v33, v6, vcc
	;; [unrolled: 2-line block ×6, first 2 shown]
	v_cmp_eq_u32_e32 vcc, 9, v27
	s_waitcnt vmcnt(15)
	v_cndmask_b32_e32 v33, v33, v11, vcc
	v_cmp_eq_u32_e32 vcc, 10, v27
	s_waitcnt vmcnt(14)
	v_cndmask_b32_e32 v33, v33, v12, vcc
	;; [unrolled: 3-line block ×11, first 2 shown]
	v_cmp_eq_u32_e32 vcc, 20, v27
	ds_read_b32 v32, v31
	s_waitcnt vmcnt(4)
	v_cndmask_b32_e32 v33, v33, v22, vcc
	v_cmp_eq_u32_e32 vcc, 21, v27
	s_waitcnt vmcnt(3)
	v_cndmask_b32_e32 v33, v33, v23, vcc
	v_cmp_eq_u32_e32 vcc, 22, v27
	;; [unrolled: 3-line block ×4, first 2 shown]
	s_waitcnt vmcnt(0)
	v_cndmask_b32_e32 v33, v33, v26, vcc
	v_add_u32_e32 v31, 4, v31
	s_waitcnt lgkmcnt(0)
	v_fmac_f32_e32 v30, v33, v32
	s_andn2_b64 exec, exec, s[16:17]
	s_cbranch_execnz .LBB24_437
; %bb.438:
	s_or_b64 exec, exec, s[16:17]
.LBB24_439:
	s_or_b64 exec, exec, s[14:15]
	v_mov_b32_e32 v10, 0
	ds_read_b32 v10, v10 offset:32
	s_waitcnt lgkmcnt(0)
	v_mul_f32_e32 v10, v30, v10
.LBB24_440:
	s_or_b64 exec, exec, s[12:13]
	v_cmp_gt_u32_e32 vcc, 9, v0
	s_waitcnt vmcnt(15)
	ds_write_b32 v109, v11
	s_waitcnt lgkmcnt(0)
	; wave barrier
	s_and_saveexec_b64 s[10:11], vcc
	s_cbranch_execz .LBB24_462
; %bb.441:
	s_and_b64 vcc, exec, s[0:1]
	s_cbranch_vccnz .LBB24_443
; %bb.442:
	v_cmp_eq_u32_e32 vcc, 1, v0
	v_cndmask_b32_e32 v27, v2, v3, vcc
	v_cmp_eq_u32_e32 vcc, 2, v0
	v_cndmask_b32_e32 v27, v27, v4, vcc
	v_cmp_eq_u32_e32 vcc, 3, v0
	v_cndmask_b32_e32 v27, v27, v5, vcc
	v_cmp_eq_u32_e32 vcc, 4, v0
	v_cndmask_b32_e32 v27, v27, v6, vcc
	v_cmp_eq_u32_e32 vcc, 5, v0
	v_cndmask_b32_e32 v27, v27, v7, vcc
	v_cmp_eq_u32_e32 vcc, 6, v0
	v_cndmask_b32_e32 v27, v27, v8, vcc
	v_cmp_eq_u32_e32 vcc, 7, v0
	v_cndmask_b32_e32 v27, v27, v9, vcc
	v_cmp_eq_u32_e32 vcc, 8, v0
	v_cndmask_b32_e32 v27, v27, v10, vcc
	v_cmp_eq_u32_e32 vcc, 9, v0
	v_cndmask_b32_e32 v27, v27, v11, vcc
	v_cmp_eq_u32_e32 vcc, 10, v0
	s_waitcnt vmcnt(14)
	v_cndmask_b32_e32 v27, v27, v12, vcc
	v_cmp_eq_u32_e32 vcc, 11, v0
	s_waitcnt vmcnt(13)
	v_cndmask_b32_e32 v27, v27, v13, vcc
	v_cmp_eq_u32_e32 vcc, 12, v0
	s_waitcnt vmcnt(12)
	v_cndmask_b32_e32 v27, v27, v14, vcc
	v_cmp_eq_u32_e32 vcc, 13, v0
	s_waitcnt vmcnt(11)
	v_cndmask_b32_e32 v27, v27, v15, vcc
	v_cmp_eq_u32_e32 vcc, 14, v0
	s_waitcnt vmcnt(10)
	v_cndmask_b32_e32 v27, v27, v16, vcc
	v_cmp_eq_u32_e32 vcc, 15, v0
	s_waitcnt vmcnt(9)
	v_cndmask_b32_e32 v27, v27, v17, vcc
	v_cmp_eq_u32_e32 vcc, 16, v0
	s_waitcnt vmcnt(8)
	v_cndmask_b32_e32 v27, v27, v18, vcc
	v_cmp_eq_u32_e32 vcc, 17, v0
	s_waitcnt vmcnt(7)
	v_cndmask_b32_e32 v27, v27, v19, vcc
	v_cmp_eq_u32_e32 vcc, 18, v0
	s_waitcnt vmcnt(6)
	v_cndmask_b32_e32 v27, v27, v20, vcc
	v_cmp_eq_u32_e32 vcc, 19, v0
	s_waitcnt vmcnt(5)
	v_cndmask_b32_e32 v27, v27, v21, vcc
	v_cmp_eq_u32_e32 vcc, 20, v0
	s_waitcnt vmcnt(4)
	v_cndmask_b32_e32 v27, v27, v22, vcc
	v_cmp_eq_u32_e32 vcc, 21, v0
	ds_read_b32 v28, v109
	s_waitcnt vmcnt(3)
	v_cndmask_b32_e32 v27, v27, v23, vcc
	v_cmp_eq_u32_e32 vcc, 22, v0
	s_waitcnt vmcnt(2)
	v_cndmask_b32_e32 v27, v27, v24, vcc
	v_cmp_eq_u32_e32 vcc, 23, v0
	;; [unrolled: 3-line block ×3, first 2 shown]
	s_waitcnt vmcnt(0)
	v_cndmask_b32_e32 v27, v27, v26, vcc
	s_waitcnt lgkmcnt(0)
	v_mul_f32_e32 v27, v27, v28
	s_cbranch_execz .LBB24_444
	s_branch .LBB24_445
.LBB24_443:
                                        ; implicit-def: $vgpr27
.LBB24_444:
	ds_read_b32 v27, v109
.LBB24_445:
	v_cmp_ne_u32_e32 vcc, 8, v0
	s_and_saveexec_b64 s[12:13], vcc
	s_cbranch_execz .LBB24_461
; %bb.446:
	v_cmp_eq_u32_e32 vcc, 1, v29
	v_cndmask_b32_e32 v28, v2, v3, vcc
	v_cmp_eq_u32_e32 vcc, 2, v29
	v_cndmask_b32_e32 v28, v28, v4, vcc
	;; [unrolled: 2-line block ×9, first 2 shown]
	v_cmp_eq_u32_e32 vcc, 10, v29
	s_waitcnt vmcnt(14)
	v_cndmask_b32_e32 v28, v28, v12, vcc
	v_cmp_eq_u32_e32 vcc, 11, v29
	s_waitcnt vmcnt(13)
	v_cndmask_b32_e32 v28, v28, v13, vcc
	v_cmp_eq_u32_e32 vcc, 12, v29
	s_waitcnt vmcnt(12)
	v_cndmask_b32_e32 v28, v28, v14, vcc
	v_cmp_eq_u32_e32 vcc, 13, v29
	s_waitcnt vmcnt(11)
	v_cndmask_b32_e32 v28, v28, v15, vcc
	v_cmp_eq_u32_e32 vcc, 14, v29
	s_waitcnt vmcnt(10)
	v_cndmask_b32_e32 v28, v28, v16, vcc
	v_cmp_eq_u32_e32 vcc, 15, v29
	s_waitcnt vmcnt(9)
	v_cndmask_b32_e32 v28, v28, v17, vcc
	v_cmp_eq_u32_e32 vcc, 16, v29
	s_waitcnt vmcnt(8)
	v_cndmask_b32_e32 v28, v28, v18, vcc
	v_cmp_eq_u32_e32 vcc, 17, v29
	s_waitcnt vmcnt(7)
	v_cndmask_b32_e32 v28, v28, v19, vcc
	v_cmp_eq_u32_e32 vcc, 18, v29
	s_waitcnt vmcnt(6)
	v_cndmask_b32_e32 v28, v28, v20, vcc
	v_cmp_eq_u32_e32 vcc, 19, v29
	s_waitcnt vmcnt(5)
	v_cndmask_b32_e32 v28, v28, v21, vcc
	v_cmp_eq_u32_e32 vcc, 20, v29
	s_waitcnt vmcnt(4)
	v_cndmask_b32_e32 v28, v28, v22, vcc
	v_cmp_eq_u32_e32 vcc, 21, v29
	ds_read_b32 v30, v109 offset:4
	s_waitcnt vmcnt(3)
	v_cndmask_b32_e32 v28, v28, v23, vcc
	v_cmp_eq_u32_e32 vcc, 22, v29
	s_waitcnt vmcnt(2)
	v_cndmask_b32_e32 v28, v28, v24, vcc
	v_cmp_eq_u32_e32 vcc, 23, v29
	;; [unrolled: 3-line block ×3, first 2 shown]
	s_waitcnt vmcnt(0)
	v_cndmask_b32_e32 v28, v28, v26, vcc
	s_waitcnt lgkmcnt(0)
	v_fmac_f32_e32 v27, v28, v30
	s_and_saveexec_b64 s[14:15], s[8:9]
	s_cbranch_execz .LBB24_460
; %bb.447:
	v_add_u32_e32 v28, 2, v0
	v_cmp_eq_u32_e32 vcc, 1, v28
	v_cndmask_b32_e32 v29, v2, v3, vcc
	v_cmp_eq_u32_e32 vcc, 2, v28
	v_cndmask_b32_e32 v29, v29, v4, vcc
	;; [unrolled: 2-line block ×20, first 2 shown]
	v_cmp_eq_u32_e32 vcc, 21, v28
	ds_read_b32 v30, v109 offset:8
	v_cndmask_b32_e32 v29, v29, v23, vcc
	v_cmp_eq_u32_e32 vcc, 22, v28
	v_cndmask_b32_e32 v29, v29, v24, vcc
	v_cmp_eq_u32_e32 vcc, 23, v28
	;; [unrolled: 2-line block ×3, first 2 shown]
	v_cndmask_b32_e32 v28, v29, v26, vcc
	s_waitcnt lgkmcnt(0)
	v_fmac_f32_e32 v27, v28, v30
	v_cmp_ne_u32_e32 vcc, 6, v0
	s_and_saveexec_b64 s[8:9], vcc
	s_cbranch_execz .LBB24_459
; %bb.448:
	v_add_u32_e32 v28, 3, v0
	v_cmp_eq_u32_e32 vcc, 1, v28
	v_cndmask_b32_e32 v29, v2, v3, vcc
	v_cmp_eq_u32_e32 vcc, 2, v28
	v_cndmask_b32_e32 v29, v29, v4, vcc
	v_cmp_eq_u32_e32 vcc, 3, v28
	v_cndmask_b32_e32 v29, v29, v5, vcc
	v_cmp_eq_u32_e32 vcc, 4, v28
	v_cndmask_b32_e32 v29, v29, v6, vcc
	v_cmp_eq_u32_e32 vcc, 5, v28
	v_cndmask_b32_e32 v29, v29, v7, vcc
	v_cmp_eq_u32_e32 vcc, 6, v28
	v_cndmask_b32_e32 v29, v29, v8, vcc
	v_cmp_eq_u32_e32 vcc, 7, v28
	v_cndmask_b32_e32 v29, v29, v9, vcc
	v_cmp_eq_u32_e32 vcc, 8, v28
	v_cndmask_b32_e32 v29, v29, v10, vcc
	v_cmp_eq_u32_e32 vcc, 9, v28
	v_cndmask_b32_e32 v29, v29, v11, vcc
	v_cmp_eq_u32_e32 vcc, 10, v28
	v_cndmask_b32_e32 v29, v29, v12, vcc
	v_cmp_eq_u32_e32 vcc, 11, v28
	v_cndmask_b32_e32 v29, v29, v13, vcc
	v_cmp_eq_u32_e32 vcc, 12, v28
	v_cndmask_b32_e32 v29, v29, v14, vcc
	v_cmp_eq_u32_e32 vcc, 13, v28
	v_cndmask_b32_e32 v29, v29, v15, vcc
	v_cmp_eq_u32_e32 vcc, 14, v28
	v_cndmask_b32_e32 v29, v29, v16, vcc
	v_cmp_eq_u32_e32 vcc, 15, v28
	v_cndmask_b32_e32 v29, v29, v17, vcc
	v_cmp_eq_u32_e32 vcc, 16, v28
	v_cndmask_b32_e32 v29, v29, v18, vcc
	v_cmp_eq_u32_e32 vcc, 17, v28
	v_cndmask_b32_e32 v29, v29, v19, vcc
	v_cmp_eq_u32_e32 vcc, 18, v28
	v_cndmask_b32_e32 v29, v29, v20, vcc
	v_cmp_eq_u32_e32 vcc, 19, v28
	v_cndmask_b32_e32 v29, v29, v21, vcc
	v_cmp_eq_u32_e32 vcc, 20, v28
	v_cndmask_b32_e32 v29, v29, v22, vcc
	v_cmp_eq_u32_e32 vcc, 21, v28
	ds_read_b32 v30, v109 offset:12
	v_cndmask_b32_e32 v29, v29, v23, vcc
	v_cmp_eq_u32_e32 vcc, 22, v28
	v_cndmask_b32_e32 v29, v29, v24, vcc
	v_cmp_eq_u32_e32 vcc, 23, v28
	;; [unrolled: 2-line block ×3, first 2 shown]
	v_cndmask_b32_e32 v28, v29, v26, vcc
	s_waitcnt lgkmcnt(0)
	v_fmac_f32_e32 v27, v28, v30
	s_and_saveexec_b64 s[16:17], s[6:7]
	s_cbranch_execz .LBB24_458
; %bb.449:
	v_add_u32_e32 v28, 4, v0
	v_cmp_eq_u32_e32 vcc, 1, v28
	v_cndmask_b32_e32 v29, v2, v3, vcc
	v_cmp_eq_u32_e32 vcc, 2, v28
	v_cndmask_b32_e32 v29, v29, v4, vcc
	;; [unrolled: 2-line block ×20, first 2 shown]
	v_cmp_eq_u32_e32 vcc, 21, v28
	ds_read_b32 v30, v109 offset:16
	v_cndmask_b32_e32 v29, v29, v23, vcc
	v_cmp_eq_u32_e32 vcc, 22, v28
	v_cndmask_b32_e32 v29, v29, v24, vcc
	v_cmp_eq_u32_e32 vcc, 23, v28
	;; [unrolled: 2-line block ×3, first 2 shown]
	v_cndmask_b32_e32 v28, v29, v26, vcc
	s_waitcnt lgkmcnt(0)
	v_fmac_f32_e32 v27, v28, v30
	v_cmp_ne_u32_e32 vcc, 4, v0
	s_and_saveexec_b64 s[6:7], vcc
	s_cbranch_execz .LBB24_457
; %bb.450:
	v_add_u32_e32 v28, 5, v0
	v_cmp_eq_u32_e32 vcc, 1, v28
	v_cndmask_b32_e32 v29, v2, v3, vcc
	v_cmp_eq_u32_e32 vcc, 2, v28
	v_cndmask_b32_e32 v29, v29, v4, vcc
	;; [unrolled: 2-line block ×20, first 2 shown]
	v_cmp_eq_u32_e32 vcc, 21, v28
	ds_read_b32 v30, v109 offset:20
	v_cndmask_b32_e32 v29, v29, v23, vcc
	v_cmp_eq_u32_e32 vcc, 22, v28
	v_cndmask_b32_e32 v29, v29, v24, vcc
	v_cmp_eq_u32_e32 vcc, 23, v28
	;; [unrolled: 2-line block ×3, first 2 shown]
	v_cndmask_b32_e32 v28, v29, v26, vcc
	s_waitcnt lgkmcnt(0)
	v_fmac_f32_e32 v27, v28, v30
	s_and_saveexec_b64 s[18:19], s[4:5]
	s_cbranch_execz .LBB24_456
; %bb.451:
	v_add_u32_e32 v28, 6, v0
	v_cmp_eq_u32_e32 vcc, 1, v28
	v_cndmask_b32_e32 v29, v2, v3, vcc
	v_cmp_eq_u32_e32 vcc, 2, v28
	v_cndmask_b32_e32 v29, v29, v4, vcc
	v_cmp_eq_u32_e32 vcc, 3, v28
	v_cndmask_b32_e32 v29, v29, v5, vcc
	v_cmp_eq_u32_e32 vcc, 4, v28
	v_cndmask_b32_e32 v29, v29, v6, vcc
	v_cmp_eq_u32_e32 vcc, 5, v28
	v_cndmask_b32_e32 v29, v29, v7, vcc
	v_cmp_eq_u32_e32 vcc, 6, v28
	v_cndmask_b32_e32 v29, v29, v8, vcc
	v_cmp_eq_u32_e32 vcc, 7, v28
	v_cndmask_b32_e32 v29, v29, v9, vcc
	v_cmp_eq_u32_e32 vcc, 8, v28
	v_cndmask_b32_e32 v29, v29, v10, vcc
	v_cmp_eq_u32_e32 vcc, 9, v28
	v_cndmask_b32_e32 v29, v29, v11, vcc
	v_cmp_eq_u32_e32 vcc, 10, v28
	v_cndmask_b32_e32 v29, v29, v12, vcc
	v_cmp_eq_u32_e32 vcc, 11, v28
	v_cndmask_b32_e32 v29, v29, v13, vcc
	v_cmp_eq_u32_e32 vcc, 12, v28
	v_cndmask_b32_e32 v29, v29, v14, vcc
	v_cmp_eq_u32_e32 vcc, 13, v28
	v_cndmask_b32_e32 v29, v29, v15, vcc
	v_cmp_eq_u32_e32 vcc, 14, v28
	v_cndmask_b32_e32 v29, v29, v16, vcc
	v_cmp_eq_u32_e32 vcc, 15, v28
	v_cndmask_b32_e32 v29, v29, v17, vcc
	v_cmp_eq_u32_e32 vcc, 16, v28
	v_cndmask_b32_e32 v29, v29, v18, vcc
	v_cmp_eq_u32_e32 vcc, 17, v28
	v_cndmask_b32_e32 v29, v29, v19, vcc
	v_cmp_eq_u32_e32 vcc, 18, v28
	v_cndmask_b32_e32 v29, v29, v20, vcc
	v_cmp_eq_u32_e32 vcc, 19, v28
	v_cndmask_b32_e32 v29, v29, v21, vcc
	v_cmp_eq_u32_e32 vcc, 20, v28
	v_cndmask_b32_e32 v29, v29, v22, vcc
	v_cmp_eq_u32_e32 vcc, 21, v28
	ds_read_b32 v30, v109 offset:24
	v_cndmask_b32_e32 v29, v29, v23, vcc
	v_cmp_eq_u32_e32 vcc, 22, v28
	v_cndmask_b32_e32 v29, v29, v24, vcc
	v_cmp_eq_u32_e32 vcc, 23, v28
	;; [unrolled: 2-line block ×3, first 2 shown]
	v_cndmask_b32_e32 v28, v29, v26, vcc
	s_waitcnt lgkmcnt(0)
	v_fmac_f32_e32 v27, v28, v30
	v_cmp_ne_u32_e32 vcc, 2, v0
	s_and_saveexec_b64 s[4:5], vcc
	s_cbranch_execz .LBB24_455
; %bb.452:
	v_add_u32_e32 v28, 7, v0
	v_cmp_eq_u32_e32 vcc, 1, v28
	v_cndmask_b32_e32 v29, v2, v3, vcc
	v_cmp_eq_u32_e32 vcc, 2, v28
	v_cndmask_b32_e32 v29, v29, v4, vcc
	;; [unrolled: 2-line block ×20, first 2 shown]
	v_cmp_eq_u32_e32 vcc, 21, v28
	ds_read_b32 v29, v109 offset:28
	v_cndmask_b32_e32 v11, v11, v23, vcc
	v_cmp_eq_u32_e32 vcc, 22, v28
	v_cndmask_b32_e32 v11, v11, v24, vcc
	v_cmp_eq_u32_e32 vcc, 23, v28
	;; [unrolled: 2-line block ×3, first 2 shown]
	v_cndmask_b32_e32 v11, v11, v26, vcc
	s_waitcnt lgkmcnt(0)
	v_fmac_f32_e32 v27, v11, v29
	s_and_saveexec_b64 s[20:21], s[2:3]
	s_cbranch_execz .LBB24_454
; %bb.453:
	ds_read_b32 v11, v109 offset:32
	s_waitcnt lgkmcnt(0)
	v_fmac_f32_e32 v27, v10, v11
.LBB24_454:
	s_or_b64 exec, exec, s[20:21]
.LBB24_455:
	s_or_b64 exec, exec, s[4:5]
.LBB24_456:
	s_or_b64 exec, exec, s[18:19]
.LBB24_457:
	s_or_b64 exec, exec, s[6:7]
.LBB24_458:
	s_or_b64 exec, exec, s[16:17]
.LBB24_459:
	s_or_b64 exec, exec, s[8:9]
.LBB24_460:
	s_or_b64 exec, exec, s[14:15]
.LBB24_461:
	s_or_b64 exec, exec, s[12:13]
	v_mov_b32_e32 v11, 0
	ds_read_b32 v11, v11 offset:36
	s_waitcnt lgkmcnt(0)
	v_mul_f32_e32 v11, v27, v11
.LBB24_462:
	s_or_b64 exec, exec, s[10:11]
	v_cmp_gt_u32_e32 vcc, 10, v0
	s_waitcnt vmcnt(14)
	ds_write_b32 v109, v12
	s_waitcnt lgkmcnt(0)
	; wave barrier
	s_and_saveexec_b64 s[4:5], vcc
	s_cbranch_execz .LBB24_472
; %bb.463:
	s_and_b64 vcc, exec, s[0:1]
	s_cbranch_vccnz .LBB24_465
; %bb.464:
	v_cmp_eq_u32_e32 vcc, 1, v0
	v_cndmask_b32_e32 v27, v2, v3, vcc
	v_cmp_eq_u32_e32 vcc, 2, v0
	v_cndmask_b32_e32 v27, v27, v4, vcc
	;; [unrolled: 2-line block ×10, first 2 shown]
	v_cmp_eq_u32_e32 vcc, 11, v0
	s_waitcnt vmcnt(13)
	v_cndmask_b32_e32 v27, v27, v13, vcc
	v_cmp_eq_u32_e32 vcc, 12, v0
	s_waitcnt vmcnt(12)
	v_cndmask_b32_e32 v27, v27, v14, vcc
	;; [unrolled: 3-line block ×10, first 2 shown]
	v_cmp_eq_u32_e32 vcc, 21, v0
	ds_read_b32 v28, v109
	s_waitcnt vmcnt(3)
	v_cndmask_b32_e32 v27, v27, v23, vcc
	v_cmp_eq_u32_e32 vcc, 22, v0
	s_waitcnt vmcnt(2)
	v_cndmask_b32_e32 v27, v27, v24, vcc
	v_cmp_eq_u32_e32 vcc, 23, v0
	;; [unrolled: 3-line block ×3, first 2 shown]
	s_waitcnt vmcnt(0)
	v_cndmask_b32_e32 v27, v27, v26, vcc
	s_waitcnt lgkmcnt(0)
	v_mul_f32_e32 v29, v27, v28
	s_cbranch_execz .LBB24_466
	s_branch .LBB24_467
.LBB24_465:
                                        ; implicit-def: $vgpr29
.LBB24_466:
	ds_read_b32 v29, v109
.LBB24_467:
	v_cmp_ne_u32_e32 vcc, 9, v0
	s_and_saveexec_b64 s[6:7], vcc
	s_cbranch_execz .LBB24_471
; %bb.468:
	v_mov_b32_e32 v27, 0x74
	v_lshl_add_u32 v30, v0, 2, v27
	v_mov_b32_e32 v28, v1
	s_mov_b64 s[8:9], 0
	v_mov_b32_e32 v27, v0
.LBB24_469:                             ; =>This Inner Loop Header: Depth=1
	v_add_co_u32_e32 v27, vcc, 1, v27
	v_addc_co_u32_e32 v28, vcc, 0, v28, vcc
	v_cmp_eq_u32_e32 vcc, 1, v27
	v_cndmask_b32_e32 v32, v2, v3, vcc
	v_cmp_lt_u32_e32 vcc, 8, v27
	v_cmp_eq_u32_e64 s[2:3], 2, v27
	v_cndmask_b32_e64 v32, v32, v4, s[2:3]
	s_or_b64 s[8:9], vcc, s[8:9]
	v_cmp_eq_u32_e32 vcc, 3, v27
	v_cndmask_b32_e32 v32, v32, v5, vcc
	v_cmp_eq_u32_e32 vcc, 4, v27
	v_cndmask_b32_e32 v32, v32, v6, vcc
	;; [unrolled: 2-line block ×8, first 2 shown]
	v_cmp_eq_u32_e32 vcc, 11, v27
	s_waitcnt vmcnt(13)
	v_cndmask_b32_e32 v32, v32, v13, vcc
	v_cmp_eq_u32_e32 vcc, 12, v27
	s_waitcnt vmcnt(12)
	v_cndmask_b32_e32 v32, v32, v14, vcc
	;; [unrolled: 3-line block ×9, first 2 shown]
	v_cmp_eq_u32_e32 vcc, 20, v27
	ds_read_b32 v31, v30
	s_waitcnt vmcnt(4)
	v_cndmask_b32_e32 v32, v32, v22, vcc
	v_cmp_eq_u32_e32 vcc, 21, v27
	s_waitcnt vmcnt(3)
	v_cndmask_b32_e32 v32, v32, v23, vcc
	v_cmp_eq_u32_e32 vcc, 22, v27
	s_waitcnt vmcnt(2)
	v_cndmask_b32_e32 v32, v32, v24, vcc
	v_cmp_eq_u32_e32 vcc, 23, v27
	s_waitcnt vmcnt(1)
	v_cndmask_b32_e32 v32, v32, v25, vcc
	v_cmp_eq_u32_e32 vcc, 24, v27
	s_waitcnt vmcnt(0)
	v_cndmask_b32_e32 v32, v32, v26, vcc
	v_add_u32_e32 v30, 4, v30
	s_waitcnt lgkmcnt(0)
	v_fmac_f32_e32 v29, v32, v31
	s_andn2_b64 exec, exec, s[8:9]
	s_cbranch_execnz .LBB24_469
; %bb.470:
	s_or_b64 exec, exec, s[8:9]
.LBB24_471:
	s_or_b64 exec, exec, s[6:7]
	v_mov_b32_e32 v12, 0
	ds_read_b32 v12, v12 offset:40
	s_waitcnt lgkmcnt(0)
	v_mul_f32_e32 v12, v29, v12
.LBB24_472:
	s_or_b64 exec, exec, s[4:5]
	v_cmp_gt_u32_e32 vcc, 11, v0
	s_waitcnt vmcnt(13)
	ds_write_b32 v109, v13
	s_waitcnt lgkmcnt(0)
	; wave barrier
	s_and_saveexec_b64 s[4:5], vcc
	s_cbranch_execz .LBB24_482
; %bb.473:
	s_and_b64 vcc, exec, s[0:1]
	s_cbranch_vccnz .LBB24_475
; %bb.474:
	v_cmp_eq_u32_e32 vcc, 1, v0
	v_cndmask_b32_e32 v27, v2, v3, vcc
	v_cmp_eq_u32_e32 vcc, 2, v0
	v_cndmask_b32_e32 v27, v27, v4, vcc
	;; [unrolled: 2-line block ×11, first 2 shown]
	v_cmp_eq_u32_e32 vcc, 12, v0
	s_waitcnt vmcnt(12)
	v_cndmask_b32_e32 v27, v27, v14, vcc
	v_cmp_eq_u32_e32 vcc, 13, v0
	s_waitcnt vmcnt(11)
	v_cndmask_b32_e32 v27, v27, v15, vcc
	;; [unrolled: 3-line block ×9, first 2 shown]
	v_cmp_eq_u32_e32 vcc, 21, v0
	ds_read_b32 v28, v109
	s_waitcnt vmcnt(3)
	v_cndmask_b32_e32 v27, v27, v23, vcc
	v_cmp_eq_u32_e32 vcc, 22, v0
	s_waitcnt vmcnt(2)
	v_cndmask_b32_e32 v27, v27, v24, vcc
	v_cmp_eq_u32_e32 vcc, 23, v0
	;; [unrolled: 3-line block ×3, first 2 shown]
	s_waitcnt vmcnt(0)
	v_cndmask_b32_e32 v27, v27, v26, vcc
	s_waitcnt lgkmcnt(0)
	v_mul_f32_e32 v29, v27, v28
	s_cbranch_execz .LBB24_476
	s_branch .LBB24_477
.LBB24_475:
                                        ; implicit-def: $vgpr29
.LBB24_476:
	ds_read_b32 v29, v109
.LBB24_477:
	v_cmp_ne_u32_e32 vcc, 10, v0
	s_and_saveexec_b64 s[6:7], vcc
	s_cbranch_execz .LBB24_481
; %bb.478:
	v_mov_b32_e32 v27, 0x74
	v_lshl_add_u32 v30, v0, 2, v27
	v_mov_b32_e32 v28, v1
	s_mov_b64 s[8:9], 0
	v_mov_b32_e32 v27, v0
.LBB24_479:                             ; =>This Inner Loop Header: Depth=1
	v_add_co_u32_e32 v27, vcc, 1, v27
	v_addc_co_u32_e32 v28, vcc, 0, v28, vcc
	v_cmp_eq_u32_e32 vcc, 1, v27
	v_cndmask_b32_e32 v32, v2, v3, vcc
	v_cmp_lt_u32_e32 vcc, 9, v27
	v_cmp_eq_u32_e64 s[2:3], 2, v27
	v_cndmask_b32_e64 v32, v32, v4, s[2:3]
	s_or_b64 s[8:9], vcc, s[8:9]
	v_cmp_eq_u32_e32 vcc, 3, v27
	v_cndmask_b32_e32 v32, v32, v5, vcc
	v_cmp_eq_u32_e32 vcc, 4, v27
	v_cndmask_b32_e32 v32, v32, v6, vcc
	;; [unrolled: 2-line block ×9, first 2 shown]
	v_cmp_eq_u32_e32 vcc, 12, v27
	s_waitcnt vmcnt(12)
	v_cndmask_b32_e32 v32, v32, v14, vcc
	v_cmp_eq_u32_e32 vcc, 13, v27
	s_waitcnt vmcnt(11)
	v_cndmask_b32_e32 v32, v32, v15, vcc
	;; [unrolled: 3-line block ×8, first 2 shown]
	v_cmp_eq_u32_e32 vcc, 20, v27
	ds_read_b32 v31, v30
	s_waitcnt vmcnt(4)
	v_cndmask_b32_e32 v32, v32, v22, vcc
	v_cmp_eq_u32_e32 vcc, 21, v27
	s_waitcnt vmcnt(3)
	v_cndmask_b32_e32 v32, v32, v23, vcc
	v_cmp_eq_u32_e32 vcc, 22, v27
	s_waitcnt vmcnt(2)
	v_cndmask_b32_e32 v32, v32, v24, vcc
	v_cmp_eq_u32_e32 vcc, 23, v27
	s_waitcnt vmcnt(1)
	v_cndmask_b32_e32 v32, v32, v25, vcc
	v_cmp_eq_u32_e32 vcc, 24, v27
	s_waitcnt vmcnt(0)
	v_cndmask_b32_e32 v32, v32, v26, vcc
	v_add_u32_e32 v30, 4, v30
	s_waitcnt lgkmcnt(0)
	v_fmac_f32_e32 v29, v32, v31
	s_andn2_b64 exec, exec, s[8:9]
	s_cbranch_execnz .LBB24_479
; %bb.480:
	s_or_b64 exec, exec, s[8:9]
.LBB24_481:
	s_or_b64 exec, exec, s[6:7]
	v_mov_b32_e32 v13, 0
	ds_read_b32 v13, v13 offset:44
	s_waitcnt lgkmcnt(0)
	v_mul_f32_e32 v13, v29, v13
.LBB24_482:
	s_or_b64 exec, exec, s[4:5]
	v_cmp_gt_u32_e32 vcc, 12, v0
	s_waitcnt vmcnt(12)
	ds_write_b32 v109, v14
	s_waitcnt lgkmcnt(0)
	; wave barrier
	s_and_saveexec_b64 s[4:5], vcc
	s_cbranch_execz .LBB24_492
; %bb.483:
	s_and_b64 vcc, exec, s[0:1]
	s_cbranch_vccnz .LBB24_485
; %bb.484:
	v_cmp_eq_u32_e32 vcc, 1, v0
	v_cndmask_b32_e32 v27, v2, v3, vcc
	v_cmp_eq_u32_e32 vcc, 2, v0
	v_cndmask_b32_e32 v27, v27, v4, vcc
	;; [unrolled: 2-line block ×12, first 2 shown]
	v_cmp_eq_u32_e32 vcc, 13, v0
	s_waitcnt vmcnt(11)
	v_cndmask_b32_e32 v27, v27, v15, vcc
	v_cmp_eq_u32_e32 vcc, 14, v0
	s_waitcnt vmcnt(10)
	v_cndmask_b32_e32 v27, v27, v16, vcc
	;; [unrolled: 3-line block ×8, first 2 shown]
	v_cmp_eq_u32_e32 vcc, 21, v0
	ds_read_b32 v28, v109
	s_waitcnt vmcnt(3)
	v_cndmask_b32_e32 v27, v27, v23, vcc
	v_cmp_eq_u32_e32 vcc, 22, v0
	s_waitcnt vmcnt(2)
	v_cndmask_b32_e32 v27, v27, v24, vcc
	v_cmp_eq_u32_e32 vcc, 23, v0
	;; [unrolled: 3-line block ×3, first 2 shown]
	s_waitcnt vmcnt(0)
	v_cndmask_b32_e32 v27, v27, v26, vcc
	s_waitcnt lgkmcnt(0)
	v_mul_f32_e32 v29, v27, v28
	s_cbranch_execz .LBB24_486
	s_branch .LBB24_487
.LBB24_485:
                                        ; implicit-def: $vgpr29
.LBB24_486:
	ds_read_b32 v29, v109
.LBB24_487:
	v_cmp_ne_u32_e32 vcc, 11, v0
	s_and_saveexec_b64 s[6:7], vcc
	s_cbranch_execz .LBB24_491
; %bb.488:
	v_mov_b32_e32 v27, 0x74
	v_lshl_add_u32 v30, v0, 2, v27
	v_mov_b32_e32 v28, v1
	s_mov_b64 s[8:9], 0
	v_mov_b32_e32 v27, v0
.LBB24_489:                             ; =>This Inner Loop Header: Depth=1
	v_add_co_u32_e32 v27, vcc, 1, v27
	v_addc_co_u32_e32 v28, vcc, 0, v28, vcc
	v_cmp_eq_u32_e32 vcc, 1, v27
	v_cndmask_b32_e32 v32, v2, v3, vcc
	v_cmp_lt_u32_e32 vcc, 10, v27
	v_cmp_eq_u32_e64 s[2:3], 2, v27
	v_cndmask_b32_e64 v32, v32, v4, s[2:3]
	s_or_b64 s[8:9], vcc, s[8:9]
	v_cmp_eq_u32_e32 vcc, 3, v27
	v_cndmask_b32_e32 v32, v32, v5, vcc
	v_cmp_eq_u32_e32 vcc, 4, v27
	v_cndmask_b32_e32 v32, v32, v6, vcc
	;; [unrolled: 2-line block ×10, first 2 shown]
	v_cmp_eq_u32_e32 vcc, 13, v27
	s_waitcnt vmcnt(11)
	v_cndmask_b32_e32 v32, v32, v15, vcc
	v_cmp_eq_u32_e32 vcc, 14, v27
	s_waitcnt vmcnt(10)
	v_cndmask_b32_e32 v32, v32, v16, vcc
	;; [unrolled: 3-line block ×7, first 2 shown]
	v_cmp_eq_u32_e32 vcc, 20, v27
	ds_read_b32 v31, v30
	s_waitcnt vmcnt(4)
	v_cndmask_b32_e32 v32, v32, v22, vcc
	v_cmp_eq_u32_e32 vcc, 21, v27
	s_waitcnt vmcnt(3)
	v_cndmask_b32_e32 v32, v32, v23, vcc
	v_cmp_eq_u32_e32 vcc, 22, v27
	;; [unrolled: 3-line block ×4, first 2 shown]
	s_waitcnt vmcnt(0)
	v_cndmask_b32_e32 v32, v32, v26, vcc
	v_add_u32_e32 v30, 4, v30
	s_waitcnt lgkmcnt(0)
	v_fmac_f32_e32 v29, v32, v31
	s_andn2_b64 exec, exec, s[8:9]
	s_cbranch_execnz .LBB24_489
; %bb.490:
	s_or_b64 exec, exec, s[8:9]
.LBB24_491:
	s_or_b64 exec, exec, s[6:7]
	v_mov_b32_e32 v14, 0
	ds_read_b32 v14, v14 offset:48
	s_waitcnt lgkmcnt(0)
	v_mul_f32_e32 v14, v29, v14
.LBB24_492:
	s_or_b64 exec, exec, s[4:5]
	v_cmp_gt_u32_e32 vcc, 13, v0
	s_waitcnt vmcnt(11)
	ds_write_b32 v109, v15
	s_waitcnt lgkmcnt(0)
	; wave barrier
	s_and_saveexec_b64 s[4:5], vcc
	s_cbranch_execz .LBB24_502
; %bb.493:
	s_and_b64 vcc, exec, s[0:1]
	s_cbranch_vccnz .LBB24_495
; %bb.494:
	v_cmp_eq_u32_e32 vcc, 1, v0
	v_cndmask_b32_e32 v27, v2, v3, vcc
	v_cmp_eq_u32_e32 vcc, 2, v0
	v_cndmask_b32_e32 v27, v27, v4, vcc
	;; [unrolled: 2-line block ×13, first 2 shown]
	v_cmp_eq_u32_e32 vcc, 14, v0
	s_waitcnt vmcnt(10)
	v_cndmask_b32_e32 v27, v27, v16, vcc
	v_cmp_eq_u32_e32 vcc, 15, v0
	s_waitcnt vmcnt(9)
	v_cndmask_b32_e32 v27, v27, v17, vcc
	;; [unrolled: 3-line block ×7, first 2 shown]
	v_cmp_eq_u32_e32 vcc, 21, v0
	ds_read_b32 v28, v109
	s_waitcnt vmcnt(3)
	v_cndmask_b32_e32 v27, v27, v23, vcc
	v_cmp_eq_u32_e32 vcc, 22, v0
	s_waitcnt vmcnt(2)
	v_cndmask_b32_e32 v27, v27, v24, vcc
	v_cmp_eq_u32_e32 vcc, 23, v0
	;; [unrolled: 3-line block ×3, first 2 shown]
	s_waitcnt vmcnt(0)
	v_cndmask_b32_e32 v27, v27, v26, vcc
	s_waitcnt lgkmcnt(0)
	v_mul_f32_e32 v29, v27, v28
	s_cbranch_execz .LBB24_496
	s_branch .LBB24_497
.LBB24_495:
                                        ; implicit-def: $vgpr29
.LBB24_496:
	ds_read_b32 v29, v109
.LBB24_497:
	v_cmp_ne_u32_e32 vcc, 12, v0
	s_and_saveexec_b64 s[6:7], vcc
	s_cbranch_execz .LBB24_501
; %bb.498:
	v_mov_b32_e32 v27, 0x74
	v_lshl_add_u32 v30, v0, 2, v27
	v_mov_b32_e32 v28, v1
	s_mov_b64 s[8:9], 0
	v_mov_b32_e32 v27, v0
.LBB24_499:                             ; =>This Inner Loop Header: Depth=1
	v_add_co_u32_e32 v27, vcc, 1, v27
	v_addc_co_u32_e32 v28, vcc, 0, v28, vcc
	v_cmp_eq_u32_e32 vcc, 1, v27
	v_cndmask_b32_e32 v32, v2, v3, vcc
	v_cmp_lt_u32_e32 vcc, 11, v27
	v_cmp_eq_u32_e64 s[2:3], 2, v27
	v_cndmask_b32_e64 v32, v32, v4, s[2:3]
	s_or_b64 s[8:9], vcc, s[8:9]
	v_cmp_eq_u32_e32 vcc, 3, v27
	v_cndmask_b32_e32 v32, v32, v5, vcc
	v_cmp_eq_u32_e32 vcc, 4, v27
	v_cndmask_b32_e32 v32, v32, v6, vcc
	;; [unrolled: 2-line block ×11, first 2 shown]
	v_cmp_eq_u32_e32 vcc, 14, v27
	s_waitcnt vmcnt(10)
	v_cndmask_b32_e32 v32, v32, v16, vcc
	v_cmp_eq_u32_e32 vcc, 15, v27
	s_waitcnt vmcnt(9)
	v_cndmask_b32_e32 v32, v32, v17, vcc
	;; [unrolled: 3-line block ×6, first 2 shown]
	v_cmp_eq_u32_e32 vcc, 20, v27
	ds_read_b32 v31, v30
	s_waitcnt vmcnt(4)
	v_cndmask_b32_e32 v32, v32, v22, vcc
	v_cmp_eq_u32_e32 vcc, 21, v27
	s_waitcnt vmcnt(3)
	v_cndmask_b32_e32 v32, v32, v23, vcc
	v_cmp_eq_u32_e32 vcc, 22, v27
	;; [unrolled: 3-line block ×4, first 2 shown]
	s_waitcnt vmcnt(0)
	v_cndmask_b32_e32 v32, v32, v26, vcc
	v_add_u32_e32 v30, 4, v30
	s_waitcnt lgkmcnt(0)
	v_fmac_f32_e32 v29, v32, v31
	s_andn2_b64 exec, exec, s[8:9]
	s_cbranch_execnz .LBB24_499
; %bb.500:
	s_or_b64 exec, exec, s[8:9]
.LBB24_501:
	s_or_b64 exec, exec, s[6:7]
	v_mov_b32_e32 v15, 0
	ds_read_b32 v15, v15 offset:52
	s_waitcnt lgkmcnt(0)
	v_mul_f32_e32 v15, v29, v15
.LBB24_502:
	s_or_b64 exec, exec, s[4:5]
	v_cmp_gt_u32_e32 vcc, 14, v0
	s_waitcnt vmcnt(10)
	ds_write_b32 v109, v16
	s_waitcnt lgkmcnt(0)
	; wave barrier
	s_and_saveexec_b64 s[4:5], vcc
	s_cbranch_execz .LBB24_512
; %bb.503:
	s_and_b64 vcc, exec, s[0:1]
	s_cbranch_vccnz .LBB24_505
; %bb.504:
	v_cmp_eq_u32_e32 vcc, 1, v0
	v_cndmask_b32_e32 v27, v2, v3, vcc
	v_cmp_eq_u32_e32 vcc, 2, v0
	v_cndmask_b32_e32 v27, v27, v4, vcc
	;; [unrolled: 2-line block ×14, first 2 shown]
	v_cmp_eq_u32_e32 vcc, 15, v0
	s_waitcnt vmcnt(9)
	v_cndmask_b32_e32 v27, v27, v17, vcc
	v_cmp_eq_u32_e32 vcc, 16, v0
	s_waitcnt vmcnt(8)
	v_cndmask_b32_e32 v27, v27, v18, vcc
	;; [unrolled: 3-line block ×6, first 2 shown]
	v_cmp_eq_u32_e32 vcc, 21, v0
	ds_read_b32 v28, v109
	s_waitcnt vmcnt(3)
	v_cndmask_b32_e32 v27, v27, v23, vcc
	v_cmp_eq_u32_e32 vcc, 22, v0
	s_waitcnt vmcnt(2)
	v_cndmask_b32_e32 v27, v27, v24, vcc
	v_cmp_eq_u32_e32 vcc, 23, v0
	;; [unrolled: 3-line block ×3, first 2 shown]
	s_waitcnt vmcnt(0)
	v_cndmask_b32_e32 v27, v27, v26, vcc
	s_waitcnt lgkmcnt(0)
	v_mul_f32_e32 v29, v27, v28
	s_cbranch_execz .LBB24_506
	s_branch .LBB24_507
.LBB24_505:
                                        ; implicit-def: $vgpr29
.LBB24_506:
	ds_read_b32 v29, v109
.LBB24_507:
	v_cmp_ne_u32_e32 vcc, 13, v0
	s_and_saveexec_b64 s[6:7], vcc
	s_cbranch_execz .LBB24_511
; %bb.508:
	v_mov_b32_e32 v27, 0x74
	v_lshl_add_u32 v30, v0, 2, v27
	v_mov_b32_e32 v28, v1
	s_mov_b64 s[8:9], 0
	v_mov_b32_e32 v27, v0
.LBB24_509:                             ; =>This Inner Loop Header: Depth=1
	v_add_co_u32_e32 v27, vcc, 1, v27
	v_addc_co_u32_e32 v28, vcc, 0, v28, vcc
	v_cmp_eq_u32_e32 vcc, 1, v27
	v_cndmask_b32_e32 v32, v2, v3, vcc
	v_cmp_lt_u32_e32 vcc, 12, v27
	v_cmp_eq_u32_e64 s[2:3], 2, v27
	v_cndmask_b32_e64 v32, v32, v4, s[2:3]
	s_or_b64 s[8:9], vcc, s[8:9]
	v_cmp_eq_u32_e32 vcc, 3, v27
	v_cndmask_b32_e32 v32, v32, v5, vcc
	v_cmp_eq_u32_e32 vcc, 4, v27
	v_cndmask_b32_e32 v32, v32, v6, vcc
	;; [unrolled: 2-line block ×12, first 2 shown]
	v_cmp_eq_u32_e32 vcc, 15, v27
	s_waitcnt vmcnt(9)
	v_cndmask_b32_e32 v32, v32, v17, vcc
	v_cmp_eq_u32_e32 vcc, 16, v27
	s_waitcnt vmcnt(8)
	v_cndmask_b32_e32 v32, v32, v18, vcc
	;; [unrolled: 3-line block ×5, first 2 shown]
	v_cmp_eq_u32_e32 vcc, 20, v27
	ds_read_b32 v31, v30
	s_waitcnt vmcnt(4)
	v_cndmask_b32_e32 v32, v32, v22, vcc
	v_cmp_eq_u32_e32 vcc, 21, v27
	s_waitcnt vmcnt(3)
	v_cndmask_b32_e32 v32, v32, v23, vcc
	v_cmp_eq_u32_e32 vcc, 22, v27
	s_waitcnt vmcnt(2)
	v_cndmask_b32_e32 v32, v32, v24, vcc
	v_cmp_eq_u32_e32 vcc, 23, v27
	s_waitcnt vmcnt(1)
	v_cndmask_b32_e32 v32, v32, v25, vcc
	v_cmp_eq_u32_e32 vcc, 24, v27
	s_waitcnt vmcnt(0)
	v_cndmask_b32_e32 v32, v32, v26, vcc
	v_add_u32_e32 v30, 4, v30
	s_waitcnt lgkmcnt(0)
	v_fmac_f32_e32 v29, v32, v31
	s_andn2_b64 exec, exec, s[8:9]
	s_cbranch_execnz .LBB24_509
; %bb.510:
	s_or_b64 exec, exec, s[8:9]
.LBB24_511:
	s_or_b64 exec, exec, s[6:7]
	v_mov_b32_e32 v16, 0
	ds_read_b32 v16, v16 offset:56
	s_waitcnt lgkmcnt(0)
	v_mul_f32_e32 v16, v29, v16
.LBB24_512:
	s_or_b64 exec, exec, s[4:5]
	v_cmp_gt_u32_e32 vcc, 15, v0
	s_waitcnt vmcnt(9)
	ds_write_b32 v109, v17
	s_waitcnt lgkmcnt(0)
	; wave barrier
	s_and_saveexec_b64 s[4:5], vcc
	s_cbranch_execz .LBB24_522
; %bb.513:
	s_and_b64 vcc, exec, s[0:1]
	s_cbranch_vccnz .LBB24_515
; %bb.514:
	v_cmp_eq_u32_e32 vcc, 1, v0
	v_cndmask_b32_e32 v27, v2, v3, vcc
	v_cmp_eq_u32_e32 vcc, 2, v0
	v_cndmask_b32_e32 v27, v27, v4, vcc
	;; [unrolled: 2-line block ×15, first 2 shown]
	v_cmp_eq_u32_e32 vcc, 16, v0
	s_waitcnt vmcnt(8)
	v_cndmask_b32_e32 v27, v27, v18, vcc
	v_cmp_eq_u32_e32 vcc, 17, v0
	s_waitcnt vmcnt(7)
	v_cndmask_b32_e32 v27, v27, v19, vcc
	;; [unrolled: 3-line block ×5, first 2 shown]
	v_cmp_eq_u32_e32 vcc, 21, v0
	ds_read_b32 v28, v109
	s_waitcnt vmcnt(3)
	v_cndmask_b32_e32 v27, v27, v23, vcc
	v_cmp_eq_u32_e32 vcc, 22, v0
	s_waitcnt vmcnt(2)
	v_cndmask_b32_e32 v27, v27, v24, vcc
	v_cmp_eq_u32_e32 vcc, 23, v0
	;; [unrolled: 3-line block ×3, first 2 shown]
	s_waitcnt vmcnt(0)
	v_cndmask_b32_e32 v27, v27, v26, vcc
	s_waitcnt lgkmcnt(0)
	v_mul_f32_e32 v29, v27, v28
	s_cbranch_execz .LBB24_516
	s_branch .LBB24_517
.LBB24_515:
                                        ; implicit-def: $vgpr29
.LBB24_516:
	ds_read_b32 v29, v109
.LBB24_517:
	v_cmp_ne_u32_e32 vcc, 14, v0
	s_and_saveexec_b64 s[6:7], vcc
	s_cbranch_execz .LBB24_521
; %bb.518:
	v_mov_b32_e32 v27, 0x74
	v_lshl_add_u32 v30, v0, 2, v27
	v_mov_b32_e32 v28, v1
	s_mov_b64 s[8:9], 0
	v_mov_b32_e32 v27, v0
.LBB24_519:                             ; =>This Inner Loop Header: Depth=1
	v_add_co_u32_e32 v27, vcc, 1, v27
	v_addc_co_u32_e32 v28, vcc, 0, v28, vcc
	v_cmp_eq_u32_e32 vcc, 1, v27
	v_cndmask_b32_e32 v32, v2, v3, vcc
	v_cmp_lt_u32_e32 vcc, 13, v27
	v_cmp_eq_u32_e64 s[2:3], 2, v27
	v_cndmask_b32_e64 v32, v32, v4, s[2:3]
	s_or_b64 s[8:9], vcc, s[8:9]
	v_cmp_eq_u32_e32 vcc, 3, v27
	v_cndmask_b32_e32 v32, v32, v5, vcc
	v_cmp_eq_u32_e32 vcc, 4, v27
	v_cndmask_b32_e32 v32, v32, v6, vcc
	;; [unrolled: 2-line block ×13, first 2 shown]
	v_cmp_eq_u32_e32 vcc, 16, v27
	s_waitcnt vmcnt(8)
	v_cndmask_b32_e32 v32, v32, v18, vcc
	v_cmp_eq_u32_e32 vcc, 17, v27
	s_waitcnt vmcnt(7)
	v_cndmask_b32_e32 v32, v32, v19, vcc
	;; [unrolled: 3-line block ×4, first 2 shown]
	v_cmp_eq_u32_e32 vcc, 20, v27
	ds_read_b32 v31, v30
	s_waitcnt vmcnt(4)
	v_cndmask_b32_e32 v32, v32, v22, vcc
	v_cmp_eq_u32_e32 vcc, 21, v27
	s_waitcnt vmcnt(3)
	v_cndmask_b32_e32 v32, v32, v23, vcc
	v_cmp_eq_u32_e32 vcc, 22, v27
	;; [unrolled: 3-line block ×4, first 2 shown]
	s_waitcnt vmcnt(0)
	v_cndmask_b32_e32 v32, v32, v26, vcc
	v_add_u32_e32 v30, 4, v30
	s_waitcnt lgkmcnt(0)
	v_fmac_f32_e32 v29, v32, v31
	s_andn2_b64 exec, exec, s[8:9]
	s_cbranch_execnz .LBB24_519
; %bb.520:
	s_or_b64 exec, exec, s[8:9]
.LBB24_521:
	s_or_b64 exec, exec, s[6:7]
	v_mov_b32_e32 v17, 0
	ds_read_b32 v17, v17 offset:60
	s_waitcnt lgkmcnt(0)
	v_mul_f32_e32 v17, v29, v17
.LBB24_522:
	s_or_b64 exec, exec, s[4:5]
	v_cmp_gt_u32_e32 vcc, 16, v0
	s_waitcnt vmcnt(8)
	ds_write_b32 v109, v18
	s_waitcnt lgkmcnt(0)
	; wave barrier
	s_and_saveexec_b64 s[4:5], vcc
	s_cbranch_execz .LBB24_532
; %bb.523:
	s_and_b64 vcc, exec, s[0:1]
	s_cbranch_vccnz .LBB24_525
; %bb.524:
	v_cmp_eq_u32_e32 vcc, 1, v0
	v_cndmask_b32_e32 v27, v2, v3, vcc
	v_cmp_eq_u32_e32 vcc, 2, v0
	v_cndmask_b32_e32 v27, v27, v4, vcc
	;; [unrolled: 2-line block ×16, first 2 shown]
	v_cmp_eq_u32_e32 vcc, 17, v0
	s_waitcnt vmcnt(7)
	v_cndmask_b32_e32 v27, v27, v19, vcc
	v_cmp_eq_u32_e32 vcc, 18, v0
	s_waitcnt vmcnt(6)
	v_cndmask_b32_e32 v27, v27, v20, vcc
	;; [unrolled: 3-line block ×4, first 2 shown]
	v_cmp_eq_u32_e32 vcc, 21, v0
	ds_read_b32 v28, v109
	s_waitcnt vmcnt(3)
	v_cndmask_b32_e32 v27, v27, v23, vcc
	v_cmp_eq_u32_e32 vcc, 22, v0
	s_waitcnt vmcnt(2)
	v_cndmask_b32_e32 v27, v27, v24, vcc
	v_cmp_eq_u32_e32 vcc, 23, v0
	;; [unrolled: 3-line block ×3, first 2 shown]
	s_waitcnt vmcnt(0)
	v_cndmask_b32_e32 v27, v27, v26, vcc
	s_waitcnt lgkmcnt(0)
	v_mul_f32_e32 v29, v27, v28
	s_cbranch_execz .LBB24_526
	s_branch .LBB24_527
.LBB24_525:
                                        ; implicit-def: $vgpr29
.LBB24_526:
	ds_read_b32 v29, v109
.LBB24_527:
	v_cmp_ne_u32_e32 vcc, 15, v0
	s_and_saveexec_b64 s[6:7], vcc
	s_cbranch_execz .LBB24_531
; %bb.528:
	v_mov_b32_e32 v27, 0x74
	v_lshl_add_u32 v30, v0, 2, v27
	v_mov_b32_e32 v28, v1
	s_mov_b64 s[8:9], 0
	v_mov_b32_e32 v27, v0
.LBB24_529:                             ; =>This Inner Loop Header: Depth=1
	v_add_co_u32_e32 v27, vcc, 1, v27
	v_addc_co_u32_e32 v28, vcc, 0, v28, vcc
	v_cmp_eq_u32_e32 vcc, 1, v27
	v_cndmask_b32_e32 v32, v2, v3, vcc
	v_cmp_lt_u32_e32 vcc, 14, v27
	v_cmp_eq_u32_e64 s[2:3], 2, v27
	v_cndmask_b32_e64 v32, v32, v4, s[2:3]
	s_or_b64 s[8:9], vcc, s[8:9]
	v_cmp_eq_u32_e32 vcc, 3, v27
	v_cndmask_b32_e32 v32, v32, v5, vcc
	v_cmp_eq_u32_e32 vcc, 4, v27
	v_cndmask_b32_e32 v32, v32, v6, vcc
	;; [unrolled: 2-line block ×14, first 2 shown]
	v_cmp_eq_u32_e32 vcc, 17, v27
	s_waitcnt vmcnt(7)
	v_cndmask_b32_e32 v32, v32, v19, vcc
	v_cmp_eq_u32_e32 vcc, 18, v27
	s_waitcnt vmcnt(6)
	v_cndmask_b32_e32 v32, v32, v20, vcc
	;; [unrolled: 3-line block ×3, first 2 shown]
	v_cmp_eq_u32_e32 vcc, 20, v27
	ds_read_b32 v31, v30
	s_waitcnt vmcnt(4)
	v_cndmask_b32_e32 v32, v32, v22, vcc
	v_cmp_eq_u32_e32 vcc, 21, v27
	s_waitcnt vmcnt(3)
	v_cndmask_b32_e32 v32, v32, v23, vcc
	v_cmp_eq_u32_e32 vcc, 22, v27
	;; [unrolled: 3-line block ×4, first 2 shown]
	s_waitcnt vmcnt(0)
	v_cndmask_b32_e32 v32, v32, v26, vcc
	v_add_u32_e32 v30, 4, v30
	s_waitcnt lgkmcnt(0)
	v_fmac_f32_e32 v29, v32, v31
	s_andn2_b64 exec, exec, s[8:9]
	s_cbranch_execnz .LBB24_529
; %bb.530:
	s_or_b64 exec, exec, s[8:9]
.LBB24_531:
	s_or_b64 exec, exec, s[6:7]
	v_mov_b32_e32 v18, 0
	ds_read_b32 v18, v18 offset:64
	s_waitcnt lgkmcnt(0)
	v_mul_f32_e32 v18, v29, v18
.LBB24_532:
	s_or_b64 exec, exec, s[4:5]
	v_cmp_gt_u32_e32 vcc, 17, v0
	s_waitcnt vmcnt(7)
	ds_write_b32 v109, v19
	s_waitcnt lgkmcnt(0)
	; wave barrier
	s_and_saveexec_b64 s[4:5], vcc
	s_cbranch_execz .LBB24_542
; %bb.533:
	s_and_b64 vcc, exec, s[0:1]
	s_cbranch_vccnz .LBB24_535
; %bb.534:
	v_cmp_eq_u32_e32 vcc, 1, v0
	v_cndmask_b32_e32 v27, v2, v3, vcc
	v_cmp_eq_u32_e32 vcc, 2, v0
	v_cndmask_b32_e32 v27, v27, v4, vcc
	;; [unrolled: 2-line block ×17, first 2 shown]
	v_cmp_eq_u32_e32 vcc, 18, v0
	s_waitcnt vmcnt(6)
	v_cndmask_b32_e32 v27, v27, v20, vcc
	v_cmp_eq_u32_e32 vcc, 19, v0
	s_waitcnt vmcnt(5)
	v_cndmask_b32_e32 v27, v27, v21, vcc
	;; [unrolled: 3-line block ×3, first 2 shown]
	v_cmp_eq_u32_e32 vcc, 21, v0
	ds_read_b32 v28, v109
	s_waitcnt vmcnt(3)
	v_cndmask_b32_e32 v27, v27, v23, vcc
	v_cmp_eq_u32_e32 vcc, 22, v0
	s_waitcnt vmcnt(2)
	v_cndmask_b32_e32 v27, v27, v24, vcc
	v_cmp_eq_u32_e32 vcc, 23, v0
	;; [unrolled: 3-line block ×3, first 2 shown]
	s_waitcnt vmcnt(0)
	v_cndmask_b32_e32 v27, v27, v26, vcc
	s_waitcnt lgkmcnt(0)
	v_mul_f32_e32 v29, v27, v28
	s_cbranch_execz .LBB24_536
	s_branch .LBB24_537
.LBB24_535:
                                        ; implicit-def: $vgpr29
.LBB24_536:
	ds_read_b32 v29, v109
.LBB24_537:
	v_cmp_ne_u32_e32 vcc, 16, v0
	s_and_saveexec_b64 s[6:7], vcc
	s_cbranch_execz .LBB24_541
; %bb.538:
	v_mov_b32_e32 v27, 0x74
	v_lshl_add_u32 v30, v0, 2, v27
	v_mov_b32_e32 v28, v1
	s_mov_b64 s[8:9], 0
	v_mov_b32_e32 v27, v0
.LBB24_539:                             ; =>This Inner Loop Header: Depth=1
	v_add_co_u32_e32 v27, vcc, 1, v27
	v_addc_co_u32_e32 v28, vcc, 0, v28, vcc
	v_cmp_eq_u32_e32 vcc, 1, v27
	v_cndmask_b32_e32 v32, v2, v3, vcc
	v_cmp_lt_u32_e32 vcc, 15, v27
	v_cmp_eq_u32_e64 s[2:3], 2, v27
	v_cndmask_b32_e64 v32, v32, v4, s[2:3]
	s_or_b64 s[8:9], vcc, s[8:9]
	v_cmp_eq_u32_e32 vcc, 3, v27
	v_cndmask_b32_e32 v32, v32, v5, vcc
	v_cmp_eq_u32_e32 vcc, 4, v27
	v_cndmask_b32_e32 v32, v32, v6, vcc
	;; [unrolled: 2-line block ×15, first 2 shown]
	v_cmp_eq_u32_e32 vcc, 18, v27
	s_waitcnt vmcnt(6)
	v_cndmask_b32_e32 v32, v32, v20, vcc
	v_cmp_eq_u32_e32 vcc, 19, v27
	s_waitcnt vmcnt(5)
	v_cndmask_b32_e32 v32, v32, v21, vcc
	v_cmp_eq_u32_e32 vcc, 20, v27
	ds_read_b32 v31, v30
	s_waitcnt vmcnt(4)
	v_cndmask_b32_e32 v32, v32, v22, vcc
	v_cmp_eq_u32_e32 vcc, 21, v27
	s_waitcnt vmcnt(3)
	v_cndmask_b32_e32 v32, v32, v23, vcc
	v_cmp_eq_u32_e32 vcc, 22, v27
	;; [unrolled: 3-line block ×4, first 2 shown]
	s_waitcnt vmcnt(0)
	v_cndmask_b32_e32 v32, v32, v26, vcc
	v_add_u32_e32 v30, 4, v30
	s_waitcnt lgkmcnt(0)
	v_fmac_f32_e32 v29, v32, v31
	s_andn2_b64 exec, exec, s[8:9]
	s_cbranch_execnz .LBB24_539
; %bb.540:
	s_or_b64 exec, exec, s[8:9]
.LBB24_541:
	s_or_b64 exec, exec, s[6:7]
	v_mov_b32_e32 v19, 0
	ds_read_b32 v19, v19 offset:68
	s_waitcnt lgkmcnt(0)
	v_mul_f32_e32 v19, v29, v19
.LBB24_542:
	s_or_b64 exec, exec, s[4:5]
	v_cmp_gt_u32_e32 vcc, 18, v0
	s_waitcnt vmcnt(6)
	ds_write_b32 v109, v20
	s_waitcnt lgkmcnt(0)
	; wave barrier
	s_and_saveexec_b64 s[4:5], vcc
	s_cbranch_execz .LBB24_552
; %bb.543:
	s_and_b64 vcc, exec, s[0:1]
	s_cbranch_vccnz .LBB24_545
; %bb.544:
	v_cmp_eq_u32_e32 vcc, 1, v0
	v_cndmask_b32_e32 v27, v2, v3, vcc
	v_cmp_eq_u32_e32 vcc, 2, v0
	v_cndmask_b32_e32 v27, v27, v4, vcc
	v_cmp_eq_u32_e32 vcc, 3, v0
	v_cndmask_b32_e32 v27, v27, v5, vcc
	v_cmp_eq_u32_e32 vcc, 4, v0
	v_cndmask_b32_e32 v27, v27, v6, vcc
	v_cmp_eq_u32_e32 vcc, 5, v0
	v_cndmask_b32_e32 v27, v27, v7, vcc
	v_cmp_eq_u32_e32 vcc, 6, v0
	v_cndmask_b32_e32 v27, v27, v8, vcc
	v_cmp_eq_u32_e32 vcc, 7, v0
	v_cndmask_b32_e32 v27, v27, v9, vcc
	v_cmp_eq_u32_e32 vcc, 8, v0
	v_cndmask_b32_e32 v27, v27, v10, vcc
	v_cmp_eq_u32_e32 vcc, 9, v0
	v_cndmask_b32_e32 v27, v27, v11, vcc
	v_cmp_eq_u32_e32 vcc, 10, v0
	v_cndmask_b32_e32 v27, v27, v12, vcc
	v_cmp_eq_u32_e32 vcc, 11, v0
	v_cndmask_b32_e32 v27, v27, v13, vcc
	v_cmp_eq_u32_e32 vcc, 12, v0
	v_cndmask_b32_e32 v27, v27, v14, vcc
	v_cmp_eq_u32_e32 vcc, 13, v0
	v_cndmask_b32_e32 v27, v27, v15, vcc
	v_cmp_eq_u32_e32 vcc, 14, v0
	v_cndmask_b32_e32 v27, v27, v16, vcc
	v_cmp_eq_u32_e32 vcc, 15, v0
	v_cndmask_b32_e32 v27, v27, v17, vcc
	v_cmp_eq_u32_e32 vcc, 16, v0
	v_cndmask_b32_e32 v27, v27, v18, vcc
	v_cmp_eq_u32_e32 vcc, 17, v0
	v_cndmask_b32_e32 v27, v27, v19, vcc
	v_cmp_eq_u32_e32 vcc, 18, v0
	v_cndmask_b32_e32 v27, v27, v20, vcc
	v_cmp_eq_u32_e32 vcc, 19, v0
	s_waitcnt vmcnt(5)
	v_cndmask_b32_e32 v27, v27, v21, vcc
	v_cmp_eq_u32_e32 vcc, 20, v0
	s_waitcnt vmcnt(4)
	v_cndmask_b32_e32 v27, v27, v22, vcc
	v_cmp_eq_u32_e32 vcc, 21, v0
	ds_read_b32 v28, v109
	s_waitcnt vmcnt(3)
	v_cndmask_b32_e32 v27, v27, v23, vcc
	v_cmp_eq_u32_e32 vcc, 22, v0
	s_waitcnt vmcnt(2)
	v_cndmask_b32_e32 v27, v27, v24, vcc
	v_cmp_eq_u32_e32 vcc, 23, v0
	;; [unrolled: 3-line block ×3, first 2 shown]
	s_waitcnt vmcnt(0)
	v_cndmask_b32_e32 v27, v27, v26, vcc
	s_waitcnt lgkmcnt(0)
	v_mul_f32_e32 v29, v27, v28
	s_cbranch_execz .LBB24_546
	s_branch .LBB24_547
.LBB24_545:
                                        ; implicit-def: $vgpr29
.LBB24_546:
	ds_read_b32 v29, v109
.LBB24_547:
	v_cmp_ne_u32_e32 vcc, 17, v0
	s_and_saveexec_b64 s[6:7], vcc
	s_cbranch_execz .LBB24_551
; %bb.548:
	v_mov_b32_e32 v27, 0x74
	v_lshl_add_u32 v30, v0, 2, v27
	v_mov_b32_e32 v28, v1
	s_mov_b64 s[8:9], 0
	v_mov_b32_e32 v27, v0
.LBB24_549:                             ; =>This Inner Loop Header: Depth=1
	v_add_co_u32_e32 v27, vcc, 1, v27
	v_addc_co_u32_e32 v28, vcc, 0, v28, vcc
	v_cmp_eq_u32_e32 vcc, 1, v27
	v_cndmask_b32_e32 v32, v2, v3, vcc
	v_cmp_lt_u32_e32 vcc, 16, v27
	v_cmp_eq_u32_e64 s[2:3], 2, v27
	v_cndmask_b32_e64 v32, v32, v4, s[2:3]
	s_or_b64 s[8:9], vcc, s[8:9]
	v_cmp_eq_u32_e32 vcc, 3, v27
	v_cndmask_b32_e32 v32, v32, v5, vcc
	v_cmp_eq_u32_e32 vcc, 4, v27
	v_cndmask_b32_e32 v32, v32, v6, vcc
	;; [unrolled: 2-line block ×16, first 2 shown]
	v_cmp_eq_u32_e32 vcc, 19, v27
	s_waitcnt vmcnt(5)
	v_cndmask_b32_e32 v32, v32, v21, vcc
	v_cmp_eq_u32_e32 vcc, 20, v27
	ds_read_b32 v31, v30
	s_waitcnt vmcnt(4)
	v_cndmask_b32_e32 v32, v32, v22, vcc
	v_cmp_eq_u32_e32 vcc, 21, v27
	s_waitcnt vmcnt(3)
	v_cndmask_b32_e32 v32, v32, v23, vcc
	v_cmp_eq_u32_e32 vcc, 22, v27
	;; [unrolled: 3-line block ×4, first 2 shown]
	s_waitcnt vmcnt(0)
	v_cndmask_b32_e32 v32, v32, v26, vcc
	v_add_u32_e32 v30, 4, v30
	s_waitcnt lgkmcnt(0)
	v_fmac_f32_e32 v29, v32, v31
	s_andn2_b64 exec, exec, s[8:9]
	s_cbranch_execnz .LBB24_549
; %bb.550:
	s_or_b64 exec, exec, s[8:9]
.LBB24_551:
	s_or_b64 exec, exec, s[6:7]
	v_mov_b32_e32 v20, 0
	ds_read_b32 v20, v20 offset:72
	s_waitcnt lgkmcnt(0)
	v_mul_f32_e32 v20, v29, v20
.LBB24_552:
	s_or_b64 exec, exec, s[4:5]
	v_cmp_gt_u32_e32 vcc, 19, v0
	s_waitcnt vmcnt(5)
	ds_write_b32 v109, v21
	s_waitcnt lgkmcnt(0)
	; wave barrier
	s_and_saveexec_b64 s[4:5], vcc
	s_cbranch_execz .LBB24_562
; %bb.553:
	s_and_b64 vcc, exec, s[0:1]
	s_cbranch_vccnz .LBB24_555
; %bb.554:
	v_cmp_eq_u32_e32 vcc, 1, v0
	v_cndmask_b32_e32 v27, v2, v3, vcc
	v_cmp_eq_u32_e32 vcc, 2, v0
	v_cndmask_b32_e32 v27, v27, v4, vcc
	;; [unrolled: 2-line block ×19, first 2 shown]
	v_cmp_eq_u32_e32 vcc, 20, v0
	s_waitcnt vmcnt(4)
	v_cndmask_b32_e32 v27, v27, v22, vcc
	v_cmp_eq_u32_e32 vcc, 21, v0
	ds_read_b32 v28, v109
	s_waitcnt vmcnt(3)
	v_cndmask_b32_e32 v27, v27, v23, vcc
	v_cmp_eq_u32_e32 vcc, 22, v0
	s_waitcnt vmcnt(2)
	v_cndmask_b32_e32 v27, v27, v24, vcc
	v_cmp_eq_u32_e32 vcc, 23, v0
	;; [unrolled: 3-line block ×3, first 2 shown]
	s_waitcnt vmcnt(0)
	v_cndmask_b32_e32 v27, v27, v26, vcc
	s_waitcnt lgkmcnt(0)
	v_mul_f32_e32 v29, v27, v28
	s_cbranch_execz .LBB24_556
	s_branch .LBB24_557
.LBB24_555:
                                        ; implicit-def: $vgpr29
.LBB24_556:
	ds_read_b32 v29, v109
.LBB24_557:
	v_cmp_ne_u32_e32 vcc, 18, v0
	s_and_saveexec_b64 s[6:7], vcc
	s_cbranch_execz .LBB24_561
; %bb.558:
	v_mov_b32_e32 v27, 0x74
	v_lshl_add_u32 v30, v0, 2, v27
	v_mov_b32_e32 v28, v1
	s_mov_b64 s[8:9], 0
	v_mov_b32_e32 v27, v0
.LBB24_559:                             ; =>This Inner Loop Header: Depth=1
	v_add_co_u32_e32 v27, vcc, 1, v27
	v_addc_co_u32_e32 v28, vcc, 0, v28, vcc
	v_cmp_eq_u32_e32 vcc, 1, v27
	v_cndmask_b32_e32 v32, v2, v3, vcc
	v_cmp_lt_u32_e32 vcc, 17, v27
	v_cmp_eq_u32_e64 s[2:3], 2, v27
	v_cndmask_b32_e64 v32, v32, v4, s[2:3]
	s_or_b64 s[8:9], vcc, s[8:9]
	v_cmp_eq_u32_e32 vcc, 3, v27
	v_cndmask_b32_e32 v32, v32, v5, vcc
	v_cmp_eq_u32_e32 vcc, 4, v27
	v_cndmask_b32_e32 v32, v32, v6, vcc
	;; [unrolled: 2-line block ×17, first 2 shown]
	v_cmp_eq_u32_e32 vcc, 20, v27
	ds_read_b32 v31, v30
	s_waitcnt vmcnt(4)
	v_cndmask_b32_e32 v32, v32, v22, vcc
	v_cmp_eq_u32_e32 vcc, 21, v27
	s_waitcnt vmcnt(3)
	v_cndmask_b32_e32 v32, v32, v23, vcc
	v_cmp_eq_u32_e32 vcc, 22, v27
	;; [unrolled: 3-line block ×4, first 2 shown]
	s_waitcnt vmcnt(0)
	v_cndmask_b32_e32 v32, v32, v26, vcc
	v_add_u32_e32 v30, 4, v30
	s_waitcnt lgkmcnt(0)
	v_fmac_f32_e32 v29, v32, v31
	s_andn2_b64 exec, exec, s[8:9]
	s_cbranch_execnz .LBB24_559
; %bb.560:
	s_or_b64 exec, exec, s[8:9]
.LBB24_561:
	s_or_b64 exec, exec, s[6:7]
	v_mov_b32_e32 v21, 0
	ds_read_b32 v21, v21 offset:76
	s_waitcnt lgkmcnt(0)
	v_mul_f32_e32 v21, v29, v21
.LBB24_562:
	s_or_b64 exec, exec, s[4:5]
	v_cmp_gt_u32_e32 vcc, 20, v0
	s_waitcnt vmcnt(4)
	ds_write_b32 v109, v22
	s_waitcnt lgkmcnt(0)
	; wave barrier
	s_and_saveexec_b64 s[4:5], vcc
	s_cbranch_execz .LBB24_572
; %bb.563:
	s_and_b64 vcc, exec, s[0:1]
	s_cbranch_vccnz .LBB24_565
; %bb.564:
	v_cmp_eq_u32_e32 vcc, 1, v0
	v_cndmask_b32_e32 v27, v2, v3, vcc
	v_cmp_eq_u32_e32 vcc, 2, v0
	v_cndmask_b32_e32 v27, v27, v4, vcc
	;; [unrolled: 2-line block ×20, first 2 shown]
	v_cmp_eq_u32_e32 vcc, 21, v0
	ds_read_b32 v28, v109
	s_waitcnt vmcnt(3)
	v_cndmask_b32_e32 v27, v27, v23, vcc
	v_cmp_eq_u32_e32 vcc, 22, v0
	s_waitcnt vmcnt(2)
	v_cndmask_b32_e32 v27, v27, v24, vcc
	v_cmp_eq_u32_e32 vcc, 23, v0
	s_waitcnt vmcnt(1)
	v_cndmask_b32_e32 v27, v27, v25, vcc
	v_cmp_eq_u32_e32 vcc, 24, v0
	s_waitcnt vmcnt(0)
	v_cndmask_b32_e32 v27, v27, v26, vcc
	s_waitcnt lgkmcnt(0)
	v_mul_f32_e32 v29, v27, v28
	s_cbranch_execz .LBB24_566
	s_branch .LBB24_567
.LBB24_565:
                                        ; implicit-def: $vgpr29
.LBB24_566:
	ds_read_b32 v29, v109
.LBB24_567:
	v_cmp_ne_u32_e32 vcc, 19, v0
	s_and_saveexec_b64 s[6:7], vcc
	s_cbranch_execz .LBB24_571
; %bb.568:
	v_mov_b32_e32 v27, 0x74
	v_lshl_add_u32 v30, v0, 2, v27
	v_mov_b32_e32 v28, v1
	s_mov_b64 s[8:9], 0
	v_mov_b32_e32 v27, v0
.LBB24_569:                             ; =>This Inner Loop Header: Depth=1
	v_add_co_u32_e32 v27, vcc, 1, v27
	v_addc_co_u32_e32 v28, vcc, 0, v28, vcc
	v_cmp_eq_u32_e32 vcc, 1, v27
	v_cndmask_b32_e32 v32, v2, v3, vcc
	v_cmp_lt_u32_e32 vcc, 18, v27
	v_cmp_eq_u32_e64 s[2:3], 2, v27
	v_cndmask_b32_e64 v32, v32, v4, s[2:3]
	s_or_b64 s[8:9], vcc, s[8:9]
	v_cmp_eq_u32_e32 vcc, 3, v27
	v_cndmask_b32_e32 v32, v32, v5, vcc
	v_cmp_eq_u32_e32 vcc, 4, v27
	v_cndmask_b32_e32 v32, v32, v6, vcc
	;; [unrolled: 2-line block ×17, first 2 shown]
	v_cmp_eq_u32_e32 vcc, 20, v27
	ds_read_b32 v31, v30
	v_cndmask_b32_e32 v32, v32, v22, vcc
	v_cmp_eq_u32_e32 vcc, 21, v27
	s_waitcnt vmcnt(3)
	v_cndmask_b32_e32 v32, v32, v23, vcc
	v_cmp_eq_u32_e32 vcc, 22, v27
	s_waitcnt vmcnt(2)
	;; [unrolled: 3-line block ×4, first 2 shown]
	v_cndmask_b32_e32 v32, v32, v26, vcc
	v_add_u32_e32 v30, 4, v30
	s_waitcnt lgkmcnt(0)
	v_fmac_f32_e32 v29, v32, v31
	s_andn2_b64 exec, exec, s[8:9]
	s_cbranch_execnz .LBB24_569
; %bb.570:
	s_or_b64 exec, exec, s[8:9]
.LBB24_571:
	s_or_b64 exec, exec, s[6:7]
	v_mov_b32_e32 v22, 0
	ds_read_b32 v22, v22 offset:80
	s_waitcnt lgkmcnt(0)
	v_mul_f32_e32 v22, v29, v22
.LBB24_572:
	s_or_b64 exec, exec, s[4:5]
	v_cmp_gt_u32_e32 vcc, 21, v0
	s_waitcnt vmcnt(3)
	ds_write_b32 v109, v23
	s_waitcnt lgkmcnt(0)
	; wave barrier
	s_and_saveexec_b64 s[4:5], vcc
	s_cbranch_execz .LBB24_582
; %bb.573:
	s_and_b64 vcc, exec, s[0:1]
	s_cbranch_vccnz .LBB24_575
; %bb.574:
	v_cmp_eq_u32_e32 vcc, 1, v0
	v_cndmask_b32_e32 v27, v2, v3, vcc
	v_cmp_eq_u32_e32 vcc, 2, v0
	v_cndmask_b32_e32 v27, v27, v4, vcc
	;; [unrolled: 2-line block ×20, first 2 shown]
	v_cmp_eq_u32_e32 vcc, 21, v0
	ds_read_b32 v28, v109
	v_cndmask_b32_e32 v27, v27, v23, vcc
	v_cmp_eq_u32_e32 vcc, 22, v0
	s_waitcnt vmcnt(2)
	v_cndmask_b32_e32 v27, v27, v24, vcc
	v_cmp_eq_u32_e32 vcc, 23, v0
	s_waitcnt vmcnt(1)
	;; [unrolled: 3-line block ×3, first 2 shown]
	v_cndmask_b32_e32 v27, v27, v26, vcc
	s_waitcnt lgkmcnt(0)
	v_mul_f32_e32 v29, v27, v28
	s_cbranch_execz .LBB24_576
	s_branch .LBB24_577
.LBB24_575:
                                        ; implicit-def: $vgpr29
.LBB24_576:
	ds_read_b32 v29, v109
.LBB24_577:
	v_cmp_ne_u32_e32 vcc, 20, v0
	s_and_saveexec_b64 s[6:7], vcc
	s_cbranch_execz .LBB24_581
; %bb.578:
	v_mov_b32_e32 v27, 0x74
	v_lshl_add_u32 v30, v0, 2, v27
	v_mov_b32_e32 v28, v1
	s_mov_b64 s[8:9], 0
	v_mov_b32_e32 v27, v0
.LBB24_579:                             ; =>This Inner Loop Header: Depth=1
	v_add_co_u32_e32 v27, vcc, 1, v27
	v_addc_co_u32_e32 v28, vcc, 0, v28, vcc
	v_cmp_eq_u32_e32 vcc, 1, v27
	v_cndmask_b32_e32 v32, v2, v3, vcc
	v_cmp_lt_u32_e32 vcc, 19, v27
	v_cmp_eq_u32_e64 s[2:3], 2, v27
	v_cndmask_b32_e64 v32, v32, v4, s[2:3]
	s_or_b64 s[8:9], vcc, s[8:9]
	v_cmp_eq_u32_e32 vcc, 3, v27
	v_cndmask_b32_e32 v32, v32, v5, vcc
	v_cmp_eq_u32_e32 vcc, 4, v27
	v_cndmask_b32_e32 v32, v32, v6, vcc
	;; [unrolled: 2-line block ×17, first 2 shown]
	v_cmp_eq_u32_e32 vcc, 20, v27
	ds_read_b32 v31, v30
	v_cndmask_b32_e32 v32, v32, v22, vcc
	v_cmp_eq_u32_e32 vcc, 21, v27
	v_cndmask_b32_e32 v32, v32, v23, vcc
	v_cmp_eq_u32_e32 vcc, 22, v27
	s_waitcnt vmcnt(2)
	v_cndmask_b32_e32 v32, v32, v24, vcc
	v_cmp_eq_u32_e32 vcc, 23, v27
	s_waitcnt vmcnt(1)
	;; [unrolled: 3-line block ×3, first 2 shown]
	v_cndmask_b32_e32 v32, v32, v26, vcc
	v_add_u32_e32 v30, 4, v30
	s_waitcnt lgkmcnt(0)
	v_fmac_f32_e32 v29, v32, v31
	s_andn2_b64 exec, exec, s[8:9]
	s_cbranch_execnz .LBB24_579
; %bb.580:
	s_or_b64 exec, exec, s[8:9]
.LBB24_581:
	s_or_b64 exec, exec, s[6:7]
	v_mov_b32_e32 v23, 0
	ds_read_b32 v23, v23 offset:84
	s_waitcnt lgkmcnt(0)
	v_mul_f32_e32 v23, v29, v23
.LBB24_582:
	s_or_b64 exec, exec, s[4:5]
	v_cmp_gt_u32_e32 vcc, 22, v0
	s_waitcnt vmcnt(2)
	ds_write_b32 v109, v24
	s_waitcnt lgkmcnt(0)
	; wave barrier
	s_and_saveexec_b64 s[4:5], vcc
	s_cbranch_execz .LBB24_592
; %bb.583:
	s_and_b64 vcc, exec, s[0:1]
	s_cbranch_vccnz .LBB24_585
; %bb.584:
	v_cmp_eq_u32_e32 vcc, 1, v0
	v_cndmask_b32_e32 v27, v2, v3, vcc
	v_cmp_eq_u32_e32 vcc, 2, v0
	v_cndmask_b32_e32 v27, v27, v4, vcc
	;; [unrolled: 2-line block ×20, first 2 shown]
	v_cmp_eq_u32_e32 vcc, 21, v0
	ds_read_b32 v28, v109
	v_cndmask_b32_e32 v27, v27, v23, vcc
	v_cmp_eq_u32_e32 vcc, 22, v0
	v_cndmask_b32_e32 v27, v27, v24, vcc
	v_cmp_eq_u32_e32 vcc, 23, v0
	s_waitcnt vmcnt(1)
	v_cndmask_b32_e32 v27, v27, v25, vcc
	v_cmp_eq_u32_e32 vcc, 24, v0
	s_waitcnt vmcnt(0)
	v_cndmask_b32_e32 v27, v27, v26, vcc
	s_waitcnt lgkmcnt(0)
	v_mul_f32_e32 v29, v27, v28
	s_cbranch_execz .LBB24_586
	s_branch .LBB24_587
.LBB24_585:
                                        ; implicit-def: $vgpr29
.LBB24_586:
	ds_read_b32 v29, v109
.LBB24_587:
	v_cmp_ne_u32_e32 vcc, 21, v0
	s_and_saveexec_b64 s[6:7], vcc
	s_cbranch_execz .LBB24_591
; %bb.588:
	v_mov_b32_e32 v27, 0x74
	v_lshl_add_u32 v30, v0, 2, v27
	v_mov_b32_e32 v28, v1
	s_mov_b64 s[8:9], 0
	v_mov_b32_e32 v27, v0
.LBB24_589:                             ; =>This Inner Loop Header: Depth=1
	v_add_co_u32_e32 v27, vcc, 1, v27
	v_addc_co_u32_e32 v28, vcc, 0, v28, vcc
	v_cmp_eq_u32_e32 vcc, 1, v27
	v_cndmask_b32_e32 v32, v2, v3, vcc
	v_cmp_lt_u32_e32 vcc, 20, v27
	v_cmp_eq_u32_e64 s[2:3], 2, v27
	v_cndmask_b32_e64 v32, v32, v4, s[2:3]
	s_or_b64 s[8:9], vcc, s[8:9]
	v_cmp_eq_u32_e32 vcc, 3, v27
	v_cndmask_b32_e32 v32, v32, v5, vcc
	v_cmp_eq_u32_e32 vcc, 4, v27
	v_cndmask_b32_e32 v32, v32, v6, vcc
	;; [unrolled: 2-line block ×17, first 2 shown]
	v_cmp_eq_u32_e32 vcc, 20, v27
	ds_read_b32 v31, v30
	v_cndmask_b32_e32 v32, v32, v22, vcc
	v_cmp_eq_u32_e32 vcc, 21, v27
	v_cndmask_b32_e32 v32, v32, v23, vcc
	v_cmp_eq_u32_e32 vcc, 22, v27
	;; [unrolled: 2-line block ×3, first 2 shown]
	s_waitcnt vmcnt(1)
	v_cndmask_b32_e32 v32, v32, v25, vcc
	v_cmp_eq_u32_e32 vcc, 24, v27
	s_waitcnt vmcnt(0)
	v_cndmask_b32_e32 v32, v32, v26, vcc
	v_add_u32_e32 v30, 4, v30
	s_waitcnt lgkmcnt(0)
	v_fmac_f32_e32 v29, v32, v31
	s_andn2_b64 exec, exec, s[8:9]
	s_cbranch_execnz .LBB24_589
; %bb.590:
	s_or_b64 exec, exec, s[8:9]
.LBB24_591:
	s_or_b64 exec, exec, s[6:7]
	v_mov_b32_e32 v24, 0
	ds_read_b32 v24, v24 offset:88
	s_waitcnt lgkmcnt(0)
	v_mul_f32_e32 v24, v29, v24
.LBB24_592:
	s_or_b64 exec, exec, s[4:5]
	v_cmp_gt_u32_e64 s[2:3], 23, v0
	s_waitcnt vmcnt(1)
	ds_write_b32 v109, v25
	s_waitcnt lgkmcnt(0)
	; wave barrier
	s_and_saveexec_b64 s[6:7], s[2:3]
	s_cbranch_execz .LBB24_602
; %bb.593:
	s_and_b64 vcc, exec, s[0:1]
	s_cbranch_vccnz .LBB24_595
; %bb.594:
	v_cmp_eq_u32_e32 vcc, 1, v0
	v_cndmask_b32_e32 v27, v2, v3, vcc
	v_cmp_eq_u32_e32 vcc, 2, v0
	v_cndmask_b32_e32 v27, v27, v4, vcc
	;; [unrolled: 2-line block ×20, first 2 shown]
	v_cmp_eq_u32_e32 vcc, 21, v0
	ds_read_b32 v28, v109
	v_cndmask_b32_e32 v27, v27, v23, vcc
	v_cmp_eq_u32_e32 vcc, 22, v0
	v_cndmask_b32_e32 v27, v27, v24, vcc
	v_cmp_eq_u32_e32 vcc, 23, v0
	;; [unrolled: 2-line block ×3, first 2 shown]
	s_waitcnt vmcnt(0)
	v_cndmask_b32_e32 v27, v27, v26, vcc
	s_waitcnt lgkmcnt(0)
	v_mul_f32_e32 v29, v27, v28
	s_cbranch_execz .LBB24_596
	s_branch .LBB24_597
.LBB24_595:
                                        ; implicit-def: $vgpr29
.LBB24_596:
	ds_read_b32 v29, v109
.LBB24_597:
	v_cmp_ne_u32_e32 vcc, 22, v0
	s_and_saveexec_b64 s[8:9], vcc
	s_cbranch_execz .LBB24_601
; %bb.598:
	v_mov_b32_e32 v27, 0x74
	v_lshl_add_u32 v30, v0, 2, v27
	v_mov_b32_e32 v28, v1
	s_mov_b64 s[10:11], 0
	v_mov_b32_e32 v27, v0
.LBB24_599:                             ; =>This Inner Loop Header: Depth=1
	v_add_co_u32_e32 v27, vcc, 1, v27
	v_addc_co_u32_e32 v28, vcc, 0, v28, vcc
	v_cmp_eq_u32_e32 vcc, 1, v27
	v_cndmask_b32_e32 v32, v2, v3, vcc
	v_cmp_lt_u32_e32 vcc, 21, v27
	v_cmp_eq_u32_e64 s[4:5], 2, v27
	v_cndmask_b32_e64 v32, v32, v4, s[4:5]
	s_or_b64 s[10:11], vcc, s[10:11]
	v_cmp_eq_u32_e32 vcc, 3, v27
	v_cndmask_b32_e32 v32, v32, v5, vcc
	v_cmp_eq_u32_e32 vcc, 4, v27
	v_cndmask_b32_e32 v32, v32, v6, vcc
	;; [unrolled: 2-line block ×17, first 2 shown]
	v_cmp_eq_u32_e32 vcc, 20, v27
	ds_read_b32 v31, v30
	v_cndmask_b32_e32 v32, v32, v22, vcc
	v_cmp_eq_u32_e32 vcc, 21, v27
	v_cndmask_b32_e32 v32, v32, v23, vcc
	v_cmp_eq_u32_e32 vcc, 22, v27
	;; [unrolled: 2-line block ×4, first 2 shown]
	s_waitcnt vmcnt(0)
	v_cndmask_b32_e32 v32, v32, v26, vcc
	v_add_u32_e32 v30, 4, v30
	s_waitcnt lgkmcnt(0)
	v_fmac_f32_e32 v29, v32, v31
	s_andn2_b64 exec, exec, s[10:11]
	s_cbranch_execnz .LBB24_599
; %bb.600:
	s_or_b64 exec, exec, s[10:11]
.LBB24_601:
	s_or_b64 exec, exec, s[8:9]
	v_mov_b32_e32 v25, 0
	ds_read_b32 v25, v25 offset:92
	s_waitcnt lgkmcnt(0)
	v_mul_f32_e32 v25, v29, v25
.LBB24_602:
	s_or_b64 exec, exec, s[6:7]
	v_cmp_ne_u32_e32 vcc, 24, v0
	s_waitcnt vmcnt(0)
	ds_write_b32 v109, v26
	s_waitcnt lgkmcnt(0)
	; wave barrier
	s_and_saveexec_b64 s[4:5], vcc
	s_cbranch_execz .LBB24_612
; %bb.603:
	s_and_b64 vcc, exec, s[0:1]
	s_cbranch_vccnz .LBB24_605
; %bb.604:
	v_cmp_eq_u32_e32 vcc, 1, v0
	v_cndmask_b32_e32 v27, v2, v3, vcc
	v_cmp_eq_u32_e32 vcc, 2, v0
	v_cndmask_b32_e32 v27, v27, v4, vcc
	;; [unrolled: 2-line block ×20, first 2 shown]
	v_cmp_eq_u32_e32 vcc, 21, v0
	ds_read_b32 v28, v109
	v_cndmask_b32_e32 v27, v27, v23, vcc
	v_cmp_eq_u32_e32 vcc, 22, v0
	v_cndmask_b32_e32 v27, v27, v24, vcc
	v_cmp_eq_u32_e32 vcc, 23, v0
	;; [unrolled: 2-line block ×3, first 2 shown]
	v_cndmask_b32_e32 v27, v27, v26, vcc
	s_waitcnt lgkmcnt(0)
	v_mul_f32_e32 v27, v27, v28
	s_cbranch_execz .LBB24_606
	s_branch .LBB24_607
.LBB24_605:
                                        ; implicit-def: $vgpr27
.LBB24_606:
	ds_read_b32 v27, v109
.LBB24_607:
	s_and_saveexec_b64 s[6:7], s[2:3]
	s_cbranch_execz .LBB24_611
; %bb.608:
	v_mov_b32_e32 v28, 0x74
	v_lshl_add_u32 v28, v0, 2, v28
	s_mov_b64 s[2:3], 0
.LBB24_609:                             ; =>This Inner Loop Header: Depth=1
	v_add_co_u32_e32 v0, vcc, 1, v0
	v_addc_co_u32_e32 v1, vcc, 0, v1, vcc
	v_cmp_eq_u32_e32 vcc, 1, v0
	v_cndmask_b32_e32 v30, v2, v3, vcc
	v_cmp_lt_u32_e32 vcc, 22, v0
	v_cmp_eq_u32_e64 s[0:1], 2, v0
	v_cndmask_b32_e64 v30, v30, v4, s[0:1]
	s_or_b64 s[2:3], vcc, s[2:3]
	v_cmp_eq_u32_e32 vcc, 3, v0
	v_cndmask_b32_e32 v30, v30, v5, vcc
	v_cmp_eq_u32_e32 vcc, 4, v0
	v_cndmask_b32_e32 v30, v30, v6, vcc
	;; [unrolled: 2-line block ×17, first 2 shown]
	v_cmp_eq_u32_e32 vcc, 20, v0
	ds_read_b32 v29, v28
	v_cndmask_b32_e32 v30, v30, v22, vcc
	v_cmp_eq_u32_e32 vcc, 21, v0
	v_cndmask_b32_e32 v30, v30, v23, vcc
	v_cmp_eq_u32_e32 vcc, 22, v0
	;; [unrolled: 2-line block ×4, first 2 shown]
	v_cndmask_b32_e32 v30, v30, v26, vcc
	v_add_u32_e32 v28, 4, v28
	s_waitcnt lgkmcnt(0)
	v_fmac_f32_e32 v27, v30, v29
	s_andn2_b64 exec, exec, s[2:3]
	s_cbranch_execnz .LBB24_609
; %bb.610:
	s_or_b64 exec, exec, s[2:3]
.LBB24_611:
	s_or_b64 exec, exec, s[6:7]
	v_mov_b32_e32 v0, 0
	ds_read_b32 v0, v0 offset:96
	s_waitcnt lgkmcnt(0)
	v_mul_f32_e32 v26, v27, v0
.LBB24_612:
	s_or_b64 exec, exec, s[4:5]
	v_mov_b32_e32 v58, v33
	v_mov_b32_e32 v57, v32
	;; [unrolled: 1-line block ×32, first 2 shown]
.LBB24_613:
	global_store_dword v[105:106], v27, off
	global_store_dword v[107:108], v28, off
	;; [unrolled: 1-line block ×25, first 2 shown]
.LBB24_614:
	s_endpgm
	.section	.rodata,"a",@progbits
	.p2align	6, 0x0
	.amdhsa_kernel _ZN9rocsolver6v33100L18trti2_kernel_smallILi25EfPfEEv13rocblas_fill_17rocblas_diagonal_T1_iil
		.amdhsa_group_segment_fixed_size 212
		.amdhsa_private_segment_fixed_size 0
		.amdhsa_kernarg_size 32
		.amdhsa_user_sgpr_count 6
		.amdhsa_user_sgpr_private_segment_buffer 1
		.amdhsa_user_sgpr_dispatch_ptr 0
		.amdhsa_user_sgpr_queue_ptr 0
		.amdhsa_user_sgpr_kernarg_segment_ptr 1
		.amdhsa_user_sgpr_dispatch_id 0
		.amdhsa_user_sgpr_flat_scratch_init 0
		.amdhsa_user_sgpr_private_segment_size 0
		.amdhsa_uses_dynamic_stack 0
		.amdhsa_system_sgpr_private_segment_wavefront_offset 0
		.amdhsa_system_sgpr_workgroup_id_x 1
		.amdhsa_system_sgpr_workgroup_id_y 0
		.amdhsa_system_sgpr_workgroup_id_z 0
		.amdhsa_system_sgpr_workgroup_info 0
		.amdhsa_system_vgpr_workitem_id 0
		.amdhsa_next_free_vgpr 127
		.amdhsa_next_free_sgpr 60
		.amdhsa_reserve_vcc 1
		.amdhsa_reserve_flat_scratch 0
		.amdhsa_float_round_mode_32 0
		.amdhsa_float_round_mode_16_64 0
		.amdhsa_float_denorm_mode_32 3
		.amdhsa_float_denorm_mode_16_64 3
		.amdhsa_dx10_clamp 1
		.amdhsa_ieee_mode 1
		.amdhsa_fp16_overflow 0
		.amdhsa_exception_fp_ieee_invalid_op 0
		.amdhsa_exception_fp_denorm_src 0
		.amdhsa_exception_fp_ieee_div_zero 0
		.amdhsa_exception_fp_ieee_overflow 0
		.amdhsa_exception_fp_ieee_underflow 0
		.amdhsa_exception_fp_ieee_inexact 0
		.amdhsa_exception_int_div_zero 0
	.end_amdhsa_kernel
	.section	.text._ZN9rocsolver6v33100L18trti2_kernel_smallILi25EfPfEEv13rocblas_fill_17rocblas_diagonal_T1_iil,"axG",@progbits,_ZN9rocsolver6v33100L18trti2_kernel_smallILi25EfPfEEv13rocblas_fill_17rocblas_diagonal_T1_iil,comdat
.Lfunc_end24:
	.size	_ZN9rocsolver6v33100L18trti2_kernel_smallILi25EfPfEEv13rocblas_fill_17rocblas_diagonal_T1_iil, .Lfunc_end24-_ZN9rocsolver6v33100L18trti2_kernel_smallILi25EfPfEEv13rocblas_fill_17rocblas_diagonal_T1_iil
                                        ; -- End function
	.set _ZN9rocsolver6v33100L18trti2_kernel_smallILi25EfPfEEv13rocblas_fill_17rocblas_diagonal_T1_iil.num_vgpr, 127
	.set _ZN9rocsolver6v33100L18trti2_kernel_smallILi25EfPfEEv13rocblas_fill_17rocblas_diagonal_T1_iil.num_agpr, 0
	.set _ZN9rocsolver6v33100L18trti2_kernel_smallILi25EfPfEEv13rocblas_fill_17rocblas_diagonal_T1_iil.numbered_sgpr, 60
	.set _ZN9rocsolver6v33100L18trti2_kernel_smallILi25EfPfEEv13rocblas_fill_17rocblas_diagonal_T1_iil.num_named_barrier, 0
	.set _ZN9rocsolver6v33100L18trti2_kernel_smallILi25EfPfEEv13rocblas_fill_17rocblas_diagonal_T1_iil.private_seg_size, 0
	.set _ZN9rocsolver6v33100L18trti2_kernel_smallILi25EfPfEEv13rocblas_fill_17rocblas_diagonal_T1_iil.uses_vcc, 1
	.set _ZN9rocsolver6v33100L18trti2_kernel_smallILi25EfPfEEv13rocblas_fill_17rocblas_diagonal_T1_iil.uses_flat_scratch, 0
	.set _ZN9rocsolver6v33100L18trti2_kernel_smallILi25EfPfEEv13rocblas_fill_17rocblas_diagonal_T1_iil.has_dyn_sized_stack, 0
	.set _ZN9rocsolver6v33100L18trti2_kernel_smallILi25EfPfEEv13rocblas_fill_17rocblas_diagonal_T1_iil.has_recursion, 0
	.set _ZN9rocsolver6v33100L18trti2_kernel_smallILi25EfPfEEv13rocblas_fill_17rocblas_diagonal_T1_iil.has_indirect_call, 0
	.section	.AMDGPU.csdata,"",@progbits
; Kernel info:
; codeLenInByte = 38976
; TotalNumSgprs: 64
; NumVgprs: 127
; ScratchSize: 0
; MemoryBound: 0
; FloatMode: 240
; IeeeMode: 1
; LDSByteSize: 212 bytes/workgroup (compile time only)
; SGPRBlocks: 7
; VGPRBlocks: 31
; NumSGPRsForWavesPerEU: 64
; NumVGPRsForWavesPerEU: 127
; Occupancy: 2
; WaveLimiterHint : 0
; COMPUTE_PGM_RSRC2:SCRATCH_EN: 0
; COMPUTE_PGM_RSRC2:USER_SGPR: 6
; COMPUTE_PGM_RSRC2:TRAP_HANDLER: 0
; COMPUTE_PGM_RSRC2:TGID_X_EN: 1
; COMPUTE_PGM_RSRC2:TGID_Y_EN: 0
; COMPUTE_PGM_RSRC2:TGID_Z_EN: 0
; COMPUTE_PGM_RSRC2:TIDIG_COMP_CNT: 0
	.section	.text._ZN9rocsolver6v33100L18trti2_kernel_smallILi26EfPfEEv13rocblas_fill_17rocblas_diagonal_T1_iil,"axG",@progbits,_ZN9rocsolver6v33100L18trti2_kernel_smallILi26EfPfEEv13rocblas_fill_17rocblas_diagonal_T1_iil,comdat
	.globl	_ZN9rocsolver6v33100L18trti2_kernel_smallILi26EfPfEEv13rocblas_fill_17rocblas_diagonal_T1_iil ; -- Begin function _ZN9rocsolver6v33100L18trti2_kernel_smallILi26EfPfEEv13rocblas_fill_17rocblas_diagonal_T1_iil
	.p2align	8
	.type	_ZN9rocsolver6v33100L18trti2_kernel_smallILi26EfPfEEv13rocblas_fill_17rocblas_diagonal_T1_iil,@function
_ZN9rocsolver6v33100L18trti2_kernel_smallILi26EfPfEEv13rocblas_fill_17rocblas_diagonal_T1_iil: ; @_ZN9rocsolver6v33100L18trti2_kernel_smallILi26EfPfEEv13rocblas_fill_17rocblas_diagonal_T1_iil
; %bb.0:
	v_cmp_gt_u32_e32 vcc, 26, v0
	s_and_saveexec_b64 s[0:1], vcc
	s_cbranch_execz .LBB25_640
; %bb.1:
	s_load_dwordx8 s[56:63], s[4:5], 0x0
	s_ashr_i32 s2, s6, 31
	v_lshlrev_b32_e32 v28, 2, v0
	v_mov_b32_e32 v29, -1.0
	s_waitcnt lgkmcnt(0)
	s_mul_hi_u32 s3, s62, s6
	s_mul_i32 s2, s62, s2
	s_add_i32 s2, s3, s2
	s_mul_i32 s3, s63, s6
	s_add_i32 s3, s2, s3
	s_mul_i32 s2, s62, s6
	s_ashr_i32 s1, s60, 31
	s_lshl_b64 s[2:3], s[2:3], 2
	s_mov_b32 s0, s60
	s_add_u32 s2, s58, s2
	s_addc_u32 s3, s59, s3
	s_lshl_b64 s[0:1], s[0:1], 2
	s_add_u32 s0, s2, s0
	s_addc_u32 s1, s3, s1
	s_add_i32 s2, s61, s61
	v_add_u32_e32 v1, s2, v0
	v_ashrrev_i32_e32 v2, 31, v1
	v_lshlrev_b64 v[2:3], 2, v[1:2]
	v_add_u32_e32 v1, s61, v1
	v_mov_b32_e32 v4, s1
	v_add_co_u32_e32 v60, vcc, s0, v2
	v_ashrrev_i32_e32 v2, 31, v1
	v_addc_co_u32_e32 v61, vcc, v4, v3, vcc
	v_lshlrev_b64 v[2:3], 2, v[1:2]
	v_add_u32_e32 v1, s61, v1
	v_add_co_u32_e32 v62, vcc, s0, v2
	v_ashrrev_i32_e32 v2, 31, v1
	v_addc_co_u32_e32 v63, vcc, v4, v3, vcc
	v_lshlrev_b64 v[2:3], 2, v[1:2]
	v_add_u32_e32 v1, s61, v1
	;; [unrolled: 5-line block ×22, first 2 shown]
	v_add_co_u32_e32 v104, vcc, s0, v2
	v_ashrrev_i32_e32 v2, 31, v1
	v_lshlrev_b64 v[1:2], 2, v[1:2]
	v_addc_co_u32_e32 v105, vcc, v4, v3, vcc
	v_mov_b32_e32 v3, s1
	v_add_co_u32_e32 v106, vcc, s0, v1
	v_addc_co_u32_e32 v107, vcc, v3, v2, vcc
	v_mov_b32_e32 v1, s1
	v_add_co_u32_e32 v108, vcc, s0, v28
	s_ashr_i32 s3, s61, 31
	s_mov_b32 s2, s61
	v_addc_co_u32_e32 v109, vcc, 0, v1, vcc
	s_lshl_b64 s[2:3], s[2:3], 2
	v_mov_b32_e32 v1, s3
	v_add_co_u32_e32 v110, vcc, s2, v108
	v_addc_co_u32_e32 v111, vcc, v109, v1, vcc
	global_load_dword v3, v[110:111], off
	global_load_dword v4, v[60:61], off
	;; [unrolled: 1-line block ×24, first 2 shown]
	global_load_dword v2, v28, s[0:1]
	global_load_dword v27, v[106:107], off
	s_cmpk_lg_i32 s57, 0x84
	v_mov_b32_e32 v1, 0
	s_cselect_b64 s[54:55], -1, 0
	s_cmpk_eq_i32 s57, 0x84
	v_cmp_eq_u32_e64 s[0:1], 0, v0
	s_cbranch_scc1 .LBB25_3
; %bb.2:
	v_cmp_eq_u32_e64 s[2:3], 1, v0
	s_waitcnt vmcnt(1)
	v_cndmask_b32_e64 v29, v2, v3, s[2:3]
	v_cmp_eq_u32_e64 s[4:5], 2, v0
	v_cndmask_b32_e64 v29, v29, v4, s[4:5]
	v_cmp_eq_u32_e64 s[6:7], 3, v0
	;; [unrolled: 2-line block ×24, first 2 shown]
	s_waitcnt vmcnt(0)
	v_cndmask_b32_e64 v29, v29, v27, s[52:53]
	v_div_scale_f32 v30, s[58:59], v29, v29, 1.0
	v_div_scale_f32 v31, vcc, 1.0, v29, 1.0
	v_rcp_f32_e32 v32, v30
	v_fma_f32 v33, -v30, v32, 1.0
	v_fmac_f32_e32 v32, v33, v32
	v_mul_f32_e32 v33, v31, v32
	v_fma_f32 v34, -v30, v33, v31
	v_fmac_f32_e32 v33, v34, v32
	v_fma_f32 v30, -v30, v33, v31
	v_div_fmas_f32 v30, v30, v32, v33
	v_div_fixup_f32 v29, v30, v29, 1.0
	v_cndmask_b32_e64 v27, v27, v29, s[52:53]
	v_cndmask_b32_e64 v26, v26, v29, s[50:51]
	;; [unrolled: 1-line block ×26, first 2 shown]
	v_xor_b32_e32 v29, 0x80000000, v29
.LBB25_3:
	s_cmpk_eq_i32 s56, 0x79
	v_add_u32_e32 v112, 0x70, v28
	ds_write_b32 v28, v29
	s_cbranch_scc1 .LBB25_7
; %bb.4:
	s_waitcnt vmcnt(0)
	v_mov_b32_e32 v59, v33
	v_mov_b32_e32 v58, v32
	;; [unrolled: 1-line block ×32, first 2 shown]
	v_cmp_eq_u32_e64 s[0:1], 25, v0
	ds_write_b32 v112, v26
	s_waitcnt lgkmcnt(0)
	; wave barrier
	s_and_saveexec_b64 s[2:3], s[0:1]
	s_cbranch_execz .LBB25_11
; %bb.5:
	s_and_b64 vcc, exec, s[54:55]
	s_cbranch_vccz .LBB25_8
; %bb.6:
	v_cmp_eq_u32_e32 vcc, 1, v0
	v_cndmask_b32_e32 v28, v2, v3, vcc
	v_cmp_eq_u32_e32 vcc, 2, v0
	v_cndmask_b32_e32 v28, v28, v4, vcc
	;; [unrolled: 2-line block ×21, first 2 shown]
	v_cmp_eq_u32_e32 vcc, 22, v0
	ds_read_b32 v29, v112
	v_cndmask_b32_e32 v28, v28, v24, vcc
	v_cmp_eq_u32_e32 vcc, 23, v0
	v_cndmask_b32_e32 v28, v28, v25, vcc
	v_cmp_eq_u32_e32 vcc, 24, v0
	;; [unrolled: 2-line block ×3, first 2 shown]
	v_cndmask_b32_e32 v28, v28, v27, vcc
	s_waitcnt lgkmcnt(0)
	v_mul_f32_e32 v32, v28, v29
	s_cbranch_execz .LBB25_9
	s_branch .LBB25_10
.LBB25_7:
                                        ; implicit-def: $vgpr28_vgpr29_vgpr30_vgpr31_vgpr32_vgpr33_vgpr34_vgpr35_vgpr36_vgpr37_vgpr38_vgpr39_vgpr40_vgpr41_vgpr42_vgpr43_vgpr44_vgpr45_vgpr46_vgpr47_vgpr48_vgpr49_vgpr50_vgpr51_vgpr52_vgpr53_vgpr54_vgpr55_vgpr56_vgpr57_vgpr58_vgpr59
	s_cbranch_execnz .LBB25_386
	s_branch .LBB25_639
.LBB25_8:
                                        ; implicit-def: $vgpr32
.LBB25_9:
	ds_read_b32 v32, v112
.LBB25_10:
	v_mov_b32_e32 v28, 0
	ds_read_b32 v33, v28 offset:96
	v_mov_b32_e32 v28, v2
	v_mov_b32_e32 v29, v3
	v_mov_b32_e32 v30, v4
	v_mov_b32_e32 v31, v5
	s_waitcnt lgkmcnt(0)
	v_mul_f32_e32 v52, v32, v33
	v_mov_b32_e32 v32, v6
	v_mov_b32_e32 v33, v7
	;; [unrolled: 1-line block ×21, first 2 shown]
.LBB25_11:
	s_or_b64 exec, exec, s[2:3]
	v_cmp_lt_u32_e64 s[2:3], 23, v0
	ds_write_b32 v112, v51
	s_waitcnt lgkmcnt(0)
	; wave barrier
	s_and_saveexec_b64 s[4:5], s[2:3]
	s_cbranch_execz .LBB25_17
; %bb.12:
	s_andn2_b64 vcc, exec, s[54:55]
	s_cbranch_vccnz .LBB25_14
; %bb.13:
	v_cmp_eq_u32_e32 vcc, 1, v0
	v_cndmask_b32_e32 v54, v28, v29, vcc
	v_cmp_eq_u32_e32 vcc, 2, v0
	v_cndmask_b32_e32 v54, v54, v30, vcc
	;; [unrolled: 2-line block ×23, first 2 shown]
	ds_read_b32 v54, v112
	v_cmp_eq_u32_e32 vcc, 24, v0
	v_cndmask_b32_e32 v51, v51, v52, vcc
	v_cmp_eq_u32_e32 vcc, 25, v0
	v_cndmask_b32_e32 v51, v51, v53, vcc
	s_waitcnt lgkmcnt(0)
	v_mul_f32_e32 v51, v51, v54
	s_cbranch_execz .LBB25_15
	s_branch .LBB25_16
.LBB25_14:
                                        ; implicit-def: $vgpr51
.LBB25_15:
	ds_read_b32 v51, v112
.LBB25_16:
	v_mov_b32_e32 v54, 0
	ds_read2_b32 v[54:55], v54 offset0:23 offset1:52
	s_waitcnt lgkmcnt(0)
	v_fma_f32 v55, v52, v55, v51
	v_cndmask_b32_e64 v51, v51, v55, s[0:1]
	v_mul_f32_e32 v51, v51, v54
.LBB25_17:
	s_or_b64 exec, exec, s[4:5]
	v_cmp_lt_u32_e64 s[0:1], 22, v0
	ds_write_b32 v112, v50
	s_waitcnt lgkmcnt(0)
	; wave barrier
	s_and_saveexec_b64 s[4:5], s[0:1]
	s_cbranch_execz .LBB25_33
; %bb.18:
	s_andn2_b64 vcc, exec, s[54:55]
	s_cbranch_vccnz .LBB25_20
; %bb.19:
	v_cmp_eq_u32_e32 vcc, 1, v0
	v_cndmask_b32_e32 v113, v28, v29, vcc
	v_cmp_eq_u32_e32 vcc, 2, v0
	v_cndmask_b32_e32 v113, v113, v30, vcc
	;; [unrolled: 2-line block ×21, first 2 shown]
	v_cmp_eq_u32_e32 vcc, 22, v0
	ds_read_b32 v114, v112
	v_cndmask_b32_e32 v113, v113, v50, vcc
	v_cmp_eq_u32_e32 vcc, 23, v0
	v_cndmask_b32_e32 v113, v113, v51, vcc
	v_cmp_eq_u32_e32 vcc, 24, v0
	;; [unrolled: 2-line block ×3, first 2 shown]
	v_cndmask_b32_e32 v113, v113, v53, vcc
	s_waitcnt lgkmcnt(0)
	v_mul_f32_e32 v113, v113, v114
	s_cbranch_execz .LBB25_21
	s_branch .LBB25_22
.LBB25_20:
                                        ; implicit-def: $vgpr113
.LBB25_21:
	ds_read_b32 v113, v112
.LBB25_22:
	s_and_saveexec_b64 s[6:7], s[2:3]
	s_cbranch_execz .LBB25_32
; %bb.23:
	v_subrev_u32_e32 v116, 24, v0
	v_mov_b32_e32 v114, 23
	v_subrev_u32_e32 v115, 23, v0
	v_cmp_lt_u32_e32 vcc, 6, v116
	s_and_saveexec_b64 s[2:3], vcc
	s_cbranch_execz .LBB25_27
; %bb.24:
	v_and_b32_e32 v114, -8, v115
	v_sub_u32_e32 v116, 0, v114
	s_mov_b64 s[8:9], 30
	s_movk_i32 s12, 0xcc
	s_mov_b64 s[10:11], 0
.LBB25_25:                              ; =>This Inner Loop Header: Depth=1
	s_add_i32 s13, s8, -7
	v_mov_b32_e32 v119, s12
	s_set_gpr_idx_on s13, gpr_idx(SRC0)
	v_mov_b32_e32 v114, v28
	s_set_gpr_idx_off
	ds_read2_b32 v[117:118], v119 offset1:1
	s_add_i32 s13, s8, -6
	s_waitcnt lgkmcnt(0)
	v_fmac_f32_e32 v113, v114, v117
	s_set_gpr_idx_on s13, gpr_idx(SRC0)
	v_mov_b32_e32 v114, v28
	s_set_gpr_idx_off
	s_add_i32 s13, s8, -5
	v_fmac_f32_e32 v113, v114, v118
	s_set_gpr_idx_on s13, gpr_idx(SRC0)
	v_mov_b32_e32 v114, v28
	s_set_gpr_idx_off
	ds_read2_b32 v[117:118], v119 offset0:2 offset1:3
	s_add_i32 s13, s8, -4
	s_waitcnt lgkmcnt(0)
	v_fmac_f32_e32 v113, v114, v117
	s_set_gpr_idx_on s13, gpr_idx(SRC0)
	v_mov_b32_e32 v114, v28
	s_set_gpr_idx_off
	s_add_i32 s13, s8, -3
	v_fmac_f32_e32 v113, v114, v118
	s_set_gpr_idx_on s13, gpr_idx(SRC0)
	v_mov_b32_e32 v114, v28
	s_set_gpr_idx_off
	ds_read2_b32 v[117:118], v119 offset0:4 offset1:5
	;; [unrolled: 12-line block ×3, first 2 shown]
	s_waitcnt lgkmcnt(0)
	v_fmac_f32_e32 v113, v114, v117
	s_set_gpr_idx_on s8, gpr_idx(SRC0)
	v_mov_b32_e32 v114, v28
	s_set_gpr_idx_off
	s_add_u32 s8, s8, 8
	v_fmac_f32_e32 v113, v114, v118
	v_add_u32_e32 v114, s8, v116
	s_addc_u32 s9, s9, 0
	s_add_i32 s12, s12, 32
	v_cmp_eq_u32_e32 vcc, 30, v114
	s_add_i32 s13, s8, -7
	s_or_b64 s[10:11], vcc, s[10:11]
	v_mov_b32_e32 v114, s13
	s_andn2_b64 exec, exec, s[10:11]
	s_cbranch_execnz .LBB25_25
; %bb.26:
	s_or_b64 exec, exec, s[10:11]
.LBB25_27:
	s_or_b64 exec, exec, s[2:3]
	v_and_b32_e32 v54, 7, v115
	v_cmp_ne_u32_e32 vcc, 0, v54
	s_and_saveexec_b64 s[8:9], vcc
	s_cbranch_execz .LBB25_31
; %bb.28:
	v_mov_b32_e32 v55, 0x70
	v_lshl_add_u32 v55, v114, 2, v55
	v_mov_b32_e32 v56, 0
	s_mov_b64 s[10:11], 0
.LBB25_29:                              ; =>This Inner Loop Header: Depth=1
	v_cmp_eq_u32_e32 vcc, 1, v114
	v_cndmask_b32_e32 v57, v28, v29, vcc
	v_add_u32_e32 v54, -1, v54
	v_cmp_eq_u32_e32 vcc, 2, v114
	v_cndmask_b32_e32 v57, v57, v30, vcc
	v_cmp_eq_u32_e32 vcc, 0, v54
	v_cmp_eq_u32_e64 s[2:3], 3, v114
	v_cndmask_b32_e64 v57, v57, v31, s[2:3]
	s_or_b64 s[10:11], vcc, s[10:11]
	v_cmp_eq_u32_e32 vcc, 4, v114
	v_cndmask_b32_e32 v57, v57, v32, vcc
	v_cmp_eq_u32_e32 vcc, 5, v114
	v_cndmask_b32_e32 v57, v57, v33, vcc
	;; [unrolled: 2-line block ×17, first 2 shown]
	v_cmp_eq_u32_e32 vcc, 21, v114
	ds_read_b32 v58, v55
	v_cndmask_b32_e32 v57, v57, v49, vcc
	v_cmp_eq_u32_e32 vcc, 22, v114
	v_cndmask_b32_e32 v57, v57, v50, vcc
	v_cmp_eq_u32_e32 vcc, 23, v114
	;; [unrolled: 2-line block ×4, first 2 shown]
	v_add_co_u32_e64 v114, s[2:3], 1, v114
	v_cndmask_b32_e32 v57, v57, v53, vcc
	v_add_u32_e32 v55, 4, v55
	v_addc_co_u32_e64 v56, s[2:3], 0, v56, s[2:3]
	s_waitcnt lgkmcnt(0)
	v_fmac_f32_e32 v113, v57, v58
	s_andn2_b64 exec, exec, s[10:11]
	s_cbranch_execnz .LBB25_29
; %bb.30:
	s_or_b64 exec, exec, s[10:11]
.LBB25_31:
	s_or_b64 exec, exec, s[8:9]
.LBB25_32:
	s_or_b64 exec, exec, s[6:7]
	v_mov_b32_e32 v50, 0
	ds_read_b32 v50, v50 offset:88
	s_waitcnt lgkmcnt(0)
	v_mul_f32_e32 v50, v113, v50
.LBB25_33:
	s_or_b64 exec, exec, s[4:5]
	v_cmp_lt_u32_e64 s[2:3], 21, v0
	ds_write_b32 v112, v49
	s_waitcnt lgkmcnt(0)
	; wave barrier
	s_and_saveexec_b64 s[4:5], s[2:3]
	s_cbranch_execz .LBB25_49
; %bb.34:
	s_andn2_b64 vcc, exec, s[54:55]
	s_cbranch_vccnz .LBB25_36
; %bb.35:
	v_cmp_eq_u32_e32 vcc, 1, v0
	v_cndmask_b32_e32 v113, v28, v29, vcc
	v_cmp_eq_u32_e32 vcc, 2, v0
	v_cndmask_b32_e32 v113, v113, v30, vcc
	;; [unrolled: 2-line block ×21, first 2 shown]
	v_cmp_eq_u32_e32 vcc, 22, v0
	ds_read_b32 v114, v112
	v_cndmask_b32_e32 v113, v113, v50, vcc
	v_cmp_eq_u32_e32 vcc, 23, v0
	v_cndmask_b32_e32 v113, v113, v51, vcc
	v_cmp_eq_u32_e32 vcc, 24, v0
	;; [unrolled: 2-line block ×3, first 2 shown]
	v_cndmask_b32_e32 v113, v113, v53, vcc
	s_waitcnt lgkmcnt(0)
	v_mul_f32_e32 v113, v113, v114
	s_cbranch_execz .LBB25_37
	s_branch .LBB25_38
.LBB25_36:
                                        ; implicit-def: $vgpr113
.LBB25_37:
	ds_read_b32 v113, v112
.LBB25_38:
	s_and_saveexec_b64 s[6:7], s[0:1]
	s_cbranch_execz .LBB25_48
; %bb.39:
	v_subrev_u32_e32 v116, 23, v0
	v_mov_b32_e32 v114, 22
	v_subrev_u32_e32 v115, 22, v0
	v_cmp_lt_u32_e32 vcc, 6, v116
	s_and_saveexec_b64 s[0:1], vcc
	s_cbranch_execz .LBB25_43
; %bb.40:
	v_and_b32_e32 v114, -8, v115
	v_sub_u32_e32 v116, 0, v114
	s_mov_b64 s[8:9], 29
	s_movk_i32 s12, 0xc8
	s_mov_b64 s[10:11], 0
.LBB25_41:                              ; =>This Inner Loop Header: Depth=1
	s_add_i32 s13, s8, -7
	v_mov_b32_e32 v121, s12
	s_set_gpr_idx_on s13, gpr_idx(SRC0)
	v_mov_b32_e32 v114, v28
	s_set_gpr_idx_off
	ds_read2_b64 v[117:120], v121 offset1:1
	s_add_i32 s13, s8, -6
	s_waitcnt lgkmcnt(0)
	v_fmac_f32_e32 v113, v114, v117
	s_set_gpr_idx_on s13, gpr_idx(SRC0)
	v_mov_b32_e32 v114, v28
	s_set_gpr_idx_off
	s_add_i32 s13, s8, -5
	v_fmac_f32_e32 v113, v114, v118
	s_set_gpr_idx_on s13, gpr_idx(SRC0)
	v_mov_b32_e32 v114, v28
	s_set_gpr_idx_off
	s_add_i32 s13, s8, -4
	;; [unrolled: 5-line block ×3, first 2 shown]
	v_fmac_f32_e32 v113, v114, v120
	s_set_gpr_idx_on s13, gpr_idx(SRC0)
	v_mov_b32_e32 v114, v28
	s_set_gpr_idx_off
	ds_read2_b64 v[117:120], v121 offset0:2 offset1:3
	s_add_i32 s13, s8, -2
	s_waitcnt lgkmcnt(0)
	v_fmac_f32_e32 v113, v114, v117
	s_set_gpr_idx_on s13, gpr_idx(SRC0)
	v_mov_b32_e32 v114, v28
	s_set_gpr_idx_off
	s_add_i32 s13, s8, -1
	v_fmac_f32_e32 v113, v114, v118
	s_set_gpr_idx_on s13, gpr_idx(SRC0)
	v_mov_b32_e32 v114, v28
	s_set_gpr_idx_off
	v_fmac_f32_e32 v113, v114, v119
	s_set_gpr_idx_on s8, gpr_idx(SRC0)
	v_mov_b32_e32 v114, v28
	s_set_gpr_idx_off
	s_add_u32 s8, s8, 8
	v_fmac_f32_e32 v113, v114, v120
	v_add_u32_e32 v114, s8, v116
	s_addc_u32 s9, s9, 0
	s_add_i32 s12, s12, 32
	v_cmp_eq_u32_e32 vcc, 29, v114
	s_add_i32 s13, s8, -7
	s_or_b64 s[10:11], vcc, s[10:11]
	v_mov_b32_e32 v114, s13
	s_andn2_b64 exec, exec, s[10:11]
	s_cbranch_execnz .LBB25_41
; %bb.42:
	s_or_b64 exec, exec, s[10:11]
.LBB25_43:
	s_or_b64 exec, exec, s[0:1]
	v_and_b32_e32 v54, 7, v115
	v_cmp_ne_u32_e32 vcc, 0, v54
	s_and_saveexec_b64 s[8:9], vcc
	s_cbranch_execz .LBB25_47
; %bb.44:
	v_mov_b32_e32 v55, 0x70
	v_lshl_add_u32 v55, v114, 2, v55
	v_mov_b32_e32 v56, 0
	s_mov_b64 s[10:11], 0
.LBB25_45:                              ; =>This Inner Loop Header: Depth=1
	v_cmp_eq_u32_e32 vcc, 1, v114
	v_cndmask_b32_e32 v57, v28, v29, vcc
	v_add_u32_e32 v54, -1, v54
	v_cmp_eq_u32_e32 vcc, 2, v114
	v_cndmask_b32_e32 v57, v57, v30, vcc
	v_cmp_eq_u32_e32 vcc, 0, v54
	v_cmp_eq_u32_e64 s[0:1], 3, v114
	v_cndmask_b32_e64 v57, v57, v31, s[0:1]
	s_or_b64 s[10:11], vcc, s[10:11]
	v_cmp_eq_u32_e32 vcc, 4, v114
	v_cndmask_b32_e32 v57, v57, v32, vcc
	v_cmp_eq_u32_e32 vcc, 5, v114
	v_cndmask_b32_e32 v57, v57, v33, vcc
	v_cmp_eq_u32_e32 vcc, 6, v114
	v_cndmask_b32_e32 v57, v57, v34, vcc
	v_cmp_eq_u32_e32 vcc, 7, v114
	v_cndmask_b32_e32 v57, v57, v35, vcc
	v_cmp_eq_u32_e32 vcc, 8, v114
	v_cndmask_b32_e32 v57, v57, v36, vcc
	v_cmp_eq_u32_e32 vcc, 9, v114
	v_cndmask_b32_e32 v57, v57, v37, vcc
	v_cmp_eq_u32_e32 vcc, 10, v114
	v_cndmask_b32_e32 v57, v57, v38, vcc
	v_cmp_eq_u32_e32 vcc, 11, v114
	v_cndmask_b32_e32 v57, v57, v39, vcc
	v_cmp_eq_u32_e32 vcc, 12, v114
	v_cndmask_b32_e32 v57, v57, v40, vcc
	v_cmp_eq_u32_e32 vcc, 13, v114
	v_cndmask_b32_e32 v57, v57, v41, vcc
	v_cmp_eq_u32_e32 vcc, 14, v114
	v_cndmask_b32_e32 v57, v57, v42, vcc
	v_cmp_eq_u32_e32 vcc, 15, v114
	v_cndmask_b32_e32 v57, v57, v43, vcc
	v_cmp_eq_u32_e32 vcc, 16, v114
	v_cndmask_b32_e32 v57, v57, v44, vcc
	v_cmp_eq_u32_e32 vcc, 17, v114
	v_cndmask_b32_e32 v57, v57, v45, vcc
	v_cmp_eq_u32_e32 vcc, 18, v114
	v_cndmask_b32_e32 v57, v57, v46, vcc
	v_cmp_eq_u32_e32 vcc, 19, v114
	v_cndmask_b32_e32 v57, v57, v47, vcc
	v_cmp_eq_u32_e32 vcc, 20, v114
	v_cndmask_b32_e32 v57, v57, v48, vcc
	v_cmp_eq_u32_e32 vcc, 21, v114
	ds_read_b32 v58, v55
	v_cndmask_b32_e32 v57, v57, v49, vcc
	v_cmp_eq_u32_e32 vcc, 22, v114
	v_cndmask_b32_e32 v57, v57, v50, vcc
	v_cmp_eq_u32_e32 vcc, 23, v114
	;; [unrolled: 2-line block ×4, first 2 shown]
	v_add_co_u32_e64 v114, s[0:1], 1, v114
	v_cndmask_b32_e32 v57, v57, v53, vcc
	v_add_u32_e32 v55, 4, v55
	v_addc_co_u32_e64 v56, s[0:1], 0, v56, s[0:1]
	s_waitcnt lgkmcnt(0)
	v_fmac_f32_e32 v113, v57, v58
	s_andn2_b64 exec, exec, s[10:11]
	s_cbranch_execnz .LBB25_45
; %bb.46:
	s_or_b64 exec, exec, s[10:11]
.LBB25_47:
	s_or_b64 exec, exec, s[8:9]
.LBB25_48:
	s_or_b64 exec, exec, s[6:7]
	v_mov_b32_e32 v49, 0
	ds_read_b32 v49, v49 offset:84
	s_waitcnt lgkmcnt(0)
	v_mul_f32_e32 v49, v113, v49
.LBB25_49:
	s_or_b64 exec, exec, s[4:5]
	v_cmp_lt_u32_e64 s[0:1], 20, v0
	ds_write_b32 v112, v48
	s_waitcnt lgkmcnt(0)
	; wave barrier
	s_and_saveexec_b64 s[4:5], s[0:1]
	s_cbranch_execz .LBB25_65
; %bb.50:
	s_andn2_b64 vcc, exec, s[54:55]
	s_cbranch_vccnz .LBB25_52
; %bb.51:
	v_cmp_eq_u32_e32 vcc, 1, v0
	v_cndmask_b32_e32 v113, v28, v29, vcc
	v_cmp_eq_u32_e32 vcc, 2, v0
	v_cndmask_b32_e32 v113, v113, v30, vcc
	;; [unrolled: 2-line block ×21, first 2 shown]
	v_cmp_eq_u32_e32 vcc, 22, v0
	ds_read_b32 v114, v112
	v_cndmask_b32_e32 v113, v113, v50, vcc
	v_cmp_eq_u32_e32 vcc, 23, v0
	v_cndmask_b32_e32 v113, v113, v51, vcc
	v_cmp_eq_u32_e32 vcc, 24, v0
	;; [unrolled: 2-line block ×3, first 2 shown]
	v_cndmask_b32_e32 v113, v113, v53, vcc
	s_waitcnt lgkmcnt(0)
	v_mul_f32_e32 v113, v113, v114
	s_cbranch_execz .LBB25_53
	s_branch .LBB25_54
.LBB25_52:
                                        ; implicit-def: $vgpr113
.LBB25_53:
	ds_read_b32 v113, v112
.LBB25_54:
	s_and_saveexec_b64 s[6:7], s[2:3]
	s_cbranch_execz .LBB25_64
; %bb.55:
	v_subrev_u32_e32 v116, 22, v0
	v_mov_b32_e32 v114, 21
	v_subrev_u32_e32 v115, 21, v0
	v_cmp_lt_u32_e32 vcc, 6, v116
	s_and_saveexec_b64 s[2:3], vcc
	s_cbranch_execz .LBB25_59
; %bb.56:
	v_and_b32_e32 v114, -8, v115
	v_sub_u32_e32 v116, 0, v114
	s_mov_b64 s[8:9], 28
	s_movk_i32 s12, 0xc4
	s_mov_b64 s[10:11], 0
.LBB25_57:                              ; =>This Inner Loop Header: Depth=1
	s_add_i32 s13, s8, -7
	v_mov_b32_e32 v119, s12
	s_set_gpr_idx_on s13, gpr_idx(SRC0)
	v_mov_b32_e32 v114, v28
	s_set_gpr_idx_off
	ds_read2_b32 v[117:118], v119 offset1:1
	s_add_i32 s13, s8, -6
	s_waitcnt lgkmcnt(0)
	v_fmac_f32_e32 v113, v114, v117
	s_set_gpr_idx_on s13, gpr_idx(SRC0)
	v_mov_b32_e32 v114, v28
	s_set_gpr_idx_off
	s_add_i32 s13, s8, -5
	v_fmac_f32_e32 v113, v114, v118
	s_set_gpr_idx_on s13, gpr_idx(SRC0)
	v_mov_b32_e32 v114, v28
	s_set_gpr_idx_off
	ds_read2_b32 v[117:118], v119 offset0:2 offset1:3
	s_add_i32 s13, s8, -4
	s_waitcnt lgkmcnt(0)
	v_fmac_f32_e32 v113, v114, v117
	s_set_gpr_idx_on s13, gpr_idx(SRC0)
	v_mov_b32_e32 v114, v28
	s_set_gpr_idx_off
	s_add_i32 s13, s8, -3
	v_fmac_f32_e32 v113, v114, v118
	s_set_gpr_idx_on s13, gpr_idx(SRC0)
	v_mov_b32_e32 v114, v28
	s_set_gpr_idx_off
	ds_read2_b32 v[117:118], v119 offset0:4 offset1:5
	;; [unrolled: 12-line block ×3, first 2 shown]
	s_waitcnt lgkmcnt(0)
	v_fmac_f32_e32 v113, v114, v117
	s_set_gpr_idx_on s8, gpr_idx(SRC0)
	v_mov_b32_e32 v114, v28
	s_set_gpr_idx_off
	s_add_u32 s8, s8, 8
	v_fmac_f32_e32 v113, v114, v118
	v_add_u32_e32 v114, s8, v116
	s_addc_u32 s9, s9, 0
	s_add_i32 s12, s12, 32
	v_cmp_eq_u32_e32 vcc, 28, v114
	s_add_i32 s13, s8, -7
	s_or_b64 s[10:11], vcc, s[10:11]
	v_mov_b32_e32 v114, s13
	s_andn2_b64 exec, exec, s[10:11]
	s_cbranch_execnz .LBB25_57
; %bb.58:
	s_or_b64 exec, exec, s[10:11]
.LBB25_59:
	s_or_b64 exec, exec, s[2:3]
	v_and_b32_e32 v54, 7, v115
	v_cmp_ne_u32_e32 vcc, 0, v54
	s_and_saveexec_b64 s[8:9], vcc
	s_cbranch_execz .LBB25_63
; %bb.60:
	v_mov_b32_e32 v55, 0x70
	v_lshl_add_u32 v55, v114, 2, v55
	v_mov_b32_e32 v56, 0
	s_mov_b64 s[10:11], 0
.LBB25_61:                              ; =>This Inner Loop Header: Depth=1
	v_cmp_eq_u32_e32 vcc, 1, v114
	v_cndmask_b32_e32 v57, v28, v29, vcc
	v_add_u32_e32 v54, -1, v54
	v_cmp_eq_u32_e32 vcc, 2, v114
	v_cndmask_b32_e32 v57, v57, v30, vcc
	v_cmp_eq_u32_e32 vcc, 0, v54
	v_cmp_eq_u32_e64 s[2:3], 3, v114
	v_cndmask_b32_e64 v57, v57, v31, s[2:3]
	s_or_b64 s[10:11], vcc, s[10:11]
	v_cmp_eq_u32_e32 vcc, 4, v114
	v_cndmask_b32_e32 v57, v57, v32, vcc
	v_cmp_eq_u32_e32 vcc, 5, v114
	v_cndmask_b32_e32 v57, v57, v33, vcc
	;; [unrolled: 2-line block ×17, first 2 shown]
	v_cmp_eq_u32_e32 vcc, 21, v114
	ds_read_b32 v58, v55
	v_cndmask_b32_e32 v57, v57, v49, vcc
	v_cmp_eq_u32_e32 vcc, 22, v114
	v_cndmask_b32_e32 v57, v57, v50, vcc
	v_cmp_eq_u32_e32 vcc, 23, v114
	;; [unrolled: 2-line block ×4, first 2 shown]
	v_add_co_u32_e64 v114, s[2:3], 1, v114
	v_cndmask_b32_e32 v57, v57, v53, vcc
	v_add_u32_e32 v55, 4, v55
	v_addc_co_u32_e64 v56, s[2:3], 0, v56, s[2:3]
	s_waitcnt lgkmcnt(0)
	v_fmac_f32_e32 v113, v57, v58
	s_andn2_b64 exec, exec, s[10:11]
	s_cbranch_execnz .LBB25_61
; %bb.62:
	s_or_b64 exec, exec, s[10:11]
.LBB25_63:
	s_or_b64 exec, exec, s[8:9]
.LBB25_64:
	s_or_b64 exec, exec, s[6:7]
	v_mov_b32_e32 v48, 0
	ds_read_b32 v48, v48 offset:80
	s_waitcnt lgkmcnt(0)
	v_mul_f32_e32 v48, v113, v48
.LBB25_65:
	s_or_b64 exec, exec, s[4:5]
	v_cmp_lt_u32_e64 s[2:3], 19, v0
	ds_write_b32 v112, v47
	s_waitcnt lgkmcnt(0)
	; wave barrier
	s_and_saveexec_b64 s[4:5], s[2:3]
	s_cbranch_execz .LBB25_81
; %bb.66:
	s_andn2_b64 vcc, exec, s[54:55]
	s_cbranch_vccnz .LBB25_68
; %bb.67:
	v_cmp_eq_u32_e32 vcc, 1, v0
	v_cndmask_b32_e32 v113, v28, v29, vcc
	v_cmp_eq_u32_e32 vcc, 2, v0
	v_cndmask_b32_e32 v113, v113, v30, vcc
	v_cmp_eq_u32_e32 vcc, 3, v0
	v_cndmask_b32_e32 v113, v113, v31, vcc
	v_cmp_eq_u32_e32 vcc, 4, v0
	v_cndmask_b32_e32 v113, v113, v32, vcc
	v_cmp_eq_u32_e32 vcc, 5, v0
	v_cndmask_b32_e32 v113, v113, v33, vcc
	v_cmp_eq_u32_e32 vcc, 6, v0
	v_cndmask_b32_e32 v113, v113, v34, vcc
	v_cmp_eq_u32_e32 vcc, 7, v0
	v_cndmask_b32_e32 v113, v113, v35, vcc
	v_cmp_eq_u32_e32 vcc, 8, v0
	v_cndmask_b32_e32 v113, v113, v36, vcc
	v_cmp_eq_u32_e32 vcc, 9, v0
	v_cndmask_b32_e32 v113, v113, v37, vcc
	v_cmp_eq_u32_e32 vcc, 10, v0
	v_cndmask_b32_e32 v113, v113, v38, vcc
	v_cmp_eq_u32_e32 vcc, 11, v0
	v_cndmask_b32_e32 v113, v113, v39, vcc
	v_cmp_eq_u32_e32 vcc, 12, v0
	v_cndmask_b32_e32 v113, v113, v40, vcc
	v_cmp_eq_u32_e32 vcc, 13, v0
	v_cndmask_b32_e32 v113, v113, v41, vcc
	v_cmp_eq_u32_e32 vcc, 14, v0
	v_cndmask_b32_e32 v113, v113, v42, vcc
	v_cmp_eq_u32_e32 vcc, 15, v0
	v_cndmask_b32_e32 v113, v113, v43, vcc
	v_cmp_eq_u32_e32 vcc, 16, v0
	v_cndmask_b32_e32 v113, v113, v44, vcc
	v_cmp_eq_u32_e32 vcc, 17, v0
	v_cndmask_b32_e32 v113, v113, v45, vcc
	v_cmp_eq_u32_e32 vcc, 18, v0
	v_cndmask_b32_e32 v113, v113, v46, vcc
	v_cmp_eq_u32_e32 vcc, 19, v0
	v_cndmask_b32_e32 v113, v113, v47, vcc
	v_cmp_eq_u32_e32 vcc, 20, v0
	v_cndmask_b32_e32 v113, v113, v48, vcc
	v_cmp_eq_u32_e32 vcc, 21, v0
	v_cndmask_b32_e32 v113, v113, v49, vcc
	v_cmp_eq_u32_e32 vcc, 22, v0
	ds_read_b32 v114, v112
	v_cndmask_b32_e32 v113, v113, v50, vcc
	v_cmp_eq_u32_e32 vcc, 23, v0
	v_cndmask_b32_e32 v113, v113, v51, vcc
	v_cmp_eq_u32_e32 vcc, 24, v0
	;; [unrolled: 2-line block ×3, first 2 shown]
	v_cndmask_b32_e32 v113, v113, v53, vcc
	s_waitcnt lgkmcnt(0)
	v_mul_f32_e32 v113, v113, v114
	s_cbranch_execz .LBB25_69
	s_branch .LBB25_70
.LBB25_68:
                                        ; implicit-def: $vgpr113
.LBB25_69:
	ds_read_b32 v113, v112
.LBB25_70:
	s_and_saveexec_b64 s[6:7], s[0:1]
	s_cbranch_execz .LBB25_80
; %bb.71:
	v_subrev_u32_e32 v116, 21, v0
	v_mov_b32_e32 v114, 20
	v_subrev_u32_e32 v115, 20, v0
	v_cmp_lt_u32_e32 vcc, 6, v116
	s_and_saveexec_b64 s[0:1], vcc
	s_cbranch_execz .LBB25_75
; %bb.72:
	v_and_b32_e32 v114, -8, v115
	v_sub_u32_e32 v116, 0, v114
	s_mov_b64 s[8:9], 27
	s_movk_i32 s12, 0xc0
	s_mov_b64 s[10:11], 0
.LBB25_73:                              ; =>This Inner Loop Header: Depth=1
	s_add_i32 s13, s8, -7
	v_mov_b32_e32 v114, s12
	s_add_i32 s14, s8, -6
	s_set_gpr_idx_on s13, gpr_idx(SRC0)
	v_mov_b32_e32 v125, v28
	s_set_gpr_idx_off
	s_add_i32 s15, s8, -5
	ds_read_b128 v[117:120], v114
	ds_read_b128 v[121:124], v114 offset:16
	s_set_gpr_idx_on s14, gpr_idx(SRC0)
	v_mov_b32_e32 v114, v28
	s_set_gpr_idx_off
	s_add_i32 s16, s8, -4
	s_set_gpr_idx_on s15, gpr_idx(SRC0)
	v_mov_b32_e32 v126, v28
	s_set_gpr_idx_off
	s_add_i32 s17, s8, -3
	;; [unrolled: 4-line block ×4, first 2 shown]
	s_waitcnt lgkmcnt(1)
	v_fmac_f32_e32 v113, v125, v117
	s_set_gpr_idx_on s18, gpr_idx(SRC0)
	v_mov_b32_e32 v117, v28
	s_set_gpr_idx_off
	v_fmac_f32_e32 v113, v114, v118
	s_set_gpr_idx_on s19, gpr_idx(SRC0)
	v_mov_b32_e32 v118, v28
	s_set_gpr_idx_off
	;; [unrolled: 4-line block ×3, first 2 shown]
	v_fmac_f32_e32 v113, v127, v120
	s_add_u32 s8, s8, 8
	s_waitcnt lgkmcnt(0)
	v_fmac_f32_e32 v113, v128, v121
	v_add_u32_e32 v114, s8, v116
	v_fmac_f32_e32 v113, v117, v122
	s_addc_u32 s9, s9, 0
	s_add_i32 s12, s12, 32
	s_add_i32 s13, s8, -7
	v_cmp_eq_u32_e32 vcc, 27, v114
	v_fmac_f32_e32 v113, v118, v123
	v_mov_b32_e32 v114, s13
	s_or_b64 s[10:11], vcc, s[10:11]
	v_fmac_f32_e32 v113, v119, v124
	s_andn2_b64 exec, exec, s[10:11]
	s_cbranch_execnz .LBB25_73
; %bb.74:
	s_or_b64 exec, exec, s[10:11]
.LBB25_75:
	s_or_b64 exec, exec, s[0:1]
	v_and_b32_e32 v54, 7, v115
	v_cmp_ne_u32_e32 vcc, 0, v54
	s_and_saveexec_b64 s[8:9], vcc
	s_cbranch_execz .LBB25_79
; %bb.76:
	v_mov_b32_e32 v55, 0x70
	v_lshl_add_u32 v55, v114, 2, v55
	v_mov_b32_e32 v56, 0
	s_mov_b64 s[10:11], 0
.LBB25_77:                              ; =>This Inner Loop Header: Depth=1
	v_cmp_eq_u32_e32 vcc, 1, v114
	v_cndmask_b32_e32 v57, v28, v29, vcc
	v_add_u32_e32 v54, -1, v54
	v_cmp_eq_u32_e32 vcc, 2, v114
	v_cndmask_b32_e32 v57, v57, v30, vcc
	v_cmp_eq_u32_e32 vcc, 0, v54
	v_cmp_eq_u32_e64 s[0:1], 3, v114
	v_cndmask_b32_e64 v57, v57, v31, s[0:1]
	s_or_b64 s[10:11], vcc, s[10:11]
	v_cmp_eq_u32_e32 vcc, 4, v114
	v_cndmask_b32_e32 v57, v57, v32, vcc
	v_cmp_eq_u32_e32 vcc, 5, v114
	v_cndmask_b32_e32 v57, v57, v33, vcc
	;; [unrolled: 2-line block ×17, first 2 shown]
	v_cmp_eq_u32_e32 vcc, 21, v114
	ds_read_b32 v58, v55
	v_cndmask_b32_e32 v57, v57, v49, vcc
	v_cmp_eq_u32_e32 vcc, 22, v114
	v_cndmask_b32_e32 v57, v57, v50, vcc
	v_cmp_eq_u32_e32 vcc, 23, v114
	;; [unrolled: 2-line block ×4, first 2 shown]
	v_add_co_u32_e64 v114, s[0:1], 1, v114
	v_cndmask_b32_e32 v57, v57, v53, vcc
	v_add_u32_e32 v55, 4, v55
	v_addc_co_u32_e64 v56, s[0:1], 0, v56, s[0:1]
	s_waitcnt lgkmcnt(0)
	v_fmac_f32_e32 v113, v57, v58
	s_andn2_b64 exec, exec, s[10:11]
	s_cbranch_execnz .LBB25_77
; %bb.78:
	s_or_b64 exec, exec, s[10:11]
.LBB25_79:
	s_or_b64 exec, exec, s[8:9]
.LBB25_80:
	s_or_b64 exec, exec, s[6:7]
	v_mov_b32_e32 v47, 0
	ds_read_b32 v47, v47 offset:76
	s_waitcnt lgkmcnt(0)
	v_mul_f32_e32 v47, v113, v47
.LBB25_81:
	s_or_b64 exec, exec, s[4:5]
	v_cmp_lt_u32_e64 s[0:1], 18, v0
	ds_write_b32 v112, v46
	s_waitcnt lgkmcnt(0)
	; wave barrier
	s_and_saveexec_b64 s[4:5], s[0:1]
	s_cbranch_execz .LBB25_97
; %bb.82:
	s_andn2_b64 vcc, exec, s[54:55]
	s_cbranch_vccnz .LBB25_84
; %bb.83:
	v_cmp_eq_u32_e32 vcc, 1, v0
	v_cndmask_b32_e32 v113, v28, v29, vcc
	v_cmp_eq_u32_e32 vcc, 2, v0
	v_cndmask_b32_e32 v113, v113, v30, vcc
	;; [unrolled: 2-line block ×21, first 2 shown]
	v_cmp_eq_u32_e32 vcc, 22, v0
	ds_read_b32 v114, v112
	v_cndmask_b32_e32 v113, v113, v50, vcc
	v_cmp_eq_u32_e32 vcc, 23, v0
	v_cndmask_b32_e32 v113, v113, v51, vcc
	v_cmp_eq_u32_e32 vcc, 24, v0
	;; [unrolled: 2-line block ×3, first 2 shown]
	v_cndmask_b32_e32 v113, v113, v53, vcc
	s_waitcnt lgkmcnt(0)
	v_mul_f32_e32 v113, v113, v114
	s_cbranch_execz .LBB25_85
	s_branch .LBB25_86
.LBB25_84:
                                        ; implicit-def: $vgpr113
.LBB25_85:
	ds_read_b32 v113, v112
.LBB25_86:
	s_and_saveexec_b64 s[6:7], s[2:3]
	s_cbranch_execz .LBB25_96
; %bb.87:
	v_subrev_u32_e32 v116, 20, v0
	v_mov_b32_e32 v114, 19
	v_subrev_u32_e32 v115, 19, v0
	v_cmp_lt_u32_e32 vcc, 6, v116
	s_and_saveexec_b64 s[2:3], vcc
	s_cbranch_execz .LBB25_91
; %bb.88:
	v_and_b32_e32 v114, -8, v115
	v_sub_u32_e32 v116, 0, v114
	s_mov_b64 s[8:9], 26
	s_movk_i32 s12, 0xbc
	s_mov_b64 s[10:11], 0
.LBB25_89:                              ; =>This Inner Loop Header: Depth=1
	s_add_i32 s13, s8, -7
	v_mov_b32_e32 v114, s12
	s_add_i32 s14, s8, -6
	s_set_gpr_idx_on s13, gpr_idx(SRC0)
	v_mov_b32_e32 v123, v28
	s_set_gpr_idx_off
	ds_read2_b32 v[117:118], v114 offset1:1
	s_add_i32 s15, s8, -5
	s_set_gpr_idx_on s14, gpr_idx(SRC0)
	v_mov_b32_e32 v124, v28
	s_set_gpr_idx_off
	s_add_i32 s16, s8, -4
	s_set_gpr_idx_on s15, gpr_idx(SRC0)
	v_mov_b32_e32 v125, v28
	s_set_gpr_idx_off
	ds_read2_b32 v[119:120], v114 offset0:2 offset1:3
	s_add_i32 s17, s8, -3
	s_set_gpr_idx_on s16, gpr_idx(SRC0)
	v_mov_b32_e32 v126, v28
	s_set_gpr_idx_off
	s_add_i32 s18, s8, -2
	s_set_gpr_idx_on s17, gpr_idx(SRC0)
	v_mov_b32_e32 v127, v28
	s_set_gpr_idx_off
	ds_read2_b32 v[121:122], v114 offset0:4 offset1:5
	s_add_i32 s19, s8, -1
	s_waitcnt lgkmcnt(2)
	v_fmac_f32_e32 v113, v123, v117
	s_set_gpr_idx_on s18, gpr_idx(SRC0)
	v_mov_b32_e32 v123, v28
	s_set_gpr_idx_off
	v_fmac_f32_e32 v113, v124, v118
	s_set_gpr_idx_on s19, gpr_idx(SRC0)
	v_mov_b32_e32 v124, v28
	s_set_gpr_idx_off
	ds_read2_b32 v[117:118], v114 offset0:6 offset1:7
	s_waitcnt lgkmcnt(2)
	v_fmac_f32_e32 v113, v125, v119
	s_set_gpr_idx_on s8, gpr_idx(SRC0)
	v_mov_b32_e32 v119, v28
	s_set_gpr_idx_off
	v_fmac_f32_e32 v113, v126, v120
	s_add_u32 s8, s8, 8
	s_waitcnt lgkmcnt(1)
	v_fmac_f32_e32 v113, v127, v121
	v_add_u32_e32 v114, s8, v116
	v_fmac_f32_e32 v113, v123, v122
	s_addc_u32 s9, s9, 0
	s_add_i32 s12, s12, 32
	s_add_i32 s13, s8, -7
	v_cmp_eq_u32_e32 vcc, 26, v114
	s_waitcnt lgkmcnt(0)
	v_fmac_f32_e32 v113, v124, v117
	v_mov_b32_e32 v114, s13
	s_or_b64 s[10:11], vcc, s[10:11]
	v_fmac_f32_e32 v113, v119, v118
	s_andn2_b64 exec, exec, s[10:11]
	s_cbranch_execnz .LBB25_89
; %bb.90:
	s_or_b64 exec, exec, s[10:11]
.LBB25_91:
	s_or_b64 exec, exec, s[2:3]
	v_and_b32_e32 v54, 7, v115
	v_cmp_ne_u32_e32 vcc, 0, v54
	s_and_saveexec_b64 s[8:9], vcc
	s_cbranch_execz .LBB25_95
; %bb.92:
	v_mov_b32_e32 v55, 0x70
	v_lshl_add_u32 v55, v114, 2, v55
	v_mov_b32_e32 v56, 0
	s_mov_b64 s[10:11], 0
.LBB25_93:                              ; =>This Inner Loop Header: Depth=1
	v_cmp_eq_u32_e32 vcc, 1, v114
	v_cndmask_b32_e32 v57, v28, v29, vcc
	v_add_u32_e32 v54, -1, v54
	v_cmp_eq_u32_e32 vcc, 2, v114
	v_cndmask_b32_e32 v57, v57, v30, vcc
	v_cmp_eq_u32_e32 vcc, 0, v54
	v_cmp_eq_u32_e64 s[2:3], 3, v114
	v_cndmask_b32_e64 v57, v57, v31, s[2:3]
	s_or_b64 s[10:11], vcc, s[10:11]
	v_cmp_eq_u32_e32 vcc, 4, v114
	v_cndmask_b32_e32 v57, v57, v32, vcc
	v_cmp_eq_u32_e32 vcc, 5, v114
	v_cndmask_b32_e32 v57, v57, v33, vcc
	;; [unrolled: 2-line block ×17, first 2 shown]
	v_cmp_eq_u32_e32 vcc, 21, v114
	ds_read_b32 v58, v55
	v_cndmask_b32_e32 v57, v57, v49, vcc
	v_cmp_eq_u32_e32 vcc, 22, v114
	v_cndmask_b32_e32 v57, v57, v50, vcc
	v_cmp_eq_u32_e32 vcc, 23, v114
	v_cndmask_b32_e32 v57, v57, v51, vcc
	v_cmp_eq_u32_e32 vcc, 24, v114
	v_cndmask_b32_e32 v57, v57, v52, vcc
	v_cmp_eq_u32_e32 vcc, 25, v114
	v_add_co_u32_e64 v114, s[2:3], 1, v114
	v_cndmask_b32_e32 v57, v57, v53, vcc
	v_add_u32_e32 v55, 4, v55
	v_addc_co_u32_e64 v56, s[2:3], 0, v56, s[2:3]
	s_waitcnt lgkmcnt(0)
	v_fmac_f32_e32 v113, v57, v58
	s_andn2_b64 exec, exec, s[10:11]
	s_cbranch_execnz .LBB25_93
; %bb.94:
	s_or_b64 exec, exec, s[10:11]
.LBB25_95:
	s_or_b64 exec, exec, s[8:9]
.LBB25_96:
	s_or_b64 exec, exec, s[6:7]
	v_mov_b32_e32 v46, 0
	ds_read_b32 v46, v46 offset:72
	s_waitcnt lgkmcnt(0)
	v_mul_f32_e32 v46, v113, v46
.LBB25_97:
	s_or_b64 exec, exec, s[4:5]
	v_cmp_lt_u32_e64 s[2:3], 17, v0
	ds_write_b32 v112, v45
	s_waitcnt lgkmcnt(0)
	; wave barrier
	s_and_saveexec_b64 s[4:5], s[2:3]
	s_cbranch_execz .LBB25_113
; %bb.98:
	s_andn2_b64 vcc, exec, s[54:55]
	s_cbranch_vccnz .LBB25_100
; %bb.99:
	v_cmp_eq_u32_e32 vcc, 1, v0
	v_cndmask_b32_e32 v113, v28, v29, vcc
	v_cmp_eq_u32_e32 vcc, 2, v0
	v_cndmask_b32_e32 v113, v113, v30, vcc
	;; [unrolled: 2-line block ×21, first 2 shown]
	v_cmp_eq_u32_e32 vcc, 22, v0
	ds_read_b32 v114, v112
	v_cndmask_b32_e32 v113, v113, v50, vcc
	v_cmp_eq_u32_e32 vcc, 23, v0
	v_cndmask_b32_e32 v113, v113, v51, vcc
	v_cmp_eq_u32_e32 vcc, 24, v0
	;; [unrolled: 2-line block ×3, first 2 shown]
	v_cndmask_b32_e32 v113, v113, v53, vcc
	s_waitcnt lgkmcnt(0)
	v_mul_f32_e32 v113, v113, v114
	s_cbranch_execz .LBB25_101
	s_branch .LBB25_102
.LBB25_100:
                                        ; implicit-def: $vgpr113
.LBB25_101:
	ds_read_b32 v113, v112
.LBB25_102:
	s_and_saveexec_b64 s[6:7], s[0:1]
	s_cbranch_execz .LBB25_112
; %bb.103:
	v_subrev_u32_e32 v116, 19, v0
	v_mov_b32_e32 v114, 18
	v_subrev_u32_e32 v115, 18, v0
	v_cmp_lt_u32_e32 vcc, 6, v116
	s_and_saveexec_b64 s[0:1], vcc
	s_cbranch_execz .LBB25_107
; %bb.104:
	v_and_b32_e32 v114, -8, v115
	v_sub_u32_e32 v116, 0, v114
	s_mov_b64 s[8:9], 25
	s_movk_i32 s12, 0xb8
	s_mov_b64 s[10:11], 0
.LBB25_105:                             ; =>This Inner Loop Header: Depth=1
	s_add_i32 s13, s8, -7
	v_mov_b32_e32 v114, s12
	s_add_i32 s14, s8, -6
	s_set_gpr_idx_on s13, gpr_idx(SRC0)
	v_mov_b32_e32 v125, v28
	s_set_gpr_idx_off
	ds_read2_b64 v[117:120], v114 offset1:1
	s_add_i32 s15, s8, -5
	s_set_gpr_idx_on s14, gpr_idx(SRC0)
	v_mov_b32_e32 v126, v28
	s_set_gpr_idx_off
	s_add_i32 s16, s8, -4
	s_set_gpr_idx_on s15, gpr_idx(SRC0)
	v_mov_b32_e32 v127, v28
	s_set_gpr_idx_off
	;; [unrolled: 4-line block ×4, first 2 shown]
	ds_read2_b64 v[121:124], v114 offset0:2 offset1:3
	s_add_i32 s19, s8, -1
	s_waitcnt lgkmcnt(1)
	v_fmac_f32_e32 v113, v125, v117
	s_set_gpr_idx_on s18, gpr_idx(SRC0)
	v_mov_b32_e32 v117, v28
	s_set_gpr_idx_off
	v_fmac_f32_e32 v113, v126, v118
	s_set_gpr_idx_on s19, gpr_idx(SRC0)
	v_mov_b32_e32 v118, v28
	s_set_gpr_idx_off
	;; [unrolled: 4-line block ×3, first 2 shown]
	v_fmac_f32_e32 v113, v128, v120
	s_add_u32 s8, s8, 8
	s_waitcnt lgkmcnt(0)
	v_fmac_f32_e32 v113, v129, v121
	v_add_u32_e32 v114, s8, v116
	v_fmac_f32_e32 v113, v117, v122
	s_addc_u32 s9, s9, 0
	s_add_i32 s12, s12, 32
	s_add_i32 s13, s8, -7
	v_cmp_eq_u32_e32 vcc, 25, v114
	v_fmac_f32_e32 v113, v118, v123
	v_mov_b32_e32 v114, s13
	s_or_b64 s[10:11], vcc, s[10:11]
	v_fmac_f32_e32 v113, v119, v124
	s_andn2_b64 exec, exec, s[10:11]
	s_cbranch_execnz .LBB25_105
; %bb.106:
	s_or_b64 exec, exec, s[10:11]
.LBB25_107:
	s_or_b64 exec, exec, s[0:1]
	v_and_b32_e32 v54, 7, v115
	v_cmp_ne_u32_e32 vcc, 0, v54
	s_and_saveexec_b64 s[8:9], vcc
	s_cbranch_execz .LBB25_111
; %bb.108:
	v_mov_b32_e32 v55, 0x70
	v_lshl_add_u32 v55, v114, 2, v55
	v_mov_b32_e32 v56, 0
	s_mov_b64 s[10:11], 0
.LBB25_109:                             ; =>This Inner Loop Header: Depth=1
	v_cmp_eq_u32_e32 vcc, 1, v114
	v_cndmask_b32_e32 v57, v28, v29, vcc
	v_add_u32_e32 v54, -1, v54
	v_cmp_eq_u32_e32 vcc, 2, v114
	v_cndmask_b32_e32 v57, v57, v30, vcc
	v_cmp_eq_u32_e32 vcc, 0, v54
	v_cmp_eq_u32_e64 s[0:1], 3, v114
	v_cndmask_b32_e64 v57, v57, v31, s[0:1]
	s_or_b64 s[10:11], vcc, s[10:11]
	v_cmp_eq_u32_e32 vcc, 4, v114
	v_cndmask_b32_e32 v57, v57, v32, vcc
	v_cmp_eq_u32_e32 vcc, 5, v114
	v_cndmask_b32_e32 v57, v57, v33, vcc
	;; [unrolled: 2-line block ×17, first 2 shown]
	v_cmp_eq_u32_e32 vcc, 21, v114
	ds_read_b32 v58, v55
	v_cndmask_b32_e32 v57, v57, v49, vcc
	v_cmp_eq_u32_e32 vcc, 22, v114
	v_cndmask_b32_e32 v57, v57, v50, vcc
	v_cmp_eq_u32_e32 vcc, 23, v114
	;; [unrolled: 2-line block ×4, first 2 shown]
	v_add_co_u32_e64 v114, s[0:1], 1, v114
	v_cndmask_b32_e32 v57, v57, v53, vcc
	v_add_u32_e32 v55, 4, v55
	v_addc_co_u32_e64 v56, s[0:1], 0, v56, s[0:1]
	s_waitcnt lgkmcnt(0)
	v_fmac_f32_e32 v113, v57, v58
	s_andn2_b64 exec, exec, s[10:11]
	s_cbranch_execnz .LBB25_109
; %bb.110:
	s_or_b64 exec, exec, s[10:11]
.LBB25_111:
	s_or_b64 exec, exec, s[8:9]
.LBB25_112:
	s_or_b64 exec, exec, s[6:7]
	v_mov_b32_e32 v45, 0
	ds_read_b32 v45, v45 offset:68
	s_waitcnt lgkmcnt(0)
	v_mul_f32_e32 v45, v113, v45
.LBB25_113:
	s_or_b64 exec, exec, s[4:5]
	v_cmp_lt_u32_e64 s[0:1], 16, v0
	ds_write_b32 v112, v44
	s_waitcnt lgkmcnt(0)
	; wave barrier
	s_and_saveexec_b64 s[4:5], s[0:1]
	s_cbranch_execz .LBB25_129
; %bb.114:
	s_andn2_b64 vcc, exec, s[54:55]
	s_cbranch_vccnz .LBB25_116
; %bb.115:
	v_cmp_eq_u32_e32 vcc, 1, v0
	v_cndmask_b32_e32 v113, v28, v29, vcc
	v_cmp_eq_u32_e32 vcc, 2, v0
	v_cndmask_b32_e32 v113, v113, v30, vcc
	;; [unrolled: 2-line block ×21, first 2 shown]
	v_cmp_eq_u32_e32 vcc, 22, v0
	ds_read_b32 v114, v112
	v_cndmask_b32_e32 v113, v113, v50, vcc
	v_cmp_eq_u32_e32 vcc, 23, v0
	v_cndmask_b32_e32 v113, v113, v51, vcc
	v_cmp_eq_u32_e32 vcc, 24, v0
	;; [unrolled: 2-line block ×3, first 2 shown]
	v_cndmask_b32_e32 v113, v113, v53, vcc
	s_waitcnt lgkmcnt(0)
	v_mul_f32_e32 v113, v113, v114
	s_cbranch_execz .LBB25_117
	s_branch .LBB25_118
.LBB25_116:
                                        ; implicit-def: $vgpr113
.LBB25_117:
	ds_read_b32 v113, v112
.LBB25_118:
	s_and_saveexec_b64 s[6:7], s[2:3]
	s_cbranch_execz .LBB25_128
; %bb.119:
	v_subrev_u32_e32 v116, 18, v0
	v_mov_b32_e32 v114, 17
	v_subrev_u32_e32 v115, 17, v0
	v_cmp_lt_u32_e32 vcc, 6, v116
	s_and_saveexec_b64 s[2:3], vcc
	s_cbranch_execz .LBB25_123
; %bb.120:
	v_and_b32_e32 v114, -8, v115
	v_sub_u32_e32 v116, 0, v114
	s_mov_b64 s[8:9], 24
	s_movk_i32 s12, 0xb4
	s_mov_b64 s[10:11], 0
.LBB25_121:                             ; =>This Inner Loop Header: Depth=1
	s_add_i32 s13, s8, -7
	v_mov_b32_e32 v114, s12
	s_add_i32 s14, s8, -6
	s_set_gpr_idx_on s13, gpr_idx(SRC0)
	v_mov_b32_e32 v123, v28
	s_set_gpr_idx_off
	ds_read2_b32 v[117:118], v114 offset1:1
	s_add_i32 s15, s8, -5
	s_set_gpr_idx_on s14, gpr_idx(SRC0)
	v_mov_b32_e32 v124, v28
	s_set_gpr_idx_off
	s_add_i32 s16, s8, -4
	s_set_gpr_idx_on s15, gpr_idx(SRC0)
	v_mov_b32_e32 v125, v28
	s_set_gpr_idx_off
	ds_read2_b32 v[119:120], v114 offset0:2 offset1:3
	s_add_i32 s17, s8, -3
	s_set_gpr_idx_on s16, gpr_idx(SRC0)
	v_mov_b32_e32 v126, v28
	s_set_gpr_idx_off
	s_add_i32 s18, s8, -2
	s_set_gpr_idx_on s17, gpr_idx(SRC0)
	v_mov_b32_e32 v127, v28
	s_set_gpr_idx_off
	ds_read2_b32 v[121:122], v114 offset0:4 offset1:5
	s_add_i32 s19, s8, -1
	s_waitcnt lgkmcnt(2)
	v_fmac_f32_e32 v113, v123, v117
	s_set_gpr_idx_on s18, gpr_idx(SRC0)
	v_mov_b32_e32 v123, v28
	s_set_gpr_idx_off
	v_fmac_f32_e32 v113, v124, v118
	s_set_gpr_idx_on s19, gpr_idx(SRC0)
	v_mov_b32_e32 v124, v28
	s_set_gpr_idx_off
	ds_read2_b32 v[117:118], v114 offset0:6 offset1:7
	s_waitcnt lgkmcnt(2)
	v_fmac_f32_e32 v113, v125, v119
	s_set_gpr_idx_on s8, gpr_idx(SRC0)
	v_mov_b32_e32 v119, v28
	s_set_gpr_idx_off
	v_fmac_f32_e32 v113, v126, v120
	s_add_u32 s8, s8, 8
	s_waitcnt lgkmcnt(1)
	v_fmac_f32_e32 v113, v127, v121
	v_add_u32_e32 v114, s8, v116
	v_fmac_f32_e32 v113, v123, v122
	s_addc_u32 s9, s9, 0
	s_add_i32 s12, s12, 32
	s_add_i32 s13, s8, -7
	v_cmp_eq_u32_e32 vcc, 24, v114
	s_waitcnt lgkmcnt(0)
	v_fmac_f32_e32 v113, v124, v117
	v_mov_b32_e32 v114, s13
	s_or_b64 s[10:11], vcc, s[10:11]
	v_fmac_f32_e32 v113, v119, v118
	s_andn2_b64 exec, exec, s[10:11]
	s_cbranch_execnz .LBB25_121
; %bb.122:
	s_or_b64 exec, exec, s[10:11]
.LBB25_123:
	s_or_b64 exec, exec, s[2:3]
	v_and_b32_e32 v54, 7, v115
	v_cmp_ne_u32_e32 vcc, 0, v54
	s_and_saveexec_b64 s[8:9], vcc
	s_cbranch_execz .LBB25_127
; %bb.124:
	v_mov_b32_e32 v55, 0x70
	v_lshl_add_u32 v55, v114, 2, v55
	v_mov_b32_e32 v56, 0
	s_mov_b64 s[10:11], 0
.LBB25_125:                             ; =>This Inner Loop Header: Depth=1
	v_cmp_eq_u32_e32 vcc, 1, v114
	v_cndmask_b32_e32 v57, v28, v29, vcc
	v_add_u32_e32 v54, -1, v54
	v_cmp_eq_u32_e32 vcc, 2, v114
	v_cndmask_b32_e32 v57, v57, v30, vcc
	v_cmp_eq_u32_e32 vcc, 0, v54
	v_cmp_eq_u32_e64 s[2:3], 3, v114
	v_cndmask_b32_e64 v57, v57, v31, s[2:3]
	s_or_b64 s[10:11], vcc, s[10:11]
	v_cmp_eq_u32_e32 vcc, 4, v114
	v_cndmask_b32_e32 v57, v57, v32, vcc
	v_cmp_eq_u32_e32 vcc, 5, v114
	v_cndmask_b32_e32 v57, v57, v33, vcc
	;; [unrolled: 2-line block ×17, first 2 shown]
	v_cmp_eq_u32_e32 vcc, 21, v114
	ds_read_b32 v58, v55
	v_cndmask_b32_e32 v57, v57, v49, vcc
	v_cmp_eq_u32_e32 vcc, 22, v114
	v_cndmask_b32_e32 v57, v57, v50, vcc
	v_cmp_eq_u32_e32 vcc, 23, v114
	;; [unrolled: 2-line block ×4, first 2 shown]
	v_add_co_u32_e64 v114, s[2:3], 1, v114
	v_cndmask_b32_e32 v57, v57, v53, vcc
	v_add_u32_e32 v55, 4, v55
	v_addc_co_u32_e64 v56, s[2:3], 0, v56, s[2:3]
	s_waitcnt lgkmcnt(0)
	v_fmac_f32_e32 v113, v57, v58
	s_andn2_b64 exec, exec, s[10:11]
	s_cbranch_execnz .LBB25_125
; %bb.126:
	s_or_b64 exec, exec, s[10:11]
.LBB25_127:
	s_or_b64 exec, exec, s[8:9]
.LBB25_128:
	s_or_b64 exec, exec, s[6:7]
	v_mov_b32_e32 v44, 0
	ds_read_b32 v44, v44 offset:64
	s_waitcnt lgkmcnt(0)
	v_mul_f32_e32 v44, v113, v44
.LBB25_129:
	s_or_b64 exec, exec, s[4:5]
	v_cmp_lt_u32_e64 s[2:3], 15, v0
	ds_write_b32 v112, v43
	s_waitcnt lgkmcnt(0)
	; wave barrier
	s_and_saveexec_b64 s[4:5], s[2:3]
	s_cbranch_execz .LBB25_145
; %bb.130:
	s_andn2_b64 vcc, exec, s[54:55]
	s_cbranch_vccnz .LBB25_132
; %bb.131:
	v_cmp_eq_u32_e32 vcc, 1, v0
	v_cndmask_b32_e32 v113, v28, v29, vcc
	v_cmp_eq_u32_e32 vcc, 2, v0
	v_cndmask_b32_e32 v113, v113, v30, vcc
	;; [unrolled: 2-line block ×21, first 2 shown]
	v_cmp_eq_u32_e32 vcc, 22, v0
	ds_read_b32 v114, v112
	v_cndmask_b32_e32 v113, v113, v50, vcc
	v_cmp_eq_u32_e32 vcc, 23, v0
	v_cndmask_b32_e32 v113, v113, v51, vcc
	v_cmp_eq_u32_e32 vcc, 24, v0
	;; [unrolled: 2-line block ×3, first 2 shown]
	v_cndmask_b32_e32 v113, v113, v53, vcc
	s_waitcnt lgkmcnt(0)
	v_mul_f32_e32 v113, v113, v114
	s_cbranch_execz .LBB25_133
	s_branch .LBB25_134
.LBB25_132:
                                        ; implicit-def: $vgpr113
.LBB25_133:
	ds_read_b32 v113, v112
.LBB25_134:
	s_and_saveexec_b64 s[6:7], s[0:1]
	s_cbranch_execz .LBB25_144
; %bb.135:
	v_subrev_u32_e32 v114, 17, v0
	v_cmp_lt_u32_e32 vcc, 6, v114
	v_mov_b32_e32 v114, 16
	s_and_saveexec_b64 s[0:1], vcc
	s_cbranch_execz .LBB25_139
; %bb.136:
	v_and_b32_e32 v114, 24, v0
	v_sub_u32_e32 v115, 0, v114
	s_mov_b64 s[8:9], 23
	s_movk_i32 s12, 0xb0
	s_mov_b64 s[10:11], 0
.LBB25_137:                             ; =>This Inner Loop Header: Depth=1
	s_add_i32 s13, s8, -7
	v_mov_b32_e32 v114, s12
	s_add_i32 s14, s8, -6
	s_set_gpr_idx_on s13, gpr_idx(SRC0)
	v_mov_b32_e32 v124, v28
	s_set_gpr_idx_off
	s_add_i32 s15, s8, -5
	ds_read_b128 v[116:119], v114
	ds_read_b128 v[120:123], v114 offset:16
	s_set_gpr_idx_on s14, gpr_idx(SRC0)
	v_mov_b32_e32 v114, v28
	s_set_gpr_idx_off
	s_add_i32 s16, s8, -4
	s_set_gpr_idx_on s15, gpr_idx(SRC0)
	v_mov_b32_e32 v125, v28
	s_set_gpr_idx_off
	s_add_i32 s17, s8, -3
	;; [unrolled: 4-line block ×4, first 2 shown]
	s_waitcnt lgkmcnt(1)
	v_fmac_f32_e32 v113, v124, v116
	s_set_gpr_idx_on s18, gpr_idx(SRC0)
	v_mov_b32_e32 v116, v28
	s_set_gpr_idx_off
	v_fmac_f32_e32 v113, v114, v117
	s_set_gpr_idx_on s19, gpr_idx(SRC0)
	v_mov_b32_e32 v117, v28
	s_set_gpr_idx_off
	;; [unrolled: 4-line block ×3, first 2 shown]
	v_fmac_f32_e32 v113, v126, v119
	s_add_u32 s8, s8, 8
	s_waitcnt lgkmcnt(0)
	v_fmac_f32_e32 v113, v127, v120
	v_add_u32_e32 v114, s8, v115
	v_fmac_f32_e32 v113, v116, v121
	s_addc_u32 s9, s9, 0
	s_add_i32 s12, s12, 32
	s_add_i32 s13, s8, -7
	v_cmp_eq_u32_e32 vcc, 7, v114
	v_fmac_f32_e32 v113, v117, v122
	v_mov_b32_e32 v114, s13
	s_or_b64 s[10:11], vcc, s[10:11]
	v_fmac_f32_e32 v113, v118, v123
	s_andn2_b64 exec, exec, s[10:11]
	s_cbranch_execnz .LBB25_137
; %bb.138:
	s_or_b64 exec, exec, s[10:11]
.LBB25_139:
	s_or_b64 exec, exec, s[0:1]
	v_and_b32_e32 v54, 7, v0
	v_cmp_ne_u32_e32 vcc, 0, v54
	s_and_saveexec_b64 s[8:9], vcc
	s_cbranch_execz .LBB25_143
; %bb.140:
	v_mov_b32_e32 v55, 0x70
	v_lshl_add_u32 v55, v114, 2, v55
	v_mov_b32_e32 v56, 0
	s_mov_b64 s[10:11], 0
.LBB25_141:                             ; =>This Inner Loop Header: Depth=1
	v_cmp_eq_u32_e32 vcc, 1, v114
	v_cndmask_b32_e32 v57, v28, v29, vcc
	v_add_u32_e32 v54, -1, v54
	v_cmp_eq_u32_e32 vcc, 2, v114
	v_cndmask_b32_e32 v57, v57, v30, vcc
	v_cmp_eq_u32_e32 vcc, 0, v54
	v_cmp_eq_u32_e64 s[0:1], 3, v114
	v_cndmask_b32_e64 v57, v57, v31, s[0:1]
	s_or_b64 s[10:11], vcc, s[10:11]
	v_cmp_eq_u32_e32 vcc, 4, v114
	v_cndmask_b32_e32 v57, v57, v32, vcc
	v_cmp_eq_u32_e32 vcc, 5, v114
	v_cndmask_b32_e32 v57, v57, v33, vcc
	;; [unrolled: 2-line block ×17, first 2 shown]
	v_cmp_eq_u32_e32 vcc, 21, v114
	ds_read_b32 v58, v55
	v_cndmask_b32_e32 v57, v57, v49, vcc
	v_cmp_eq_u32_e32 vcc, 22, v114
	v_cndmask_b32_e32 v57, v57, v50, vcc
	v_cmp_eq_u32_e32 vcc, 23, v114
	v_cndmask_b32_e32 v57, v57, v51, vcc
	v_cmp_eq_u32_e32 vcc, 24, v114
	v_cndmask_b32_e32 v57, v57, v52, vcc
	v_cmp_eq_u32_e32 vcc, 25, v114
	v_add_co_u32_e64 v114, s[0:1], 1, v114
	v_cndmask_b32_e32 v57, v57, v53, vcc
	v_add_u32_e32 v55, 4, v55
	v_addc_co_u32_e64 v56, s[0:1], 0, v56, s[0:1]
	s_waitcnt lgkmcnt(0)
	v_fmac_f32_e32 v113, v57, v58
	s_andn2_b64 exec, exec, s[10:11]
	s_cbranch_execnz .LBB25_141
; %bb.142:
	s_or_b64 exec, exec, s[10:11]
.LBB25_143:
	s_or_b64 exec, exec, s[8:9]
.LBB25_144:
	s_or_b64 exec, exec, s[6:7]
	v_mov_b32_e32 v43, 0
	ds_read_b32 v43, v43 offset:60
	s_waitcnt lgkmcnt(0)
	v_mul_f32_e32 v43, v113, v43
.LBB25_145:
	s_or_b64 exec, exec, s[4:5]
	v_cmp_lt_u32_e64 s[0:1], 14, v0
	ds_write_b32 v112, v42
	s_waitcnt lgkmcnt(0)
	; wave barrier
	s_and_saveexec_b64 s[4:5], s[0:1]
	s_cbranch_execz .LBB25_161
; %bb.146:
	s_andn2_b64 vcc, exec, s[54:55]
	s_cbranch_vccnz .LBB25_148
; %bb.147:
	v_cmp_eq_u32_e32 vcc, 1, v0
	v_cndmask_b32_e32 v113, v28, v29, vcc
	v_cmp_eq_u32_e32 vcc, 2, v0
	v_cndmask_b32_e32 v113, v113, v30, vcc
	;; [unrolled: 2-line block ×21, first 2 shown]
	v_cmp_eq_u32_e32 vcc, 22, v0
	ds_read_b32 v114, v112
	v_cndmask_b32_e32 v113, v113, v50, vcc
	v_cmp_eq_u32_e32 vcc, 23, v0
	v_cndmask_b32_e32 v113, v113, v51, vcc
	v_cmp_eq_u32_e32 vcc, 24, v0
	;; [unrolled: 2-line block ×3, first 2 shown]
	v_cndmask_b32_e32 v113, v113, v53, vcc
	s_waitcnt lgkmcnt(0)
	v_mul_f32_e32 v113, v113, v114
	s_cbranch_execz .LBB25_149
	s_branch .LBB25_150
.LBB25_148:
                                        ; implicit-def: $vgpr113
.LBB25_149:
	ds_read_b32 v113, v112
.LBB25_150:
	s_and_saveexec_b64 s[6:7], s[2:3]
	s_cbranch_execz .LBB25_160
; %bb.151:
	v_add_u32_e32 v114, -16, v0
	v_add_u32_e32 v115, -15, v0
	v_cmp_lt_u32_e32 vcc, 6, v114
	v_mov_b32_e32 v114, 15
	s_and_saveexec_b64 s[2:3], vcc
	s_cbranch_execz .LBB25_155
; %bb.152:
	v_and_b32_e32 v114, -8, v115
	v_sub_u32_e32 v116, 0, v114
	s_mov_b64 s[8:9], 22
	s_movk_i32 s12, 0xac
	s_mov_b64 s[10:11], 0
.LBB25_153:                             ; =>This Inner Loop Header: Depth=1
	s_add_i32 s13, s8, -7
	v_mov_b32_e32 v114, s12
	s_add_i32 s14, s8, -6
	s_set_gpr_idx_on s13, gpr_idx(SRC0)
	v_mov_b32_e32 v123, v28
	s_set_gpr_idx_off
	ds_read2_b32 v[117:118], v114 offset1:1
	s_add_i32 s15, s8, -5
	s_set_gpr_idx_on s14, gpr_idx(SRC0)
	v_mov_b32_e32 v124, v28
	s_set_gpr_idx_off
	s_add_i32 s16, s8, -4
	s_set_gpr_idx_on s15, gpr_idx(SRC0)
	v_mov_b32_e32 v125, v28
	s_set_gpr_idx_off
	ds_read2_b32 v[119:120], v114 offset0:2 offset1:3
	s_add_i32 s17, s8, -3
	s_set_gpr_idx_on s16, gpr_idx(SRC0)
	v_mov_b32_e32 v126, v28
	s_set_gpr_idx_off
	s_add_i32 s18, s8, -2
	s_set_gpr_idx_on s17, gpr_idx(SRC0)
	v_mov_b32_e32 v127, v28
	s_set_gpr_idx_off
	ds_read2_b32 v[121:122], v114 offset0:4 offset1:5
	s_add_i32 s19, s8, -1
	s_waitcnt lgkmcnt(2)
	v_fmac_f32_e32 v113, v123, v117
	s_set_gpr_idx_on s18, gpr_idx(SRC0)
	v_mov_b32_e32 v123, v28
	s_set_gpr_idx_off
	v_fmac_f32_e32 v113, v124, v118
	s_set_gpr_idx_on s19, gpr_idx(SRC0)
	v_mov_b32_e32 v124, v28
	s_set_gpr_idx_off
	ds_read2_b32 v[117:118], v114 offset0:6 offset1:7
	s_waitcnt lgkmcnt(2)
	v_fmac_f32_e32 v113, v125, v119
	s_set_gpr_idx_on s8, gpr_idx(SRC0)
	v_mov_b32_e32 v119, v28
	s_set_gpr_idx_off
	v_fmac_f32_e32 v113, v126, v120
	s_add_u32 s8, s8, 8
	s_waitcnt lgkmcnt(1)
	v_fmac_f32_e32 v113, v127, v121
	v_add_u32_e32 v114, s8, v116
	v_fmac_f32_e32 v113, v123, v122
	s_addc_u32 s9, s9, 0
	s_add_i32 s12, s12, 32
	s_add_i32 s13, s8, -7
	v_cmp_eq_u32_e32 vcc, 22, v114
	s_waitcnt lgkmcnt(0)
	v_fmac_f32_e32 v113, v124, v117
	v_mov_b32_e32 v114, s13
	s_or_b64 s[10:11], vcc, s[10:11]
	v_fmac_f32_e32 v113, v119, v118
	s_andn2_b64 exec, exec, s[10:11]
	s_cbranch_execnz .LBB25_153
; %bb.154:
	s_or_b64 exec, exec, s[10:11]
.LBB25_155:
	s_or_b64 exec, exec, s[2:3]
	v_and_b32_e32 v54, 7, v115
	v_cmp_ne_u32_e32 vcc, 0, v54
	s_and_saveexec_b64 s[8:9], vcc
	s_cbranch_execz .LBB25_159
; %bb.156:
	v_mov_b32_e32 v55, 0x70
	v_lshl_add_u32 v55, v114, 2, v55
	v_mov_b32_e32 v56, 0
	s_mov_b64 s[10:11], 0
.LBB25_157:                             ; =>This Inner Loop Header: Depth=1
	v_cmp_eq_u32_e32 vcc, 1, v114
	v_cndmask_b32_e32 v57, v28, v29, vcc
	v_add_u32_e32 v54, -1, v54
	v_cmp_eq_u32_e32 vcc, 2, v114
	v_cndmask_b32_e32 v57, v57, v30, vcc
	v_cmp_eq_u32_e32 vcc, 0, v54
	v_cmp_eq_u32_e64 s[2:3], 3, v114
	v_cndmask_b32_e64 v57, v57, v31, s[2:3]
	s_or_b64 s[10:11], vcc, s[10:11]
	v_cmp_eq_u32_e32 vcc, 4, v114
	v_cndmask_b32_e32 v57, v57, v32, vcc
	v_cmp_eq_u32_e32 vcc, 5, v114
	v_cndmask_b32_e32 v57, v57, v33, vcc
	;; [unrolled: 2-line block ×17, first 2 shown]
	v_cmp_eq_u32_e32 vcc, 21, v114
	ds_read_b32 v58, v55
	v_cndmask_b32_e32 v57, v57, v49, vcc
	v_cmp_eq_u32_e32 vcc, 22, v114
	v_cndmask_b32_e32 v57, v57, v50, vcc
	v_cmp_eq_u32_e32 vcc, 23, v114
	;; [unrolled: 2-line block ×4, first 2 shown]
	v_add_co_u32_e64 v114, s[2:3], 1, v114
	v_cndmask_b32_e32 v57, v57, v53, vcc
	v_add_u32_e32 v55, 4, v55
	v_addc_co_u32_e64 v56, s[2:3], 0, v56, s[2:3]
	s_waitcnt lgkmcnt(0)
	v_fmac_f32_e32 v113, v57, v58
	s_andn2_b64 exec, exec, s[10:11]
	s_cbranch_execnz .LBB25_157
; %bb.158:
	s_or_b64 exec, exec, s[10:11]
.LBB25_159:
	s_or_b64 exec, exec, s[8:9]
.LBB25_160:
	s_or_b64 exec, exec, s[6:7]
	v_mov_b32_e32 v42, 0
	ds_read_b32 v42, v42 offset:56
	s_waitcnt lgkmcnt(0)
	v_mul_f32_e32 v42, v113, v42
.LBB25_161:
	s_or_b64 exec, exec, s[4:5]
	v_cmp_lt_u32_e64 s[2:3], 13, v0
	ds_write_b32 v112, v41
	s_waitcnt lgkmcnt(0)
	; wave barrier
	s_and_saveexec_b64 s[4:5], s[2:3]
	s_cbranch_execz .LBB25_177
; %bb.162:
	s_andn2_b64 vcc, exec, s[54:55]
	s_cbranch_vccnz .LBB25_164
; %bb.163:
	v_cmp_eq_u32_e32 vcc, 1, v0
	v_cndmask_b32_e32 v113, v28, v29, vcc
	v_cmp_eq_u32_e32 vcc, 2, v0
	v_cndmask_b32_e32 v113, v113, v30, vcc
	;; [unrolled: 2-line block ×21, first 2 shown]
	v_cmp_eq_u32_e32 vcc, 22, v0
	ds_read_b32 v114, v112
	v_cndmask_b32_e32 v113, v113, v50, vcc
	v_cmp_eq_u32_e32 vcc, 23, v0
	v_cndmask_b32_e32 v113, v113, v51, vcc
	v_cmp_eq_u32_e32 vcc, 24, v0
	;; [unrolled: 2-line block ×3, first 2 shown]
	v_cndmask_b32_e32 v113, v113, v53, vcc
	s_waitcnt lgkmcnt(0)
	v_mul_f32_e32 v113, v113, v114
	s_cbranch_execz .LBB25_165
	s_branch .LBB25_166
.LBB25_164:
                                        ; implicit-def: $vgpr113
.LBB25_165:
	ds_read_b32 v113, v112
.LBB25_166:
	s_and_saveexec_b64 s[6:7], s[0:1]
	s_cbranch_execz .LBB25_176
; %bb.167:
	v_add_u32_e32 v114, -15, v0
	v_add_u32_e32 v115, -14, v0
	v_cmp_lt_u32_e32 vcc, 6, v114
	v_mov_b32_e32 v114, 14
	s_and_saveexec_b64 s[0:1], vcc
	s_cbranch_execz .LBB25_171
; %bb.168:
	v_and_b32_e32 v114, -8, v115
	v_sub_u32_e32 v116, 0, v114
	s_mov_b64 s[8:9], 21
	s_movk_i32 s12, 0xa8
	s_mov_b64 s[10:11], 0
.LBB25_169:                             ; =>This Inner Loop Header: Depth=1
	s_add_i32 s13, s8, -7
	v_mov_b32_e32 v114, s12
	s_add_i32 s14, s8, -6
	s_set_gpr_idx_on s13, gpr_idx(SRC0)
	v_mov_b32_e32 v125, v28
	s_set_gpr_idx_off
	ds_read2_b64 v[117:120], v114 offset1:1
	s_add_i32 s15, s8, -5
	s_set_gpr_idx_on s14, gpr_idx(SRC0)
	v_mov_b32_e32 v126, v28
	s_set_gpr_idx_off
	s_add_i32 s16, s8, -4
	s_set_gpr_idx_on s15, gpr_idx(SRC0)
	v_mov_b32_e32 v127, v28
	s_set_gpr_idx_off
	;; [unrolled: 4-line block ×4, first 2 shown]
	ds_read2_b64 v[121:124], v114 offset0:2 offset1:3
	s_add_i32 s19, s8, -1
	s_waitcnt lgkmcnt(1)
	v_fmac_f32_e32 v113, v125, v117
	s_set_gpr_idx_on s18, gpr_idx(SRC0)
	v_mov_b32_e32 v117, v28
	s_set_gpr_idx_off
	v_fmac_f32_e32 v113, v126, v118
	s_set_gpr_idx_on s19, gpr_idx(SRC0)
	v_mov_b32_e32 v118, v28
	s_set_gpr_idx_off
	;; [unrolled: 4-line block ×3, first 2 shown]
	v_fmac_f32_e32 v113, v128, v120
	s_add_u32 s8, s8, 8
	s_waitcnt lgkmcnt(0)
	v_fmac_f32_e32 v113, v129, v121
	v_add_u32_e32 v114, s8, v116
	v_fmac_f32_e32 v113, v117, v122
	s_addc_u32 s9, s9, 0
	s_add_i32 s12, s12, 32
	s_add_i32 s13, s8, -7
	v_cmp_eq_u32_e32 vcc, 21, v114
	v_fmac_f32_e32 v113, v118, v123
	v_mov_b32_e32 v114, s13
	s_or_b64 s[10:11], vcc, s[10:11]
	v_fmac_f32_e32 v113, v119, v124
	s_andn2_b64 exec, exec, s[10:11]
	s_cbranch_execnz .LBB25_169
; %bb.170:
	s_or_b64 exec, exec, s[10:11]
.LBB25_171:
	s_or_b64 exec, exec, s[0:1]
	v_and_b32_e32 v54, 7, v115
	v_cmp_ne_u32_e32 vcc, 0, v54
	s_and_saveexec_b64 s[8:9], vcc
	s_cbranch_execz .LBB25_175
; %bb.172:
	v_mov_b32_e32 v55, 0x70
	v_lshl_add_u32 v55, v114, 2, v55
	v_mov_b32_e32 v56, 0
	s_mov_b64 s[10:11], 0
.LBB25_173:                             ; =>This Inner Loop Header: Depth=1
	v_cmp_eq_u32_e32 vcc, 1, v114
	v_cndmask_b32_e32 v57, v28, v29, vcc
	v_add_u32_e32 v54, -1, v54
	v_cmp_eq_u32_e32 vcc, 2, v114
	v_cndmask_b32_e32 v57, v57, v30, vcc
	v_cmp_eq_u32_e32 vcc, 0, v54
	v_cmp_eq_u32_e64 s[0:1], 3, v114
	v_cndmask_b32_e64 v57, v57, v31, s[0:1]
	s_or_b64 s[10:11], vcc, s[10:11]
	v_cmp_eq_u32_e32 vcc, 4, v114
	v_cndmask_b32_e32 v57, v57, v32, vcc
	v_cmp_eq_u32_e32 vcc, 5, v114
	v_cndmask_b32_e32 v57, v57, v33, vcc
	;; [unrolled: 2-line block ×17, first 2 shown]
	v_cmp_eq_u32_e32 vcc, 21, v114
	ds_read_b32 v58, v55
	v_cndmask_b32_e32 v57, v57, v49, vcc
	v_cmp_eq_u32_e32 vcc, 22, v114
	v_cndmask_b32_e32 v57, v57, v50, vcc
	v_cmp_eq_u32_e32 vcc, 23, v114
	v_cndmask_b32_e32 v57, v57, v51, vcc
	v_cmp_eq_u32_e32 vcc, 24, v114
	v_cndmask_b32_e32 v57, v57, v52, vcc
	v_cmp_eq_u32_e32 vcc, 25, v114
	v_add_co_u32_e64 v114, s[0:1], 1, v114
	v_cndmask_b32_e32 v57, v57, v53, vcc
	v_add_u32_e32 v55, 4, v55
	v_addc_co_u32_e64 v56, s[0:1], 0, v56, s[0:1]
	s_waitcnt lgkmcnt(0)
	v_fmac_f32_e32 v113, v57, v58
	s_andn2_b64 exec, exec, s[10:11]
	s_cbranch_execnz .LBB25_173
; %bb.174:
	s_or_b64 exec, exec, s[10:11]
.LBB25_175:
	s_or_b64 exec, exec, s[8:9]
.LBB25_176:
	s_or_b64 exec, exec, s[6:7]
	v_mov_b32_e32 v41, 0
	ds_read_b32 v41, v41 offset:52
	s_waitcnt lgkmcnt(0)
	v_mul_f32_e32 v41, v113, v41
.LBB25_177:
	s_or_b64 exec, exec, s[4:5]
	v_cmp_lt_u32_e64 s[0:1], 12, v0
	ds_write_b32 v112, v40
	s_waitcnt lgkmcnt(0)
	; wave barrier
	s_and_saveexec_b64 s[4:5], s[0:1]
	s_cbranch_execz .LBB25_193
; %bb.178:
	s_andn2_b64 vcc, exec, s[54:55]
	s_cbranch_vccnz .LBB25_180
; %bb.179:
	v_cmp_eq_u32_e32 vcc, 1, v0
	v_cndmask_b32_e32 v113, v28, v29, vcc
	v_cmp_eq_u32_e32 vcc, 2, v0
	v_cndmask_b32_e32 v113, v113, v30, vcc
	v_cmp_eq_u32_e32 vcc, 3, v0
	v_cndmask_b32_e32 v113, v113, v31, vcc
	v_cmp_eq_u32_e32 vcc, 4, v0
	v_cndmask_b32_e32 v113, v113, v32, vcc
	v_cmp_eq_u32_e32 vcc, 5, v0
	v_cndmask_b32_e32 v113, v113, v33, vcc
	v_cmp_eq_u32_e32 vcc, 6, v0
	v_cndmask_b32_e32 v113, v113, v34, vcc
	v_cmp_eq_u32_e32 vcc, 7, v0
	v_cndmask_b32_e32 v113, v113, v35, vcc
	v_cmp_eq_u32_e32 vcc, 8, v0
	v_cndmask_b32_e32 v113, v113, v36, vcc
	v_cmp_eq_u32_e32 vcc, 9, v0
	v_cndmask_b32_e32 v113, v113, v37, vcc
	v_cmp_eq_u32_e32 vcc, 10, v0
	v_cndmask_b32_e32 v113, v113, v38, vcc
	v_cmp_eq_u32_e32 vcc, 11, v0
	v_cndmask_b32_e32 v113, v113, v39, vcc
	v_cmp_eq_u32_e32 vcc, 12, v0
	v_cndmask_b32_e32 v113, v113, v40, vcc
	v_cmp_eq_u32_e32 vcc, 13, v0
	v_cndmask_b32_e32 v113, v113, v41, vcc
	v_cmp_eq_u32_e32 vcc, 14, v0
	v_cndmask_b32_e32 v113, v113, v42, vcc
	v_cmp_eq_u32_e32 vcc, 15, v0
	v_cndmask_b32_e32 v113, v113, v43, vcc
	v_cmp_eq_u32_e32 vcc, 16, v0
	v_cndmask_b32_e32 v113, v113, v44, vcc
	v_cmp_eq_u32_e32 vcc, 17, v0
	v_cndmask_b32_e32 v113, v113, v45, vcc
	v_cmp_eq_u32_e32 vcc, 18, v0
	v_cndmask_b32_e32 v113, v113, v46, vcc
	v_cmp_eq_u32_e32 vcc, 19, v0
	v_cndmask_b32_e32 v113, v113, v47, vcc
	v_cmp_eq_u32_e32 vcc, 20, v0
	v_cndmask_b32_e32 v113, v113, v48, vcc
	v_cmp_eq_u32_e32 vcc, 21, v0
	v_cndmask_b32_e32 v113, v113, v49, vcc
	v_cmp_eq_u32_e32 vcc, 22, v0
	ds_read_b32 v114, v112
	v_cndmask_b32_e32 v113, v113, v50, vcc
	v_cmp_eq_u32_e32 vcc, 23, v0
	v_cndmask_b32_e32 v113, v113, v51, vcc
	v_cmp_eq_u32_e32 vcc, 24, v0
	;; [unrolled: 2-line block ×3, first 2 shown]
	v_cndmask_b32_e32 v113, v113, v53, vcc
	s_waitcnt lgkmcnt(0)
	v_mul_f32_e32 v113, v113, v114
	s_cbranch_execz .LBB25_181
	s_branch .LBB25_182
.LBB25_180:
                                        ; implicit-def: $vgpr113
.LBB25_181:
	ds_read_b32 v113, v112
.LBB25_182:
	s_and_saveexec_b64 s[6:7], s[2:3]
	s_cbranch_execz .LBB25_192
; %bb.183:
	v_add_u32_e32 v114, -14, v0
	v_add_u32_e32 v115, -13, v0
	v_cmp_lt_u32_e32 vcc, 6, v114
	v_mov_b32_e32 v114, 13
	s_and_saveexec_b64 s[2:3], vcc
	s_cbranch_execz .LBB25_187
; %bb.184:
	v_and_b32_e32 v114, -8, v115
	v_sub_u32_e32 v116, 0, v114
	s_mov_b64 s[8:9], 20
	s_movk_i32 s12, 0xa4
	s_mov_b64 s[10:11], 0
.LBB25_185:                             ; =>This Inner Loop Header: Depth=1
	s_add_i32 s13, s8, -7
	v_mov_b32_e32 v114, s12
	s_add_i32 s14, s8, -6
	s_set_gpr_idx_on s13, gpr_idx(SRC0)
	v_mov_b32_e32 v123, v28
	s_set_gpr_idx_off
	ds_read2_b32 v[117:118], v114 offset1:1
	s_add_i32 s15, s8, -5
	s_set_gpr_idx_on s14, gpr_idx(SRC0)
	v_mov_b32_e32 v124, v28
	s_set_gpr_idx_off
	s_add_i32 s16, s8, -4
	s_set_gpr_idx_on s15, gpr_idx(SRC0)
	v_mov_b32_e32 v125, v28
	s_set_gpr_idx_off
	ds_read2_b32 v[119:120], v114 offset0:2 offset1:3
	s_add_i32 s17, s8, -3
	s_set_gpr_idx_on s16, gpr_idx(SRC0)
	v_mov_b32_e32 v126, v28
	s_set_gpr_idx_off
	s_add_i32 s18, s8, -2
	s_set_gpr_idx_on s17, gpr_idx(SRC0)
	v_mov_b32_e32 v127, v28
	s_set_gpr_idx_off
	ds_read2_b32 v[121:122], v114 offset0:4 offset1:5
	s_add_i32 s19, s8, -1
	s_waitcnt lgkmcnt(2)
	v_fmac_f32_e32 v113, v123, v117
	s_set_gpr_idx_on s18, gpr_idx(SRC0)
	v_mov_b32_e32 v123, v28
	s_set_gpr_idx_off
	v_fmac_f32_e32 v113, v124, v118
	s_set_gpr_idx_on s19, gpr_idx(SRC0)
	v_mov_b32_e32 v124, v28
	s_set_gpr_idx_off
	ds_read2_b32 v[117:118], v114 offset0:6 offset1:7
	s_waitcnt lgkmcnt(2)
	v_fmac_f32_e32 v113, v125, v119
	s_set_gpr_idx_on s8, gpr_idx(SRC0)
	v_mov_b32_e32 v119, v28
	s_set_gpr_idx_off
	v_fmac_f32_e32 v113, v126, v120
	s_add_u32 s8, s8, 8
	s_waitcnt lgkmcnt(1)
	v_fmac_f32_e32 v113, v127, v121
	v_add_u32_e32 v114, s8, v116
	v_fmac_f32_e32 v113, v123, v122
	s_addc_u32 s9, s9, 0
	s_add_i32 s12, s12, 32
	s_add_i32 s13, s8, -7
	v_cmp_eq_u32_e32 vcc, 20, v114
	s_waitcnt lgkmcnt(0)
	v_fmac_f32_e32 v113, v124, v117
	v_mov_b32_e32 v114, s13
	s_or_b64 s[10:11], vcc, s[10:11]
	v_fmac_f32_e32 v113, v119, v118
	s_andn2_b64 exec, exec, s[10:11]
	s_cbranch_execnz .LBB25_185
; %bb.186:
	s_or_b64 exec, exec, s[10:11]
.LBB25_187:
	s_or_b64 exec, exec, s[2:3]
	v_and_b32_e32 v54, 7, v115
	v_cmp_ne_u32_e32 vcc, 0, v54
	s_and_saveexec_b64 s[8:9], vcc
	s_cbranch_execz .LBB25_191
; %bb.188:
	v_mov_b32_e32 v55, 0x70
	v_lshl_add_u32 v55, v114, 2, v55
	v_mov_b32_e32 v56, 0
	s_mov_b64 s[10:11], 0
.LBB25_189:                             ; =>This Inner Loop Header: Depth=1
	v_cmp_eq_u32_e32 vcc, 1, v114
	v_cndmask_b32_e32 v57, v28, v29, vcc
	v_add_u32_e32 v54, -1, v54
	v_cmp_eq_u32_e32 vcc, 2, v114
	v_cndmask_b32_e32 v57, v57, v30, vcc
	v_cmp_eq_u32_e32 vcc, 0, v54
	v_cmp_eq_u32_e64 s[2:3], 3, v114
	v_cndmask_b32_e64 v57, v57, v31, s[2:3]
	s_or_b64 s[10:11], vcc, s[10:11]
	v_cmp_eq_u32_e32 vcc, 4, v114
	v_cndmask_b32_e32 v57, v57, v32, vcc
	v_cmp_eq_u32_e32 vcc, 5, v114
	v_cndmask_b32_e32 v57, v57, v33, vcc
	;; [unrolled: 2-line block ×17, first 2 shown]
	v_cmp_eq_u32_e32 vcc, 21, v114
	ds_read_b32 v58, v55
	v_cndmask_b32_e32 v57, v57, v49, vcc
	v_cmp_eq_u32_e32 vcc, 22, v114
	v_cndmask_b32_e32 v57, v57, v50, vcc
	v_cmp_eq_u32_e32 vcc, 23, v114
	v_cndmask_b32_e32 v57, v57, v51, vcc
	v_cmp_eq_u32_e32 vcc, 24, v114
	v_cndmask_b32_e32 v57, v57, v52, vcc
	v_cmp_eq_u32_e32 vcc, 25, v114
	v_add_co_u32_e64 v114, s[2:3], 1, v114
	v_cndmask_b32_e32 v57, v57, v53, vcc
	v_add_u32_e32 v55, 4, v55
	v_addc_co_u32_e64 v56, s[2:3], 0, v56, s[2:3]
	s_waitcnt lgkmcnt(0)
	v_fmac_f32_e32 v113, v57, v58
	s_andn2_b64 exec, exec, s[10:11]
	s_cbranch_execnz .LBB25_189
; %bb.190:
	s_or_b64 exec, exec, s[10:11]
.LBB25_191:
	s_or_b64 exec, exec, s[8:9]
.LBB25_192:
	s_or_b64 exec, exec, s[6:7]
	v_mov_b32_e32 v40, 0
	ds_read_b32 v40, v40 offset:48
	s_waitcnt lgkmcnt(0)
	v_mul_f32_e32 v40, v113, v40
.LBB25_193:
	s_or_b64 exec, exec, s[4:5]
	v_cmp_lt_u32_e64 s[2:3], 11, v0
	ds_write_b32 v112, v39
	s_waitcnt lgkmcnt(0)
	; wave barrier
	s_and_saveexec_b64 s[4:5], s[2:3]
	s_cbranch_execz .LBB25_209
; %bb.194:
	s_andn2_b64 vcc, exec, s[54:55]
	s_cbranch_vccnz .LBB25_196
; %bb.195:
	v_cmp_eq_u32_e32 vcc, 1, v0
	v_cndmask_b32_e32 v113, v28, v29, vcc
	v_cmp_eq_u32_e32 vcc, 2, v0
	v_cndmask_b32_e32 v113, v113, v30, vcc
	;; [unrolled: 2-line block ×21, first 2 shown]
	v_cmp_eq_u32_e32 vcc, 22, v0
	ds_read_b32 v114, v112
	v_cndmask_b32_e32 v113, v113, v50, vcc
	v_cmp_eq_u32_e32 vcc, 23, v0
	v_cndmask_b32_e32 v113, v113, v51, vcc
	v_cmp_eq_u32_e32 vcc, 24, v0
	;; [unrolled: 2-line block ×3, first 2 shown]
	v_cndmask_b32_e32 v113, v113, v53, vcc
	s_waitcnt lgkmcnt(0)
	v_mul_f32_e32 v113, v113, v114
	s_cbranch_execz .LBB25_197
	s_branch .LBB25_198
.LBB25_196:
                                        ; implicit-def: $vgpr113
.LBB25_197:
	ds_read_b32 v113, v112
.LBB25_198:
	s_and_saveexec_b64 s[6:7], s[0:1]
	s_cbranch_execz .LBB25_208
; %bb.199:
	v_add_u32_e32 v114, -13, v0
	v_add_u32_e32 v115, -12, v0
	v_cmp_lt_u32_e32 vcc, 6, v114
	v_mov_b32_e32 v114, 12
	s_and_saveexec_b64 s[0:1], vcc
	s_cbranch_execz .LBB25_203
; %bb.200:
	v_and_b32_e32 v114, -8, v115
	v_sub_u32_e32 v116, 0, v114
	s_mov_b64 s[8:9], 19
	s_movk_i32 s12, 0xa0
	s_mov_b64 s[10:11], 0
.LBB25_201:                             ; =>This Inner Loop Header: Depth=1
	s_add_i32 s13, s8, -7
	v_mov_b32_e32 v114, s12
	s_add_i32 s14, s8, -6
	s_set_gpr_idx_on s13, gpr_idx(SRC0)
	v_mov_b32_e32 v125, v28
	s_set_gpr_idx_off
	s_add_i32 s15, s8, -5
	ds_read_b128 v[117:120], v114
	ds_read_b128 v[121:124], v114 offset:16
	s_set_gpr_idx_on s14, gpr_idx(SRC0)
	v_mov_b32_e32 v114, v28
	s_set_gpr_idx_off
	s_add_i32 s16, s8, -4
	s_set_gpr_idx_on s15, gpr_idx(SRC0)
	v_mov_b32_e32 v126, v28
	s_set_gpr_idx_off
	s_add_i32 s17, s8, -3
	;; [unrolled: 4-line block ×4, first 2 shown]
	s_waitcnt lgkmcnt(1)
	v_fmac_f32_e32 v113, v125, v117
	s_set_gpr_idx_on s18, gpr_idx(SRC0)
	v_mov_b32_e32 v117, v28
	s_set_gpr_idx_off
	v_fmac_f32_e32 v113, v114, v118
	s_set_gpr_idx_on s19, gpr_idx(SRC0)
	v_mov_b32_e32 v118, v28
	s_set_gpr_idx_off
	;; [unrolled: 4-line block ×3, first 2 shown]
	v_fmac_f32_e32 v113, v127, v120
	s_add_u32 s8, s8, 8
	s_waitcnt lgkmcnt(0)
	v_fmac_f32_e32 v113, v128, v121
	v_add_u32_e32 v114, s8, v116
	v_fmac_f32_e32 v113, v117, v122
	s_addc_u32 s9, s9, 0
	s_add_i32 s12, s12, 32
	s_add_i32 s13, s8, -7
	v_cmp_eq_u32_e32 vcc, 19, v114
	v_fmac_f32_e32 v113, v118, v123
	v_mov_b32_e32 v114, s13
	s_or_b64 s[10:11], vcc, s[10:11]
	v_fmac_f32_e32 v113, v119, v124
	s_andn2_b64 exec, exec, s[10:11]
	s_cbranch_execnz .LBB25_201
; %bb.202:
	s_or_b64 exec, exec, s[10:11]
.LBB25_203:
	s_or_b64 exec, exec, s[0:1]
	v_and_b32_e32 v54, 7, v115
	v_cmp_ne_u32_e32 vcc, 0, v54
	s_and_saveexec_b64 s[8:9], vcc
	s_cbranch_execz .LBB25_207
; %bb.204:
	v_mov_b32_e32 v55, 0x70
	v_lshl_add_u32 v55, v114, 2, v55
	v_mov_b32_e32 v56, 0
	s_mov_b64 s[10:11], 0
.LBB25_205:                             ; =>This Inner Loop Header: Depth=1
	v_cmp_eq_u32_e32 vcc, 1, v114
	v_cndmask_b32_e32 v57, v28, v29, vcc
	v_add_u32_e32 v54, -1, v54
	v_cmp_eq_u32_e32 vcc, 2, v114
	v_cndmask_b32_e32 v57, v57, v30, vcc
	v_cmp_eq_u32_e32 vcc, 0, v54
	v_cmp_eq_u32_e64 s[0:1], 3, v114
	v_cndmask_b32_e64 v57, v57, v31, s[0:1]
	s_or_b64 s[10:11], vcc, s[10:11]
	v_cmp_eq_u32_e32 vcc, 4, v114
	v_cndmask_b32_e32 v57, v57, v32, vcc
	v_cmp_eq_u32_e32 vcc, 5, v114
	v_cndmask_b32_e32 v57, v57, v33, vcc
	;; [unrolled: 2-line block ×17, first 2 shown]
	v_cmp_eq_u32_e32 vcc, 21, v114
	ds_read_b32 v58, v55
	v_cndmask_b32_e32 v57, v57, v49, vcc
	v_cmp_eq_u32_e32 vcc, 22, v114
	v_cndmask_b32_e32 v57, v57, v50, vcc
	v_cmp_eq_u32_e32 vcc, 23, v114
	;; [unrolled: 2-line block ×4, first 2 shown]
	v_add_co_u32_e64 v114, s[0:1], 1, v114
	v_cndmask_b32_e32 v57, v57, v53, vcc
	v_add_u32_e32 v55, 4, v55
	v_addc_co_u32_e64 v56, s[0:1], 0, v56, s[0:1]
	s_waitcnt lgkmcnt(0)
	v_fmac_f32_e32 v113, v57, v58
	s_andn2_b64 exec, exec, s[10:11]
	s_cbranch_execnz .LBB25_205
; %bb.206:
	s_or_b64 exec, exec, s[10:11]
.LBB25_207:
	s_or_b64 exec, exec, s[8:9]
.LBB25_208:
	s_or_b64 exec, exec, s[6:7]
	v_mov_b32_e32 v39, 0
	ds_read_b32 v39, v39 offset:44
	s_waitcnt lgkmcnt(0)
	v_mul_f32_e32 v39, v113, v39
.LBB25_209:
	s_or_b64 exec, exec, s[4:5]
	v_cmp_lt_u32_e64 s[0:1], 10, v0
	ds_write_b32 v112, v38
	s_waitcnt lgkmcnt(0)
	; wave barrier
	s_and_saveexec_b64 s[4:5], s[0:1]
	s_cbranch_execz .LBB25_225
; %bb.210:
	s_andn2_b64 vcc, exec, s[54:55]
	s_cbranch_vccnz .LBB25_212
; %bb.211:
	v_cmp_eq_u32_e32 vcc, 1, v0
	v_cndmask_b32_e32 v113, v28, v29, vcc
	v_cmp_eq_u32_e32 vcc, 2, v0
	v_cndmask_b32_e32 v113, v113, v30, vcc
	;; [unrolled: 2-line block ×21, first 2 shown]
	v_cmp_eq_u32_e32 vcc, 22, v0
	ds_read_b32 v114, v112
	v_cndmask_b32_e32 v113, v113, v50, vcc
	v_cmp_eq_u32_e32 vcc, 23, v0
	v_cndmask_b32_e32 v113, v113, v51, vcc
	v_cmp_eq_u32_e32 vcc, 24, v0
	v_cndmask_b32_e32 v113, v113, v52, vcc
	v_cmp_eq_u32_e32 vcc, 25, v0
	v_cndmask_b32_e32 v113, v113, v53, vcc
	s_waitcnt lgkmcnt(0)
	v_mul_f32_e32 v113, v113, v114
	s_cbranch_execz .LBB25_213
	s_branch .LBB25_214
.LBB25_212:
                                        ; implicit-def: $vgpr113
.LBB25_213:
	ds_read_b32 v113, v112
.LBB25_214:
	s_and_saveexec_b64 s[6:7], s[2:3]
	s_cbranch_execz .LBB25_224
; %bb.215:
	v_add_u32_e32 v114, -12, v0
	v_add_u32_e32 v115, -11, v0
	v_cmp_lt_u32_e32 vcc, 6, v114
	v_mov_b32_e32 v114, 11
	s_and_saveexec_b64 s[2:3], vcc
	s_cbranch_execz .LBB25_219
; %bb.216:
	v_and_b32_e32 v114, -8, v115
	v_sub_u32_e32 v116, 0, v114
	s_mov_b64 s[8:9], 18
	s_movk_i32 s12, 0x9c
	s_mov_b64 s[10:11], 0
.LBB25_217:                             ; =>This Inner Loop Header: Depth=1
	s_add_i32 s13, s8, -7
	v_mov_b32_e32 v114, s12
	s_add_i32 s14, s8, -6
	s_set_gpr_idx_on s13, gpr_idx(SRC0)
	v_mov_b32_e32 v123, v28
	s_set_gpr_idx_off
	ds_read2_b32 v[117:118], v114 offset1:1
	s_add_i32 s15, s8, -5
	s_set_gpr_idx_on s14, gpr_idx(SRC0)
	v_mov_b32_e32 v124, v28
	s_set_gpr_idx_off
	s_add_i32 s16, s8, -4
	s_set_gpr_idx_on s15, gpr_idx(SRC0)
	v_mov_b32_e32 v125, v28
	s_set_gpr_idx_off
	ds_read2_b32 v[119:120], v114 offset0:2 offset1:3
	s_add_i32 s17, s8, -3
	s_set_gpr_idx_on s16, gpr_idx(SRC0)
	v_mov_b32_e32 v126, v28
	s_set_gpr_idx_off
	s_add_i32 s18, s8, -2
	s_set_gpr_idx_on s17, gpr_idx(SRC0)
	v_mov_b32_e32 v127, v28
	s_set_gpr_idx_off
	ds_read2_b32 v[121:122], v114 offset0:4 offset1:5
	s_add_i32 s19, s8, -1
	s_waitcnt lgkmcnt(2)
	v_fmac_f32_e32 v113, v123, v117
	s_set_gpr_idx_on s18, gpr_idx(SRC0)
	v_mov_b32_e32 v123, v28
	s_set_gpr_idx_off
	v_fmac_f32_e32 v113, v124, v118
	s_set_gpr_idx_on s19, gpr_idx(SRC0)
	v_mov_b32_e32 v124, v28
	s_set_gpr_idx_off
	ds_read2_b32 v[117:118], v114 offset0:6 offset1:7
	s_waitcnt lgkmcnt(2)
	v_fmac_f32_e32 v113, v125, v119
	s_set_gpr_idx_on s8, gpr_idx(SRC0)
	v_mov_b32_e32 v119, v28
	s_set_gpr_idx_off
	v_fmac_f32_e32 v113, v126, v120
	s_add_u32 s8, s8, 8
	s_waitcnt lgkmcnt(1)
	v_fmac_f32_e32 v113, v127, v121
	v_add_u32_e32 v114, s8, v116
	v_fmac_f32_e32 v113, v123, v122
	s_addc_u32 s9, s9, 0
	s_add_i32 s12, s12, 32
	s_add_i32 s13, s8, -7
	v_cmp_eq_u32_e32 vcc, 18, v114
	s_waitcnt lgkmcnt(0)
	v_fmac_f32_e32 v113, v124, v117
	v_mov_b32_e32 v114, s13
	s_or_b64 s[10:11], vcc, s[10:11]
	v_fmac_f32_e32 v113, v119, v118
	s_andn2_b64 exec, exec, s[10:11]
	s_cbranch_execnz .LBB25_217
; %bb.218:
	s_or_b64 exec, exec, s[10:11]
.LBB25_219:
	s_or_b64 exec, exec, s[2:3]
	v_and_b32_e32 v54, 7, v115
	v_cmp_ne_u32_e32 vcc, 0, v54
	s_and_saveexec_b64 s[8:9], vcc
	s_cbranch_execz .LBB25_223
; %bb.220:
	v_mov_b32_e32 v55, 0x70
	v_lshl_add_u32 v55, v114, 2, v55
	v_mov_b32_e32 v56, 0
	s_mov_b64 s[10:11], 0
.LBB25_221:                             ; =>This Inner Loop Header: Depth=1
	v_cmp_eq_u32_e32 vcc, 1, v114
	v_cndmask_b32_e32 v57, v28, v29, vcc
	v_add_u32_e32 v54, -1, v54
	v_cmp_eq_u32_e32 vcc, 2, v114
	v_cndmask_b32_e32 v57, v57, v30, vcc
	v_cmp_eq_u32_e32 vcc, 0, v54
	v_cmp_eq_u32_e64 s[2:3], 3, v114
	v_cndmask_b32_e64 v57, v57, v31, s[2:3]
	s_or_b64 s[10:11], vcc, s[10:11]
	v_cmp_eq_u32_e32 vcc, 4, v114
	v_cndmask_b32_e32 v57, v57, v32, vcc
	v_cmp_eq_u32_e32 vcc, 5, v114
	v_cndmask_b32_e32 v57, v57, v33, vcc
	;; [unrolled: 2-line block ×17, first 2 shown]
	v_cmp_eq_u32_e32 vcc, 21, v114
	ds_read_b32 v58, v55
	v_cndmask_b32_e32 v57, v57, v49, vcc
	v_cmp_eq_u32_e32 vcc, 22, v114
	v_cndmask_b32_e32 v57, v57, v50, vcc
	v_cmp_eq_u32_e32 vcc, 23, v114
	;; [unrolled: 2-line block ×4, first 2 shown]
	v_add_co_u32_e64 v114, s[2:3], 1, v114
	v_cndmask_b32_e32 v57, v57, v53, vcc
	v_add_u32_e32 v55, 4, v55
	v_addc_co_u32_e64 v56, s[2:3], 0, v56, s[2:3]
	s_waitcnt lgkmcnt(0)
	v_fmac_f32_e32 v113, v57, v58
	s_andn2_b64 exec, exec, s[10:11]
	s_cbranch_execnz .LBB25_221
; %bb.222:
	s_or_b64 exec, exec, s[10:11]
.LBB25_223:
	s_or_b64 exec, exec, s[8:9]
.LBB25_224:
	s_or_b64 exec, exec, s[6:7]
	v_mov_b32_e32 v38, 0
	ds_read_b32 v38, v38 offset:40
	s_waitcnt lgkmcnt(0)
	v_mul_f32_e32 v38, v113, v38
.LBB25_225:
	s_or_b64 exec, exec, s[4:5]
	v_cmp_lt_u32_e64 s[2:3], 9, v0
	ds_write_b32 v112, v37
	s_waitcnt lgkmcnt(0)
	; wave barrier
	s_and_saveexec_b64 s[4:5], s[2:3]
	s_cbranch_execz .LBB25_241
; %bb.226:
	s_andn2_b64 vcc, exec, s[54:55]
	s_cbranch_vccnz .LBB25_228
; %bb.227:
	v_cmp_eq_u32_e32 vcc, 1, v0
	v_cndmask_b32_e32 v113, v28, v29, vcc
	v_cmp_eq_u32_e32 vcc, 2, v0
	v_cndmask_b32_e32 v113, v113, v30, vcc
	;; [unrolled: 2-line block ×21, first 2 shown]
	v_cmp_eq_u32_e32 vcc, 22, v0
	ds_read_b32 v114, v112
	v_cndmask_b32_e32 v113, v113, v50, vcc
	v_cmp_eq_u32_e32 vcc, 23, v0
	v_cndmask_b32_e32 v113, v113, v51, vcc
	v_cmp_eq_u32_e32 vcc, 24, v0
	;; [unrolled: 2-line block ×3, first 2 shown]
	v_cndmask_b32_e32 v113, v113, v53, vcc
	s_waitcnt lgkmcnt(0)
	v_mul_f32_e32 v113, v113, v114
	s_cbranch_execz .LBB25_229
	s_branch .LBB25_230
.LBB25_228:
                                        ; implicit-def: $vgpr113
.LBB25_229:
	ds_read_b32 v113, v112
.LBB25_230:
	s_and_saveexec_b64 s[6:7], s[0:1]
	s_cbranch_execz .LBB25_240
; %bb.231:
	v_add_u32_e32 v114, -11, v0
	v_add_u32_e32 v115, -10, v0
	v_cmp_lt_u32_e32 vcc, 6, v114
	v_mov_b32_e32 v114, 10
	s_and_saveexec_b64 s[0:1], vcc
	s_cbranch_execz .LBB25_235
; %bb.232:
	v_and_b32_e32 v114, -8, v115
	v_sub_u32_e32 v116, 0, v114
	s_mov_b64 s[8:9], 17
	s_movk_i32 s12, 0x98
	s_mov_b64 s[10:11], 0
.LBB25_233:                             ; =>This Inner Loop Header: Depth=1
	s_add_i32 s13, s8, -7
	v_mov_b32_e32 v114, s12
	s_add_i32 s14, s8, -6
	s_set_gpr_idx_on s13, gpr_idx(SRC0)
	v_mov_b32_e32 v125, v28
	s_set_gpr_idx_off
	ds_read2_b64 v[117:120], v114 offset1:1
	s_add_i32 s15, s8, -5
	s_set_gpr_idx_on s14, gpr_idx(SRC0)
	v_mov_b32_e32 v126, v28
	s_set_gpr_idx_off
	s_add_i32 s16, s8, -4
	s_set_gpr_idx_on s15, gpr_idx(SRC0)
	v_mov_b32_e32 v127, v28
	s_set_gpr_idx_off
	;; [unrolled: 4-line block ×4, first 2 shown]
	ds_read2_b64 v[121:124], v114 offset0:2 offset1:3
	s_add_i32 s19, s8, -1
	s_waitcnt lgkmcnt(1)
	v_fmac_f32_e32 v113, v125, v117
	s_set_gpr_idx_on s18, gpr_idx(SRC0)
	v_mov_b32_e32 v117, v28
	s_set_gpr_idx_off
	v_fmac_f32_e32 v113, v126, v118
	s_set_gpr_idx_on s19, gpr_idx(SRC0)
	v_mov_b32_e32 v118, v28
	s_set_gpr_idx_off
	;; [unrolled: 4-line block ×3, first 2 shown]
	v_fmac_f32_e32 v113, v128, v120
	s_add_u32 s8, s8, 8
	s_waitcnt lgkmcnt(0)
	v_fmac_f32_e32 v113, v129, v121
	v_add_u32_e32 v114, s8, v116
	v_fmac_f32_e32 v113, v117, v122
	s_addc_u32 s9, s9, 0
	s_add_i32 s12, s12, 32
	s_add_i32 s13, s8, -7
	v_cmp_eq_u32_e32 vcc, 17, v114
	v_fmac_f32_e32 v113, v118, v123
	v_mov_b32_e32 v114, s13
	s_or_b64 s[10:11], vcc, s[10:11]
	v_fmac_f32_e32 v113, v119, v124
	s_andn2_b64 exec, exec, s[10:11]
	s_cbranch_execnz .LBB25_233
; %bb.234:
	s_or_b64 exec, exec, s[10:11]
.LBB25_235:
	s_or_b64 exec, exec, s[0:1]
	v_and_b32_e32 v54, 7, v115
	v_cmp_ne_u32_e32 vcc, 0, v54
	s_and_saveexec_b64 s[8:9], vcc
	s_cbranch_execz .LBB25_239
; %bb.236:
	v_mov_b32_e32 v55, 0x70
	v_lshl_add_u32 v55, v114, 2, v55
	v_mov_b32_e32 v56, 0
	s_mov_b64 s[10:11], 0
.LBB25_237:                             ; =>This Inner Loop Header: Depth=1
	v_cmp_eq_u32_e32 vcc, 1, v114
	v_cndmask_b32_e32 v57, v28, v29, vcc
	v_add_u32_e32 v54, -1, v54
	v_cmp_eq_u32_e32 vcc, 2, v114
	v_cndmask_b32_e32 v57, v57, v30, vcc
	v_cmp_eq_u32_e32 vcc, 0, v54
	v_cmp_eq_u32_e64 s[0:1], 3, v114
	v_cndmask_b32_e64 v57, v57, v31, s[0:1]
	s_or_b64 s[10:11], vcc, s[10:11]
	v_cmp_eq_u32_e32 vcc, 4, v114
	v_cndmask_b32_e32 v57, v57, v32, vcc
	v_cmp_eq_u32_e32 vcc, 5, v114
	v_cndmask_b32_e32 v57, v57, v33, vcc
	v_cmp_eq_u32_e32 vcc, 6, v114
	v_cndmask_b32_e32 v57, v57, v34, vcc
	v_cmp_eq_u32_e32 vcc, 7, v114
	v_cndmask_b32_e32 v57, v57, v35, vcc
	v_cmp_eq_u32_e32 vcc, 8, v114
	v_cndmask_b32_e32 v57, v57, v36, vcc
	v_cmp_eq_u32_e32 vcc, 9, v114
	v_cndmask_b32_e32 v57, v57, v37, vcc
	v_cmp_eq_u32_e32 vcc, 10, v114
	v_cndmask_b32_e32 v57, v57, v38, vcc
	v_cmp_eq_u32_e32 vcc, 11, v114
	v_cndmask_b32_e32 v57, v57, v39, vcc
	v_cmp_eq_u32_e32 vcc, 12, v114
	v_cndmask_b32_e32 v57, v57, v40, vcc
	v_cmp_eq_u32_e32 vcc, 13, v114
	v_cndmask_b32_e32 v57, v57, v41, vcc
	v_cmp_eq_u32_e32 vcc, 14, v114
	v_cndmask_b32_e32 v57, v57, v42, vcc
	v_cmp_eq_u32_e32 vcc, 15, v114
	v_cndmask_b32_e32 v57, v57, v43, vcc
	v_cmp_eq_u32_e32 vcc, 16, v114
	v_cndmask_b32_e32 v57, v57, v44, vcc
	v_cmp_eq_u32_e32 vcc, 17, v114
	v_cndmask_b32_e32 v57, v57, v45, vcc
	v_cmp_eq_u32_e32 vcc, 18, v114
	v_cndmask_b32_e32 v57, v57, v46, vcc
	v_cmp_eq_u32_e32 vcc, 19, v114
	v_cndmask_b32_e32 v57, v57, v47, vcc
	v_cmp_eq_u32_e32 vcc, 20, v114
	v_cndmask_b32_e32 v57, v57, v48, vcc
	v_cmp_eq_u32_e32 vcc, 21, v114
	ds_read_b32 v58, v55
	v_cndmask_b32_e32 v57, v57, v49, vcc
	v_cmp_eq_u32_e32 vcc, 22, v114
	v_cndmask_b32_e32 v57, v57, v50, vcc
	v_cmp_eq_u32_e32 vcc, 23, v114
	;; [unrolled: 2-line block ×4, first 2 shown]
	v_add_co_u32_e64 v114, s[0:1], 1, v114
	v_cndmask_b32_e32 v57, v57, v53, vcc
	v_add_u32_e32 v55, 4, v55
	v_addc_co_u32_e64 v56, s[0:1], 0, v56, s[0:1]
	s_waitcnt lgkmcnt(0)
	v_fmac_f32_e32 v113, v57, v58
	s_andn2_b64 exec, exec, s[10:11]
	s_cbranch_execnz .LBB25_237
; %bb.238:
	s_or_b64 exec, exec, s[10:11]
.LBB25_239:
	s_or_b64 exec, exec, s[8:9]
.LBB25_240:
	s_or_b64 exec, exec, s[6:7]
	v_mov_b32_e32 v37, 0
	ds_read_b32 v37, v37 offset:36
	s_waitcnt lgkmcnt(0)
	v_mul_f32_e32 v37, v113, v37
.LBB25_241:
	s_or_b64 exec, exec, s[4:5]
	v_cmp_lt_u32_e64 s[0:1], 8, v0
	ds_write_b32 v112, v36
	s_waitcnt lgkmcnt(0)
	; wave barrier
	s_and_saveexec_b64 s[4:5], s[0:1]
	s_cbranch_execz .LBB25_257
; %bb.242:
	s_andn2_b64 vcc, exec, s[54:55]
	s_cbranch_vccnz .LBB25_244
; %bb.243:
	v_cmp_eq_u32_e32 vcc, 1, v0
	v_cndmask_b32_e32 v113, v28, v29, vcc
	v_cmp_eq_u32_e32 vcc, 2, v0
	v_cndmask_b32_e32 v113, v113, v30, vcc
	;; [unrolled: 2-line block ×21, first 2 shown]
	v_cmp_eq_u32_e32 vcc, 22, v0
	ds_read_b32 v114, v112
	v_cndmask_b32_e32 v113, v113, v50, vcc
	v_cmp_eq_u32_e32 vcc, 23, v0
	v_cndmask_b32_e32 v113, v113, v51, vcc
	v_cmp_eq_u32_e32 vcc, 24, v0
	v_cndmask_b32_e32 v113, v113, v52, vcc
	v_cmp_eq_u32_e32 vcc, 25, v0
	v_cndmask_b32_e32 v113, v113, v53, vcc
	s_waitcnt lgkmcnt(0)
	v_mul_f32_e32 v113, v113, v114
	s_cbranch_execz .LBB25_245
	s_branch .LBB25_246
.LBB25_244:
                                        ; implicit-def: $vgpr113
.LBB25_245:
	ds_read_b32 v113, v112
.LBB25_246:
	s_and_saveexec_b64 s[6:7], s[2:3]
	s_cbranch_execz .LBB25_256
; %bb.247:
	v_add_u32_e32 v114, -10, v0
	v_add_u32_e32 v115, -9, v0
	v_cmp_lt_u32_e32 vcc, 6, v114
	v_mov_b32_e32 v114, 9
	s_and_saveexec_b64 s[2:3], vcc
	s_cbranch_execz .LBB25_251
; %bb.248:
	v_and_b32_e32 v114, -8, v115
	v_sub_u32_e32 v116, 0, v114
	s_mov_b64 s[8:9], 16
	s_movk_i32 s12, 0x94
	s_mov_b64 s[10:11], 0
.LBB25_249:                             ; =>This Inner Loop Header: Depth=1
	s_add_i32 s13, s8, -7
	v_mov_b32_e32 v114, s12
	s_add_i32 s14, s8, -6
	s_set_gpr_idx_on s13, gpr_idx(SRC0)
	v_mov_b32_e32 v123, v28
	s_set_gpr_idx_off
	ds_read2_b32 v[117:118], v114 offset1:1
	s_add_i32 s15, s8, -5
	s_set_gpr_idx_on s14, gpr_idx(SRC0)
	v_mov_b32_e32 v124, v28
	s_set_gpr_idx_off
	s_add_i32 s16, s8, -4
	s_set_gpr_idx_on s15, gpr_idx(SRC0)
	v_mov_b32_e32 v125, v28
	s_set_gpr_idx_off
	ds_read2_b32 v[119:120], v114 offset0:2 offset1:3
	s_add_i32 s17, s8, -3
	s_set_gpr_idx_on s16, gpr_idx(SRC0)
	v_mov_b32_e32 v126, v28
	s_set_gpr_idx_off
	s_add_i32 s18, s8, -2
	s_set_gpr_idx_on s17, gpr_idx(SRC0)
	v_mov_b32_e32 v127, v28
	s_set_gpr_idx_off
	ds_read2_b32 v[121:122], v114 offset0:4 offset1:5
	s_add_i32 s19, s8, -1
	s_waitcnt lgkmcnt(2)
	v_fmac_f32_e32 v113, v123, v117
	s_set_gpr_idx_on s18, gpr_idx(SRC0)
	v_mov_b32_e32 v123, v28
	s_set_gpr_idx_off
	v_fmac_f32_e32 v113, v124, v118
	s_set_gpr_idx_on s19, gpr_idx(SRC0)
	v_mov_b32_e32 v124, v28
	s_set_gpr_idx_off
	ds_read2_b32 v[117:118], v114 offset0:6 offset1:7
	s_waitcnt lgkmcnt(2)
	v_fmac_f32_e32 v113, v125, v119
	s_set_gpr_idx_on s8, gpr_idx(SRC0)
	v_mov_b32_e32 v119, v28
	s_set_gpr_idx_off
	v_fmac_f32_e32 v113, v126, v120
	s_add_u32 s8, s8, 8
	s_waitcnt lgkmcnt(1)
	v_fmac_f32_e32 v113, v127, v121
	v_add_u32_e32 v114, s8, v116
	v_fmac_f32_e32 v113, v123, v122
	s_addc_u32 s9, s9, 0
	s_add_i32 s12, s12, 32
	s_add_i32 s13, s8, -7
	v_cmp_eq_u32_e32 vcc, 16, v114
	s_waitcnt lgkmcnt(0)
	v_fmac_f32_e32 v113, v124, v117
	v_mov_b32_e32 v114, s13
	s_or_b64 s[10:11], vcc, s[10:11]
	v_fmac_f32_e32 v113, v119, v118
	s_andn2_b64 exec, exec, s[10:11]
	s_cbranch_execnz .LBB25_249
; %bb.250:
	s_or_b64 exec, exec, s[10:11]
.LBB25_251:
	s_or_b64 exec, exec, s[2:3]
	v_and_b32_e32 v54, 7, v115
	v_cmp_ne_u32_e32 vcc, 0, v54
	s_and_saveexec_b64 s[8:9], vcc
	s_cbranch_execz .LBB25_255
; %bb.252:
	v_mov_b32_e32 v55, 0x70
	v_lshl_add_u32 v55, v114, 2, v55
	v_mov_b32_e32 v56, 0
	s_mov_b64 s[10:11], 0
.LBB25_253:                             ; =>This Inner Loop Header: Depth=1
	v_cmp_eq_u32_e32 vcc, 1, v114
	v_cndmask_b32_e32 v57, v28, v29, vcc
	v_add_u32_e32 v54, -1, v54
	v_cmp_eq_u32_e32 vcc, 2, v114
	v_cndmask_b32_e32 v57, v57, v30, vcc
	v_cmp_eq_u32_e32 vcc, 0, v54
	v_cmp_eq_u32_e64 s[2:3], 3, v114
	v_cndmask_b32_e64 v57, v57, v31, s[2:3]
	s_or_b64 s[10:11], vcc, s[10:11]
	v_cmp_eq_u32_e32 vcc, 4, v114
	v_cndmask_b32_e32 v57, v57, v32, vcc
	v_cmp_eq_u32_e32 vcc, 5, v114
	v_cndmask_b32_e32 v57, v57, v33, vcc
	;; [unrolled: 2-line block ×17, first 2 shown]
	v_cmp_eq_u32_e32 vcc, 21, v114
	ds_read_b32 v58, v55
	v_cndmask_b32_e32 v57, v57, v49, vcc
	v_cmp_eq_u32_e32 vcc, 22, v114
	v_cndmask_b32_e32 v57, v57, v50, vcc
	v_cmp_eq_u32_e32 vcc, 23, v114
	;; [unrolled: 2-line block ×4, first 2 shown]
	v_add_co_u32_e64 v114, s[2:3], 1, v114
	v_cndmask_b32_e32 v57, v57, v53, vcc
	v_add_u32_e32 v55, 4, v55
	v_addc_co_u32_e64 v56, s[2:3], 0, v56, s[2:3]
	s_waitcnt lgkmcnt(0)
	v_fmac_f32_e32 v113, v57, v58
	s_andn2_b64 exec, exec, s[10:11]
	s_cbranch_execnz .LBB25_253
; %bb.254:
	s_or_b64 exec, exec, s[10:11]
.LBB25_255:
	s_or_b64 exec, exec, s[8:9]
.LBB25_256:
	s_or_b64 exec, exec, s[6:7]
	v_mov_b32_e32 v36, 0
	ds_read_b32 v36, v36 offset:32
	s_waitcnt lgkmcnt(0)
	v_mul_f32_e32 v36, v113, v36
.LBB25_257:
	s_or_b64 exec, exec, s[4:5]
	v_cmp_lt_u32_e64 s[2:3], 7, v0
	ds_write_b32 v112, v35
	s_waitcnt lgkmcnt(0)
	; wave barrier
	s_and_saveexec_b64 s[4:5], s[2:3]
	s_cbranch_execz .LBB25_273
; %bb.258:
	s_andn2_b64 vcc, exec, s[54:55]
	s_cbranch_vccnz .LBB25_260
; %bb.259:
	v_cmp_eq_u32_e32 vcc, 1, v0
	v_cndmask_b32_e32 v113, v28, v29, vcc
	v_cmp_eq_u32_e32 vcc, 2, v0
	v_cndmask_b32_e32 v113, v113, v30, vcc
	;; [unrolled: 2-line block ×21, first 2 shown]
	v_cmp_eq_u32_e32 vcc, 22, v0
	ds_read_b32 v114, v112
	v_cndmask_b32_e32 v113, v113, v50, vcc
	v_cmp_eq_u32_e32 vcc, 23, v0
	v_cndmask_b32_e32 v113, v113, v51, vcc
	v_cmp_eq_u32_e32 vcc, 24, v0
	;; [unrolled: 2-line block ×3, first 2 shown]
	v_cndmask_b32_e32 v113, v113, v53, vcc
	s_waitcnt lgkmcnt(0)
	v_mul_f32_e32 v113, v113, v114
	s_cbranch_execz .LBB25_261
	s_branch .LBB25_262
.LBB25_260:
                                        ; implicit-def: $vgpr113
.LBB25_261:
	ds_read_b32 v113, v112
.LBB25_262:
	s_and_saveexec_b64 s[6:7], s[0:1]
	s_cbranch_execz .LBB25_272
; %bb.263:
	v_add_u32_e32 v114, -9, v0
	v_cmp_lt_u32_e32 vcc, 6, v114
	v_mov_b32_e32 v114, 8
	s_and_saveexec_b64 s[0:1], vcc
	s_cbranch_execz .LBB25_267
; %bb.264:
	v_and_b32_e32 v114, 24, v0
	v_sub_u32_e32 v115, 0, v114
	s_mov_b64 s[8:9], 15
	s_movk_i32 s12, 0x90
	s_mov_b64 s[10:11], 0
.LBB25_265:                             ; =>This Inner Loop Header: Depth=1
	s_add_i32 s13, s8, -7
	v_mov_b32_e32 v114, s12
	s_add_i32 s14, s8, -6
	s_set_gpr_idx_on s13, gpr_idx(SRC0)
	v_mov_b32_e32 v124, v28
	s_set_gpr_idx_off
	s_add_i32 s15, s8, -5
	ds_read_b128 v[116:119], v114
	ds_read_b128 v[120:123], v114 offset:16
	s_set_gpr_idx_on s14, gpr_idx(SRC0)
	v_mov_b32_e32 v114, v28
	s_set_gpr_idx_off
	s_add_i32 s16, s8, -4
	s_set_gpr_idx_on s15, gpr_idx(SRC0)
	v_mov_b32_e32 v125, v28
	s_set_gpr_idx_off
	s_add_i32 s17, s8, -3
	;; [unrolled: 4-line block ×4, first 2 shown]
	s_waitcnt lgkmcnt(1)
	v_fmac_f32_e32 v113, v124, v116
	s_set_gpr_idx_on s18, gpr_idx(SRC0)
	v_mov_b32_e32 v116, v28
	s_set_gpr_idx_off
	v_fmac_f32_e32 v113, v114, v117
	s_set_gpr_idx_on s19, gpr_idx(SRC0)
	v_mov_b32_e32 v117, v28
	s_set_gpr_idx_off
	v_fmac_f32_e32 v113, v125, v118
	s_set_gpr_idx_on s8, gpr_idx(SRC0)
	v_mov_b32_e32 v118, v28
	s_set_gpr_idx_off
	v_fmac_f32_e32 v113, v126, v119
	s_add_u32 s8, s8, 8
	s_waitcnt lgkmcnt(0)
	v_fmac_f32_e32 v113, v127, v120
	v_add_u32_e32 v114, s8, v115
	v_fmac_f32_e32 v113, v116, v121
	s_addc_u32 s9, s9, 0
	s_add_i32 s12, s12, 32
	s_add_i32 s13, s8, -7
	v_cmp_eq_u32_e32 vcc, 7, v114
	v_fmac_f32_e32 v113, v117, v122
	v_mov_b32_e32 v114, s13
	s_or_b64 s[10:11], vcc, s[10:11]
	v_fmac_f32_e32 v113, v118, v123
	s_andn2_b64 exec, exec, s[10:11]
	s_cbranch_execnz .LBB25_265
; %bb.266:
	s_or_b64 exec, exec, s[10:11]
.LBB25_267:
	s_or_b64 exec, exec, s[0:1]
	v_and_b32_e32 v54, 7, v0
	v_cmp_ne_u32_e32 vcc, 0, v54
	s_and_saveexec_b64 s[8:9], vcc
	s_cbranch_execz .LBB25_271
; %bb.268:
	v_mov_b32_e32 v55, 0x70
	v_lshl_add_u32 v55, v114, 2, v55
	v_mov_b32_e32 v56, 0
	s_mov_b64 s[10:11], 0
.LBB25_269:                             ; =>This Inner Loop Header: Depth=1
	v_cmp_eq_u32_e32 vcc, 1, v114
	v_cndmask_b32_e32 v57, v28, v29, vcc
	v_add_u32_e32 v54, -1, v54
	v_cmp_eq_u32_e32 vcc, 2, v114
	v_cndmask_b32_e32 v57, v57, v30, vcc
	v_cmp_eq_u32_e32 vcc, 0, v54
	v_cmp_eq_u32_e64 s[0:1], 3, v114
	v_cndmask_b32_e64 v57, v57, v31, s[0:1]
	s_or_b64 s[10:11], vcc, s[10:11]
	v_cmp_eq_u32_e32 vcc, 4, v114
	v_cndmask_b32_e32 v57, v57, v32, vcc
	v_cmp_eq_u32_e32 vcc, 5, v114
	v_cndmask_b32_e32 v57, v57, v33, vcc
	;; [unrolled: 2-line block ×17, first 2 shown]
	v_cmp_eq_u32_e32 vcc, 21, v114
	ds_read_b32 v58, v55
	v_cndmask_b32_e32 v57, v57, v49, vcc
	v_cmp_eq_u32_e32 vcc, 22, v114
	v_cndmask_b32_e32 v57, v57, v50, vcc
	v_cmp_eq_u32_e32 vcc, 23, v114
	;; [unrolled: 2-line block ×4, first 2 shown]
	v_add_co_u32_e64 v114, s[0:1], 1, v114
	v_cndmask_b32_e32 v57, v57, v53, vcc
	v_add_u32_e32 v55, 4, v55
	v_addc_co_u32_e64 v56, s[0:1], 0, v56, s[0:1]
	s_waitcnt lgkmcnt(0)
	v_fmac_f32_e32 v113, v57, v58
	s_andn2_b64 exec, exec, s[10:11]
	s_cbranch_execnz .LBB25_269
; %bb.270:
	s_or_b64 exec, exec, s[10:11]
.LBB25_271:
	s_or_b64 exec, exec, s[8:9]
.LBB25_272:
	s_or_b64 exec, exec, s[6:7]
	v_mov_b32_e32 v35, 0
	ds_read_b32 v35, v35 offset:28
	s_waitcnt lgkmcnt(0)
	v_mul_f32_e32 v35, v113, v35
.LBB25_273:
	s_or_b64 exec, exec, s[4:5]
	v_cmp_lt_u32_e64 s[0:1], 6, v0
	ds_write_b32 v112, v34
	s_waitcnt lgkmcnt(0)
	; wave barrier
	s_and_saveexec_b64 s[4:5], s[0:1]
	s_cbranch_execz .LBB25_289
; %bb.274:
	s_andn2_b64 vcc, exec, s[54:55]
	s_cbranch_vccnz .LBB25_276
; %bb.275:
	v_cmp_eq_u32_e32 vcc, 1, v0
	v_cndmask_b32_e32 v113, v28, v29, vcc
	v_cmp_eq_u32_e32 vcc, 2, v0
	v_cndmask_b32_e32 v113, v113, v30, vcc
	;; [unrolled: 2-line block ×21, first 2 shown]
	v_cmp_eq_u32_e32 vcc, 22, v0
	ds_read_b32 v114, v112
	v_cndmask_b32_e32 v113, v113, v50, vcc
	v_cmp_eq_u32_e32 vcc, 23, v0
	v_cndmask_b32_e32 v113, v113, v51, vcc
	v_cmp_eq_u32_e32 vcc, 24, v0
	;; [unrolled: 2-line block ×3, first 2 shown]
	v_cndmask_b32_e32 v113, v113, v53, vcc
	s_waitcnt lgkmcnt(0)
	v_mul_f32_e32 v113, v113, v114
	s_cbranch_execz .LBB25_277
	s_branch .LBB25_278
.LBB25_276:
                                        ; implicit-def: $vgpr113
.LBB25_277:
	ds_read_b32 v113, v112
.LBB25_278:
	s_and_saveexec_b64 s[6:7], s[2:3]
	s_cbranch_execz .LBB25_288
; %bb.279:
	v_add_u32_e32 v114, -8, v0
	v_add_u32_e32 v115, -7, v0
	v_cmp_lt_u32_e32 vcc, 6, v114
	v_mov_b32_e32 v114, 7
	s_and_saveexec_b64 s[2:3], vcc
	s_cbranch_execz .LBB25_283
; %bb.280:
	v_and_b32_e32 v114, -8, v115
	v_sub_u32_e32 v116, 0, v114
	s_mov_b64 s[8:9], 14
	s_movk_i32 s12, 0x8c
	s_mov_b64 s[10:11], 0
.LBB25_281:                             ; =>This Inner Loop Header: Depth=1
	s_add_i32 s13, s8, -7
	v_mov_b32_e32 v114, s12
	s_add_i32 s14, s8, -6
	s_set_gpr_idx_on s13, gpr_idx(SRC0)
	v_mov_b32_e32 v123, v28
	s_set_gpr_idx_off
	ds_read2_b32 v[117:118], v114 offset1:1
	s_add_i32 s15, s8, -5
	s_set_gpr_idx_on s14, gpr_idx(SRC0)
	v_mov_b32_e32 v124, v28
	s_set_gpr_idx_off
	s_add_i32 s16, s8, -4
	s_set_gpr_idx_on s15, gpr_idx(SRC0)
	v_mov_b32_e32 v125, v28
	s_set_gpr_idx_off
	ds_read2_b32 v[119:120], v114 offset0:2 offset1:3
	s_add_i32 s17, s8, -3
	s_set_gpr_idx_on s16, gpr_idx(SRC0)
	v_mov_b32_e32 v126, v28
	s_set_gpr_idx_off
	s_add_i32 s18, s8, -2
	s_set_gpr_idx_on s17, gpr_idx(SRC0)
	v_mov_b32_e32 v127, v28
	s_set_gpr_idx_off
	ds_read2_b32 v[121:122], v114 offset0:4 offset1:5
	s_add_i32 s19, s8, -1
	s_waitcnt lgkmcnt(2)
	v_fmac_f32_e32 v113, v123, v117
	s_set_gpr_idx_on s18, gpr_idx(SRC0)
	v_mov_b32_e32 v123, v28
	s_set_gpr_idx_off
	v_fmac_f32_e32 v113, v124, v118
	s_set_gpr_idx_on s19, gpr_idx(SRC0)
	v_mov_b32_e32 v124, v28
	s_set_gpr_idx_off
	ds_read2_b32 v[117:118], v114 offset0:6 offset1:7
	s_waitcnt lgkmcnt(2)
	v_fmac_f32_e32 v113, v125, v119
	s_set_gpr_idx_on s8, gpr_idx(SRC0)
	v_mov_b32_e32 v119, v28
	s_set_gpr_idx_off
	v_fmac_f32_e32 v113, v126, v120
	s_add_u32 s8, s8, 8
	s_waitcnt lgkmcnt(1)
	v_fmac_f32_e32 v113, v127, v121
	v_add_u32_e32 v114, s8, v116
	v_fmac_f32_e32 v113, v123, v122
	s_addc_u32 s9, s9, 0
	s_add_i32 s12, s12, 32
	s_add_i32 s13, s8, -7
	v_cmp_eq_u32_e32 vcc, 14, v114
	s_waitcnt lgkmcnt(0)
	v_fmac_f32_e32 v113, v124, v117
	v_mov_b32_e32 v114, s13
	s_or_b64 s[10:11], vcc, s[10:11]
	v_fmac_f32_e32 v113, v119, v118
	s_andn2_b64 exec, exec, s[10:11]
	s_cbranch_execnz .LBB25_281
; %bb.282:
	s_or_b64 exec, exec, s[10:11]
.LBB25_283:
	s_or_b64 exec, exec, s[2:3]
	v_and_b32_e32 v54, 7, v115
	v_cmp_ne_u32_e32 vcc, 0, v54
	s_and_saveexec_b64 s[8:9], vcc
	s_cbranch_execz .LBB25_287
; %bb.284:
	v_mov_b32_e32 v55, 0x70
	v_lshl_add_u32 v55, v114, 2, v55
	v_mov_b32_e32 v56, 0
	s_mov_b64 s[10:11], 0
.LBB25_285:                             ; =>This Inner Loop Header: Depth=1
	v_cmp_eq_u32_e32 vcc, 1, v114
	v_cndmask_b32_e32 v57, v28, v29, vcc
	v_add_u32_e32 v54, -1, v54
	v_cmp_eq_u32_e32 vcc, 2, v114
	v_cndmask_b32_e32 v57, v57, v30, vcc
	v_cmp_eq_u32_e32 vcc, 0, v54
	v_cmp_eq_u32_e64 s[2:3], 3, v114
	v_cndmask_b32_e64 v57, v57, v31, s[2:3]
	s_or_b64 s[10:11], vcc, s[10:11]
	v_cmp_eq_u32_e32 vcc, 4, v114
	v_cndmask_b32_e32 v57, v57, v32, vcc
	v_cmp_eq_u32_e32 vcc, 5, v114
	v_cndmask_b32_e32 v57, v57, v33, vcc
	;; [unrolled: 2-line block ×17, first 2 shown]
	v_cmp_eq_u32_e32 vcc, 21, v114
	ds_read_b32 v58, v55
	v_cndmask_b32_e32 v57, v57, v49, vcc
	v_cmp_eq_u32_e32 vcc, 22, v114
	v_cndmask_b32_e32 v57, v57, v50, vcc
	v_cmp_eq_u32_e32 vcc, 23, v114
	;; [unrolled: 2-line block ×4, first 2 shown]
	v_add_co_u32_e64 v114, s[2:3], 1, v114
	v_cndmask_b32_e32 v57, v57, v53, vcc
	v_add_u32_e32 v55, 4, v55
	v_addc_co_u32_e64 v56, s[2:3], 0, v56, s[2:3]
	s_waitcnt lgkmcnt(0)
	v_fmac_f32_e32 v113, v57, v58
	s_andn2_b64 exec, exec, s[10:11]
	s_cbranch_execnz .LBB25_285
; %bb.286:
	s_or_b64 exec, exec, s[10:11]
.LBB25_287:
	s_or_b64 exec, exec, s[8:9]
.LBB25_288:
	s_or_b64 exec, exec, s[6:7]
	v_mov_b32_e32 v34, 0
	ds_read_b32 v34, v34 offset:24
	s_waitcnt lgkmcnt(0)
	v_mul_f32_e32 v34, v113, v34
.LBB25_289:
	s_or_b64 exec, exec, s[4:5]
	v_cmp_lt_u32_e64 s[2:3], 5, v0
	ds_write_b32 v112, v33
	s_waitcnt lgkmcnt(0)
	; wave barrier
	s_and_saveexec_b64 s[4:5], s[2:3]
	s_cbranch_execz .LBB25_305
; %bb.290:
	s_andn2_b64 vcc, exec, s[54:55]
	s_cbranch_vccnz .LBB25_292
; %bb.291:
	v_cmp_eq_u32_e32 vcc, 1, v0
	v_cndmask_b32_e32 v113, v28, v29, vcc
	v_cmp_eq_u32_e32 vcc, 2, v0
	v_cndmask_b32_e32 v113, v113, v30, vcc
	;; [unrolled: 2-line block ×21, first 2 shown]
	v_cmp_eq_u32_e32 vcc, 22, v0
	ds_read_b32 v114, v112
	v_cndmask_b32_e32 v113, v113, v50, vcc
	v_cmp_eq_u32_e32 vcc, 23, v0
	v_cndmask_b32_e32 v113, v113, v51, vcc
	v_cmp_eq_u32_e32 vcc, 24, v0
	;; [unrolled: 2-line block ×3, first 2 shown]
	v_cndmask_b32_e32 v113, v113, v53, vcc
	s_waitcnt lgkmcnt(0)
	v_mul_f32_e32 v113, v113, v114
	s_cbranch_execz .LBB25_293
	s_branch .LBB25_294
.LBB25_292:
                                        ; implicit-def: $vgpr113
.LBB25_293:
	ds_read_b32 v113, v112
.LBB25_294:
	s_and_saveexec_b64 s[6:7], s[0:1]
	s_cbranch_execz .LBB25_304
; %bb.295:
	v_add_u32_e32 v116, -7, v0
	v_add_u32_e32 v115, -6, v0
	v_mov_b32_e32 v114, 6
	v_cmp_lt_u32_e32 vcc, 6, v116
	s_and_saveexec_b64 s[0:1], vcc
	s_cbranch_execz .LBB25_299
; %bb.296:
	v_and_b32_e32 v114, -8, v115
	v_sub_u32_e32 v116, 0, v114
	s_mov_b64 s[8:9], 13
	s_movk_i32 s12, 0x88
	s_mov_b64 s[10:11], 0
.LBB25_297:                             ; =>This Inner Loop Header: Depth=1
	s_add_i32 s13, s8, -7
	v_mov_b32_e32 v114, s12
	s_add_i32 s14, s8, -6
	s_set_gpr_idx_on s13, gpr_idx(SRC0)
	v_mov_b32_e32 v125, v28
	s_set_gpr_idx_off
	ds_read2_b64 v[117:120], v114 offset1:1
	s_add_i32 s15, s8, -5
	s_set_gpr_idx_on s14, gpr_idx(SRC0)
	v_mov_b32_e32 v126, v28
	s_set_gpr_idx_off
	s_add_i32 s16, s8, -4
	s_set_gpr_idx_on s15, gpr_idx(SRC0)
	v_mov_b32_e32 v127, v28
	s_set_gpr_idx_off
	;; [unrolled: 4-line block ×4, first 2 shown]
	ds_read2_b64 v[121:124], v114 offset0:2 offset1:3
	s_add_i32 s19, s8, -1
	s_waitcnt lgkmcnt(1)
	v_fmac_f32_e32 v113, v125, v117
	s_set_gpr_idx_on s18, gpr_idx(SRC0)
	v_mov_b32_e32 v117, v28
	s_set_gpr_idx_off
	v_fmac_f32_e32 v113, v126, v118
	s_set_gpr_idx_on s19, gpr_idx(SRC0)
	v_mov_b32_e32 v118, v28
	s_set_gpr_idx_off
	;; [unrolled: 4-line block ×3, first 2 shown]
	v_fmac_f32_e32 v113, v128, v120
	s_add_u32 s8, s8, 8
	s_waitcnt lgkmcnt(0)
	v_fmac_f32_e32 v113, v129, v121
	v_add_u32_e32 v114, s8, v116
	v_fmac_f32_e32 v113, v117, v122
	s_addc_u32 s9, s9, 0
	s_add_i32 s12, s12, 32
	s_add_i32 s13, s8, -7
	v_cmp_eq_u32_e32 vcc, 13, v114
	v_fmac_f32_e32 v113, v118, v123
	v_mov_b32_e32 v114, s13
	s_or_b64 s[10:11], vcc, s[10:11]
	v_fmac_f32_e32 v113, v119, v124
	s_andn2_b64 exec, exec, s[10:11]
	s_cbranch_execnz .LBB25_297
; %bb.298:
	s_or_b64 exec, exec, s[10:11]
.LBB25_299:
	s_or_b64 exec, exec, s[0:1]
	v_and_b32_e32 v54, 7, v115
	v_cmp_ne_u32_e32 vcc, 0, v54
	s_and_saveexec_b64 s[8:9], vcc
	s_cbranch_execz .LBB25_303
; %bb.300:
	v_mov_b32_e32 v55, 0x70
	v_lshl_add_u32 v55, v114, 2, v55
	v_mov_b32_e32 v56, 0
	s_mov_b64 s[10:11], 0
.LBB25_301:                             ; =>This Inner Loop Header: Depth=1
	v_cmp_eq_u32_e32 vcc, 1, v114
	v_cndmask_b32_e32 v57, v28, v29, vcc
	v_add_u32_e32 v54, -1, v54
	v_cmp_eq_u32_e32 vcc, 2, v114
	v_cndmask_b32_e32 v57, v57, v30, vcc
	v_cmp_eq_u32_e32 vcc, 0, v54
	v_cmp_eq_u32_e64 s[0:1], 3, v114
	v_cndmask_b32_e64 v57, v57, v31, s[0:1]
	s_or_b64 s[10:11], vcc, s[10:11]
	v_cmp_eq_u32_e32 vcc, 4, v114
	v_cndmask_b32_e32 v57, v57, v32, vcc
	v_cmp_eq_u32_e32 vcc, 5, v114
	v_cndmask_b32_e32 v57, v57, v33, vcc
	;; [unrolled: 2-line block ×17, first 2 shown]
	v_cmp_eq_u32_e32 vcc, 21, v114
	ds_read_b32 v58, v55
	v_cndmask_b32_e32 v57, v57, v49, vcc
	v_cmp_eq_u32_e32 vcc, 22, v114
	v_cndmask_b32_e32 v57, v57, v50, vcc
	v_cmp_eq_u32_e32 vcc, 23, v114
	;; [unrolled: 2-line block ×4, first 2 shown]
	v_add_co_u32_e64 v114, s[0:1], 1, v114
	v_cndmask_b32_e32 v57, v57, v53, vcc
	v_add_u32_e32 v55, 4, v55
	v_addc_co_u32_e64 v56, s[0:1], 0, v56, s[0:1]
	s_waitcnt lgkmcnt(0)
	v_fmac_f32_e32 v113, v57, v58
	s_andn2_b64 exec, exec, s[10:11]
	s_cbranch_execnz .LBB25_301
; %bb.302:
	s_or_b64 exec, exec, s[10:11]
.LBB25_303:
	s_or_b64 exec, exec, s[8:9]
.LBB25_304:
	s_or_b64 exec, exec, s[6:7]
	v_mov_b32_e32 v33, 0
	ds_read_b32 v33, v33 offset:20
	s_waitcnt lgkmcnt(0)
	v_mul_f32_e32 v33, v113, v33
.LBB25_305:
	s_or_b64 exec, exec, s[4:5]
	v_cmp_lt_u32_e64 s[0:1], 4, v0
	ds_write_b32 v112, v32
	s_waitcnt lgkmcnt(0)
	; wave barrier
	s_and_saveexec_b64 s[4:5], s[0:1]
	s_cbranch_execz .LBB25_321
; %bb.306:
	s_andn2_b64 vcc, exec, s[54:55]
	s_cbranch_vccnz .LBB25_308
; %bb.307:
	v_cmp_eq_u32_e32 vcc, 1, v0
	v_cndmask_b32_e32 v113, v28, v29, vcc
	v_cmp_eq_u32_e32 vcc, 2, v0
	v_cndmask_b32_e32 v113, v113, v30, vcc
	;; [unrolled: 2-line block ×21, first 2 shown]
	v_cmp_eq_u32_e32 vcc, 22, v0
	ds_read_b32 v114, v112
	v_cndmask_b32_e32 v113, v113, v50, vcc
	v_cmp_eq_u32_e32 vcc, 23, v0
	v_cndmask_b32_e32 v113, v113, v51, vcc
	v_cmp_eq_u32_e32 vcc, 24, v0
	;; [unrolled: 2-line block ×3, first 2 shown]
	v_cndmask_b32_e32 v113, v113, v53, vcc
	s_waitcnt lgkmcnt(0)
	v_mul_f32_e32 v113, v113, v114
	s_cbranch_execz .LBB25_309
	s_branch .LBB25_310
.LBB25_308:
                                        ; implicit-def: $vgpr113
.LBB25_309:
	ds_read_b32 v113, v112
.LBB25_310:
	s_and_saveexec_b64 s[6:7], s[2:3]
	s_cbranch_execz .LBB25_320
; %bb.311:
	v_add_u32_e32 v114, -6, v0
	v_add_u32_e32 v115, -5, v0
	v_cmp_lt_u32_e32 vcc, 6, v114
	v_mov_b32_e32 v114, 5
	s_and_saveexec_b64 s[2:3], vcc
	s_cbranch_execz .LBB25_315
; %bb.312:
	v_and_b32_e32 v114, -8, v115
	v_sub_u32_e32 v116, 0, v114
	s_mov_b64 s[8:9], 12
	s_movk_i32 s12, 0x84
	s_mov_b64 s[10:11], 0
.LBB25_313:                             ; =>This Inner Loop Header: Depth=1
	s_add_i32 s13, s8, -7
	v_mov_b32_e32 v114, s12
	s_add_i32 s14, s8, -6
	s_set_gpr_idx_on s13, gpr_idx(SRC0)
	v_mov_b32_e32 v123, v28
	s_set_gpr_idx_off
	ds_read2_b32 v[117:118], v114 offset1:1
	s_add_i32 s15, s8, -5
	s_set_gpr_idx_on s14, gpr_idx(SRC0)
	v_mov_b32_e32 v124, v28
	s_set_gpr_idx_off
	s_add_i32 s16, s8, -4
	s_set_gpr_idx_on s15, gpr_idx(SRC0)
	v_mov_b32_e32 v125, v28
	s_set_gpr_idx_off
	ds_read2_b32 v[119:120], v114 offset0:2 offset1:3
	s_add_i32 s17, s8, -3
	s_set_gpr_idx_on s16, gpr_idx(SRC0)
	v_mov_b32_e32 v126, v28
	s_set_gpr_idx_off
	s_add_i32 s18, s8, -2
	s_set_gpr_idx_on s17, gpr_idx(SRC0)
	v_mov_b32_e32 v127, v28
	s_set_gpr_idx_off
	ds_read2_b32 v[121:122], v114 offset0:4 offset1:5
	s_add_i32 s19, s8, -1
	s_waitcnt lgkmcnt(2)
	v_fmac_f32_e32 v113, v123, v117
	s_set_gpr_idx_on s18, gpr_idx(SRC0)
	v_mov_b32_e32 v123, v28
	s_set_gpr_idx_off
	v_fmac_f32_e32 v113, v124, v118
	s_set_gpr_idx_on s19, gpr_idx(SRC0)
	v_mov_b32_e32 v124, v28
	s_set_gpr_idx_off
	ds_read2_b32 v[117:118], v114 offset0:6 offset1:7
	s_waitcnt lgkmcnt(2)
	v_fmac_f32_e32 v113, v125, v119
	s_set_gpr_idx_on s8, gpr_idx(SRC0)
	v_mov_b32_e32 v119, v28
	s_set_gpr_idx_off
	v_fmac_f32_e32 v113, v126, v120
	s_add_u32 s8, s8, 8
	s_waitcnt lgkmcnt(1)
	v_fmac_f32_e32 v113, v127, v121
	v_add_u32_e32 v114, s8, v116
	v_fmac_f32_e32 v113, v123, v122
	s_addc_u32 s9, s9, 0
	s_add_i32 s12, s12, 32
	s_add_i32 s13, s8, -7
	v_cmp_eq_u32_e32 vcc, 12, v114
	s_waitcnt lgkmcnt(0)
	v_fmac_f32_e32 v113, v124, v117
	v_mov_b32_e32 v114, s13
	s_or_b64 s[10:11], vcc, s[10:11]
	v_fmac_f32_e32 v113, v119, v118
	s_andn2_b64 exec, exec, s[10:11]
	s_cbranch_execnz .LBB25_313
; %bb.314:
	s_or_b64 exec, exec, s[10:11]
.LBB25_315:
	s_or_b64 exec, exec, s[2:3]
	v_and_b32_e32 v54, 7, v115
	v_cmp_ne_u32_e32 vcc, 0, v54
	s_and_saveexec_b64 s[8:9], vcc
	s_cbranch_execz .LBB25_319
; %bb.316:
	v_mov_b32_e32 v55, 0x70
	v_lshl_add_u32 v55, v114, 2, v55
	v_mov_b32_e32 v56, 0
	s_mov_b64 s[10:11], 0
.LBB25_317:                             ; =>This Inner Loop Header: Depth=1
	v_cmp_eq_u32_e32 vcc, 1, v114
	v_cndmask_b32_e32 v57, v28, v29, vcc
	v_add_u32_e32 v54, -1, v54
	v_cmp_eq_u32_e32 vcc, 2, v114
	v_cndmask_b32_e32 v57, v57, v30, vcc
	v_cmp_eq_u32_e32 vcc, 0, v54
	v_cmp_eq_u32_e64 s[2:3], 3, v114
	v_cndmask_b32_e64 v57, v57, v31, s[2:3]
	s_or_b64 s[10:11], vcc, s[10:11]
	v_cmp_eq_u32_e32 vcc, 4, v114
	v_cndmask_b32_e32 v57, v57, v32, vcc
	v_cmp_eq_u32_e32 vcc, 5, v114
	v_cndmask_b32_e32 v57, v57, v33, vcc
	;; [unrolled: 2-line block ×17, first 2 shown]
	v_cmp_eq_u32_e32 vcc, 21, v114
	ds_read_b32 v58, v55
	v_cndmask_b32_e32 v57, v57, v49, vcc
	v_cmp_eq_u32_e32 vcc, 22, v114
	v_cndmask_b32_e32 v57, v57, v50, vcc
	v_cmp_eq_u32_e32 vcc, 23, v114
	;; [unrolled: 2-line block ×4, first 2 shown]
	v_add_co_u32_e64 v114, s[2:3], 1, v114
	v_cndmask_b32_e32 v57, v57, v53, vcc
	v_add_u32_e32 v55, 4, v55
	v_addc_co_u32_e64 v56, s[2:3], 0, v56, s[2:3]
	s_waitcnt lgkmcnt(0)
	v_fmac_f32_e32 v113, v57, v58
	s_andn2_b64 exec, exec, s[10:11]
	s_cbranch_execnz .LBB25_317
; %bb.318:
	s_or_b64 exec, exec, s[10:11]
.LBB25_319:
	s_or_b64 exec, exec, s[8:9]
.LBB25_320:
	s_or_b64 exec, exec, s[6:7]
	v_mov_b32_e32 v32, 0
	ds_read_b32 v32, v32 offset:16
	s_waitcnt lgkmcnt(0)
	v_mul_f32_e32 v32, v113, v32
.LBB25_321:
	s_or_b64 exec, exec, s[4:5]
	v_cmp_lt_u32_e64 s[2:3], 3, v0
	ds_write_b32 v112, v31
	s_waitcnt lgkmcnt(0)
	; wave barrier
	s_and_saveexec_b64 s[4:5], s[2:3]
	s_cbranch_execz .LBB25_337
; %bb.322:
	s_andn2_b64 vcc, exec, s[54:55]
	s_cbranch_vccnz .LBB25_324
; %bb.323:
	v_cmp_eq_u32_e32 vcc, 1, v0
	v_cndmask_b32_e32 v113, v28, v29, vcc
	v_cmp_eq_u32_e32 vcc, 2, v0
	v_cndmask_b32_e32 v113, v113, v30, vcc
	;; [unrolled: 2-line block ×21, first 2 shown]
	v_cmp_eq_u32_e32 vcc, 22, v0
	ds_read_b32 v114, v112
	v_cndmask_b32_e32 v113, v113, v50, vcc
	v_cmp_eq_u32_e32 vcc, 23, v0
	v_cndmask_b32_e32 v113, v113, v51, vcc
	v_cmp_eq_u32_e32 vcc, 24, v0
	;; [unrolled: 2-line block ×3, first 2 shown]
	v_cndmask_b32_e32 v113, v113, v53, vcc
	s_waitcnt lgkmcnt(0)
	v_mul_f32_e32 v113, v113, v114
	s_cbranch_execz .LBB25_325
	s_branch .LBB25_326
.LBB25_324:
                                        ; implicit-def: $vgpr113
.LBB25_325:
	ds_read_b32 v113, v112
.LBB25_326:
	s_and_saveexec_b64 s[6:7], s[0:1]
	s_cbranch_execz .LBB25_336
; %bb.327:
	v_add_u32_e32 v114, -5, v0
	v_add_u32_e32 v115, -4, v0
	v_cmp_lt_u32_e32 vcc, 6, v114
	v_mov_b32_e32 v114, 4
	s_and_saveexec_b64 s[0:1], vcc
	s_cbranch_execz .LBB25_331
; %bb.328:
	v_and_b32_e32 v114, -8, v115
	v_sub_u32_e32 v116, 0, v114
	s_mov_b64 s[8:9], 5
	s_movk_i32 s12, 0x80
	s_mov_b64 s[10:11], 0
.LBB25_329:                             ; =>This Inner Loop Header: Depth=1
	s_add_i32 s13, s8, -1
	v_mov_b32_e32 v114, s12
	s_set_gpr_idx_on s13, gpr_idx(SRC0)
	v_mov_b32_e32 v125, v28
	s_set_gpr_idx_off
	s_add_i32 s14, s8, 1
	ds_read_b128 v[117:120], v114
	ds_read_b128 v[121:124], v114 offset:16
	s_set_gpr_idx_on s8, gpr_idx(SRC0)
	v_mov_b32_e32 v126, v28
	s_set_gpr_idx_off
	s_add_i32 s15, s8, 2
	s_set_gpr_idx_on s14, gpr_idx(SRC0)
	v_mov_b32_e32 v127, v28
	s_set_gpr_idx_off
	s_add_i32 s16, s8, 3
	;; [unrolled: 4-line block ×4, first 2 shown]
	s_waitcnt lgkmcnt(1)
	v_fmac_f32_e32 v113, v125, v117
	s_set_gpr_idx_on s17, gpr_idx(SRC0)
	v_mov_b32_e32 v117, v28
	s_set_gpr_idx_off
	s_add_i32 s19, s8, 6
	v_fmac_f32_e32 v113, v126, v118
	s_set_gpr_idx_on s18, gpr_idx(SRC0)
	v_mov_b32_e32 v118, v28
	s_set_gpr_idx_off
	v_fmac_f32_e32 v113, v127, v119
	s_set_gpr_idx_on s19, gpr_idx(SRC0)
	v_mov_b32_e32 v119, v28
	s_set_gpr_idx_off
	v_fmac_f32_e32 v113, v128, v120
	s_add_u32 s8, s8, 8
	s_waitcnt lgkmcnt(0)
	v_fmac_f32_e32 v113, v129, v121
	v_add_u32_e32 v114, s8, v116
	v_fmac_f32_e32 v113, v117, v122
	s_addc_u32 s9, s9, 0
	s_add_i32 s12, s12, 32
	s_add_i32 s13, s8, -1
	v_cmp_eq_u32_e32 vcc, 5, v114
	v_fmac_f32_e32 v113, v118, v123
	v_mov_b32_e32 v114, s13
	s_or_b64 s[10:11], vcc, s[10:11]
	v_fmac_f32_e32 v113, v119, v124
	s_andn2_b64 exec, exec, s[10:11]
	s_cbranch_execnz .LBB25_329
; %bb.330:
	s_or_b64 exec, exec, s[10:11]
.LBB25_331:
	s_or_b64 exec, exec, s[0:1]
	v_and_b32_e32 v54, 7, v115
	v_cmp_ne_u32_e32 vcc, 0, v54
	s_and_saveexec_b64 s[8:9], vcc
	s_cbranch_execz .LBB25_335
; %bb.332:
	v_mov_b32_e32 v55, 0x70
	v_lshl_add_u32 v55, v114, 2, v55
	v_mov_b32_e32 v56, 0
	s_mov_b64 s[10:11], 0
.LBB25_333:                             ; =>This Inner Loop Header: Depth=1
	v_cmp_eq_u32_e32 vcc, 1, v114
	v_cndmask_b32_e32 v57, v28, v29, vcc
	v_add_u32_e32 v54, -1, v54
	v_cmp_eq_u32_e32 vcc, 2, v114
	v_cndmask_b32_e32 v57, v57, v30, vcc
	v_cmp_eq_u32_e32 vcc, 0, v54
	v_cmp_eq_u32_e64 s[0:1], 3, v114
	v_cndmask_b32_e64 v57, v57, v31, s[0:1]
	s_or_b64 s[10:11], vcc, s[10:11]
	v_cmp_eq_u32_e32 vcc, 4, v114
	v_cndmask_b32_e32 v57, v57, v32, vcc
	v_cmp_eq_u32_e32 vcc, 5, v114
	v_cndmask_b32_e32 v57, v57, v33, vcc
	;; [unrolled: 2-line block ×17, first 2 shown]
	v_cmp_eq_u32_e32 vcc, 21, v114
	ds_read_b32 v58, v55
	v_cndmask_b32_e32 v57, v57, v49, vcc
	v_cmp_eq_u32_e32 vcc, 22, v114
	v_cndmask_b32_e32 v57, v57, v50, vcc
	v_cmp_eq_u32_e32 vcc, 23, v114
	;; [unrolled: 2-line block ×4, first 2 shown]
	v_add_co_u32_e64 v114, s[0:1], 1, v114
	v_cndmask_b32_e32 v57, v57, v53, vcc
	v_add_u32_e32 v55, 4, v55
	v_addc_co_u32_e64 v56, s[0:1], 0, v56, s[0:1]
	s_waitcnt lgkmcnt(0)
	v_fmac_f32_e32 v113, v57, v58
	s_andn2_b64 exec, exec, s[10:11]
	s_cbranch_execnz .LBB25_333
; %bb.334:
	s_or_b64 exec, exec, s[10:11]
.LBB25_335:
	s_or_b64 exec, exec, s[8:9]
.LBB25_336:
	s_or_b64 exec, exec, s[6:7]
	v_mov_b32_e32 v31, 0
	ds_read_b32 v31, v31 offset:12
	s_waitcnt lgkmcnt(0)
	v_mul_f32_e32 v31, v113, v31
.LBB25_337:
	s_or_b64 exec, exec, s[4:5]
	v_cmp_lt_u32_e64 s[0:1], 2, v0
	ds_write_b32 v112, v30
	s_waitcnt lgkmcnt(0)
	; wave barrier
	s_and_saveexec_b64 s[4:5], s[0:1]
	s_cbranch_execz .LBB25_353
; %bb.338:
	s_andn2_b64 vcc, exec, s[54:55]
	s_cbranch_vccnz .LBB25_340
; %bb.339:
	v_cmp_eq_u32_e32 vcc, 1, v0
	v_cndmask_b32_e32 v113, v28, v29, vcc
	v_cmp_eq_u32_e32 vcc, 2, v0
	v_cndmask_b32_e32 v113, v113, v30, vcc
	;; [unrolled: 2-line block ×21, first 2 shown]
	v_cmp_eq_u32_e32 vcc, 22, v0
	ds_read_b32 v114, v112
	v_cndmask_b32_e32 v113, v113, v50, vcc
	v_cmp_eq_u32_e32 vcc, 23, v0
	v_cndmask_b32_e32 v113, v113, v51, vcc
	v_cmp_eq_u32_e32 vcc, 24, v0
	v_cndmask_b32_e32 v113, v113, v52, vcc
	v_cmp_eq_u32_e32 vcc, 25, v0
	v_cndmask_b32_e32 v113, v113, v53, vcc
	s_waitcnt lgkmcnt(0)
	v_mul_f32_e32 v113, v113, v114
	s_cbranch_execz .LBB25_341
	s_branch .LBB25_342
.LBB25_340:
                                        ; implicit-def: $vgpr113
.LBB25_341:
	ds_read_b32 v113, v112
.LBB25_342:
	s_and_saveexec_b64 s[6:7], s[2:3]
	s_cbranch_execz .LBB25_352
; %bb.343:
	v_add_u32_e32 v114, -4, v0
	v_add_u32_e32 v115, -3, v0
	v_cmp_lt_u32_e32 vcc, 6, v114
	v_mov_b32_e32 v114, 3
	s_and_saveexec_b64 s[2:3], vcc
	s_cbranch_execz .LBB25_347
; %bb.344:
	v_and_b32_e32 v114, -8, v115
	v_sub_u32_e32 v116, 0, v114
	s_mov_b64 s[8:9], 10
	s_movk_i32 s12, 0x7c
	s_mov_b64 s[10:11], 0
.LBB25_345:                             ; =>This Inner Loop Header: Depth=1
	s_add_i32 s13, s8, -7
	v_mov_b32_e32 v114, s12
	s_add_i32 s14, s8, -6
	s_set_gpr_idx_on s13, gpr_idx(SRC0)
	v_mov_b32_e32 v123, v28
	s_set_gpr_idx_off
	ds_read2_b32 v[117:118], v114 offset1:1
	s_add_i32 s15, s8, -5
	s_set_gpr_idx_on s14, gpr_idx(SRC0)
	v_mov_b32_e32 v124, v28
	s_set_gpr_idx_off
	s_add_i32 s16, s8, -4
	s_set_gpr_idx_on s15, gpr_idx(SRC0)
	v_mov_b32_e32 v125, v28
	s_set_gpr_idx_off
	ds_read2_b32 v[119:120], v114 offset0:2 offset1:3
	s_add_i32 s17, s8, -3
	s_set_gpr_idx_on s16, gpr_idx(SRC0)
	v_mov_b32_e32 v126, v28
	s_set_gpr_idx_off
	s_add_i32 s18, s8, -2
	s_set_gpr_idx_on s17, gpr_idx(SRC0)
	v_mov_b32_e32 v127, v28
	s_set_gpr_idx_off
	ds_read2_b32 v[121:122], v114 offset0:4 offset1:5
	s_add_i32 s19, s8, -1
	s_waitcnt lgkmcnt(2)
	v_fmac_f32_e32 v113, v123, v117
	s_set_gpr_idx_on s18, gpr_idx(SRC0)
	v_mov_b32_e32 v123, v28
	s_set_gpr_idx_off
	v_fmac_f32_e32 v113, v124, v118
	s_set_gpr_idx_on s19, gpr_idx(SRC0)
	v_mov_b32_e32 v124, v28
	s_set_gpr_idx_off
	ds_read2_b32 v[117:118], v114 offset0:6 offset1:7
	s_waitcnt lgkmcnt(2)
	v_fmac_f32_e32 v113, v125, v119
	s_set_gpr_idx_on s8, gpr_idx(SRC0)
	v_mov_b32_e32 v119, v28
	s_set_gpr_idx_off
	v_fmac_f32_e32 v113, v126, v120
	s_add_u32 s8, s8, 8
	s_waitcnt lgkmcnt(1)
	v_fmac_f32_e32 v113, v127, v121
	v_add_u32_e32 v114, s8, v116
	v_fmac_f32_e32 v113, v123, v122
	s_addc_u32 s9, s9, 0
	s_add_i32 s12, s12, 32
	s_add_i32 s13, s8, -7
	v_cmp_eq_u32_e32 vcc, 10, v114
	s_waitcnt lgkmcnt(0)
	v_fmac_f32_e32 v113, v124, v117
	v_mov_b32_e32 v114, s13
	s_or_b64 s[10:11], vcc, s[10:11]
	v_fmac_f32_e32 v113, v119, v118
	s_andn2_b64 exec, exec, s[10:11]
	s_cbranch_execnz .LBB25_345
; %bb.346:
	s_or_b64 exec, exec, s[10:11]
.LBB25_347:
	s_or_b64 exec, exec, s[2:3]
	v_and_b32_e32 v54, 7, v115
	v_cmp_ne_u32_e32 vcc, 0, v54
	s_and_saveexec_b64 s[8:9], vcc
	s_cbranch_execz .LBB25_351
; %bb.348:
	v_mov_b32_e32 v55, 0x70
	v_lshl_add_u32 v55, v114, 2, v55
	v_mov_b32_e32 v56, 0
	s_mov_b64 s[10:11], 0
.LBB25_349:                             ; =>This Inner Loop Header: Depth=1
	v_cmp_eq_u32_e32 vcc, 1, v114
	v_cndmask_b32_e32 v57, v28, v29, vcc
	v_add_u32_e32 v54, -1, v54
	v_cmp_eq_u32_e32 vcc, 2, v114
	v_cndmask_b32_e32 v57, v57, v30, vcc
	v_cmp_eq_u32_e32 vcc, 0, v54
	v_cmp_eq_u32_e64 s[2:3], 3, v114
	v_cndmask_b32_e64 v57, v57, v31, s[2:3]
	s_or_b64 s[10:11], vcc, s[10:11]
	v_cmp_eq_u32_e32 vcc, 4, v114
	v_cndmask_b32_e32 v57, v57, v32, vcc
	v_cmp_eq_u32_e32 vcc, 5, v114
	v_cndmask_b32_e32 v57, v57, v33, vcc
	;; [unrolled: 2-line block ×17, first 2 shown]
	v_cmp_eq_u32_e32 vcc, 21, v114
	ds_read_b32 v58, v55
	v_cndmask_b32_e32 v57, v57, v49, vcc
	v_cmp_eq_u32_e32 vcc, 22, v114
	v_cndmask_b32_e32 v57, v57, v50, vcc
	v_cmp_eq_u32_e32 vcc, 23, v114
	;; [unrolled: 2-line block ×4, first 2 shown]
	v_add_co_u32_e64 v114, s[2:3], 1, v114
	v_cndmask_b32_e32 v57, v57, v53, vcc
	v_add_u32_e32 v55, 4, v55
	v_addc_co_u32_e64 v56, s[2:3], 0, v56, s[2:3]
	s_waitcnt lgkmcnt(0)
	v_fmac_f32_e32 v113, v57, v58
	s_andn2_b64 exec, exec, s[10:11]
	s_cbranch_execnz .LBB25_349
; %bb.350:
	s_or_b64 exec, exec, s[10:11]
.LBB25_351:
	s_or_b64 exec, exec, s[8:9]
.LBB25_352:
	s_or_b64 exec, exec, s[6:7]
	v_mov_b32_e32 v30, 0
	ds_read_b32 v30, v30 offset:8
	s_waitcnt lgkmcnt(0)
	v_mul_f32_e32 v30, v113, v30
.LBB25_353:
	s_or_b64 exec, exec, s[4:5]
	v_cmp_lt_u32_e64 s[2:3], 1, v0
	ds_write_b32 v112, v29
	s_waitcnt lgkmcnt(0)
	; wave barrier
	s_and_saveexec_b64 s[4:5], s[2:3]
	s_cbranch_execz .LBB25_369
; %bb.354:
	s_andn2_b64 vcc, exec, s[54:55]
	s_cbranch_vccnz .LBB25_356
; %bb.355:
	v_cmp_eq_u32_e32 vcc, 1, v0
	v_cndmask_b32_e32 v113, v28, v29, vcc
	v_cmp_eq_u32_e32 vcc, 2, v0
	v_cndmask_b32_e32 v113, v113, v30, vcc
	;; [unrolled: 2-line block ×21, first 2 shown]
	v_cmp_eq_u32_e32 vcc, 22, v0
	ds_read_b32 v114, v112
	v_cndmask_b32_e32 v113, v113, v50, vcc
	v_cmp_eq_u32_e32 vcc, 23, v0
	v_cndmask_b32_e32 v113, v113, v51, vcc
	v_cmp_eq_u32_e32 vcc, 24, v0
	;; [unrolled: 2-line block ×3, first 2 shown]
	v_cndmask_b32_e32 v113, v113, v53, vcc
	s_waitcnt lgkmcnt(0)
	v_mul_f32_e32 v113, v113, v114
	s_cbranch_execz .LBB25_357
	s_branch .LBB25_358
.LBB25_356:
                                        ; implicit-def: $vgpr113
.LBB25_357:
	ds_read_b32 v113, v112
.LBB25_358:
	s_and_saveexec_b64 s[6:7], s[0:1]
	s_cbranch_execz .LBB25_368
; %bb.359:
	v_add_u32_e32 v114, -3, v0
	v_add_u32_e32 v115, -2, v0
	v_cmp_lt_u32_e32 vcc, 6, v114
	v_mov_b32_e32 v114, 2
	s_and_saveexec_b64 s[0:1], vcc
	s_cbranch_execz .LBB25_363
; %bb.360:
	v_and_b32_e32 v114, -8, v115
	v_sub_u32_e32 v116, 0, v114
	s_mov_b64 s[8:9], 9
	s_movk_i32 s12, 0x78
	s_mov_b64 s[10:11], 0
.LBB25_361:                             ; =>This Inner Loop Header: Depth=1
	s_add_i32 s13, s8, -7
	v_mov_b32_e32 v114, s12
	s_add_i32 s14, s8, -6
	s_set_gpr_idx_on s13, gpr_idx(SRC0)
	v_mov_b32_e32 v125, v28
	s_set_gpr_idx_off
	ds_read2_b64 v[117:120], v114 offset1:1
	s_add_i32 s15, s8, -5
	s_set_gpr_idx_on s14, gpr_idx(SRC0)
	v_mov_b32_e32 v126, v28
	s_set_gpr_idx_off
	s_add_i32 s16, s8, -4
	s_set_gpr_idx_on s15, gpr_idx(SRC0)
	v_mov_b32_e32 v127, v28
	s_set_gpr_idx_off
	s_add_i32 s17, s8, -3
	s_set_gpr_idx_on s16, gpr_idx(SRC0)
	v_mov_b32_e32 v128, v28
	s_set_gpr_idx_off
	s_add_i32 s18, s8, -2
	s_set_gpr_idx_on s17, gpr_idx(SRC0)
	v_mov_b32_e32 v129, v28
	s_set_gpr_idx_off
	ds_read2_b64 v[121:124], v114 offset0:2 offset1:3
	s_add_i32 s19, s8, -1
	s_waitcnt lgkmcnt(1)
	v_fmac_f32_e32 v113, v125, v117
	s_set_gpr_idx_on s18, gpr_idx(SRC0)
	v_mov_b32_e32 v117, v28
	s_set_gpr_idx_off
	v_fmac_f32_e32 v113, v126, v118
	s_set_gpr_idx_on s19, gpr_idx(SRC0)
	v_mov_b32_e32 v118, v28
	s_set_gpr_idx_off
	;; [unrolled: 4-line block ×3, first 2 shown]
	v_fmac_f32_e32 v113, v128, v120
	s_add_u32 s8, s8, 8
	s_waitcnt lgkmcnt(0)
	v_fmac_f32_e32 v113, v129, v121
	v_add_u32_e32 v114, s8, v116
	v_fmac_f32_e32 v113, v117, v122
	s_addc_u32 s9, s9, 0
	s_add_i32 s12, s12, 32
	s_add_i32 s13, s8, -7
	v_cmp_eq_u32_e32 vcc, 9, v114
	v_fmac_f32_e32 v113, v118, v123
	v_mov_b32_e32 v114, s13
	s_or_b64 s[10:11], vcc, s[10:11]
	v_fmac_f32_e32 v113, v119, v124
	s_andn2_b64 exec, exec, s[10:11]
	s_cbranch_execnz .LBB25_361
; %bb.362:
	s_or_b64 exec, exec, s[10:11]
.LBB25_363:
	s_or_b64 exec, exec, s[0:1]
	v_and_b32_e32 v54, 7, v115
	v_cmp_ne_u32_e32 vcc, 0, v54
	s_and_saveexec_b64 s[8:9], vcc
	s_cbranch_execz .LBB25_367
; %bb.364:
	v_mov_b32_e32 v55, 0x70
	v_lshl_add_u32 v55, v114, 2, v55
	v_mov_b32_e32 v56, 0
	s_mov_b64 s[10:11], 0
.LBB25_365:                             ; =>This Inner Loop Header: Depth=1
	v_cmp_eq_u32_e32 vcc, 1, v114
	v_cndmask_b32_e32 v57, v28, v29, vcc
	v_add_u32_e32 v54, -1, v54
	v_cmp_eq_u32_e32 vcc, 2, v114
	v_cndmask_b32_e32 v57, v57, v30, vcc
	v_cmp_eq_u32_e32 vcc, 0, v54
	v_cmp_eq_u32_e64 s[0:1], 3, v114
	v_cndmask_b32_e64 v57, v57, v31, s[0:1]
	s_or_b64 s[10:11], vcc, s[10:11]
	v_cmp_eq_u32_e32 vcc, 4, v114
	v_cndmask_b32_e32 v57, v57, v32, vcc
	v_cmp_eq_u32_e32 vcc, 5, v114
	v_cndmask_b32_e32 v57, v57, v33, vcc
	;; [unrolled: 2-line block ×17, first 2 shown]
	v_cmp_eq_u32_e32 vcc, 21, v114
	ds_read_b32 v58, v55
	v_cndmask_b32_e32 v57, v57, v49, vcc
	v_cmp_eq_u32_e32 vcc, 22, v114
	v_cndmask_b32_e32 v57, v57, v50, vcc
	v_cmp_eq_u32_e32 vcc, 23, v114
	;; [unrolled: 2-line block ×4, first 2 shown]
	v_add_co_u32_e64 v114, s[0:1], 1, v114
	v_cndmask_b32_e32 v57, v57, v53, vcc
	v_add_u32_e32 v55, 4, v55
	v_addc_co_u32_e64 v56, s[0:1], 0, v56, s[0:1]
	s_waitcnt lgkmcnt(0)
	v_fmac_f32_e32 v113, v57, v58
	s_andn2_b64 exec, exec, s[10:11]
	s_cbranch_execnz .LBB25_365
; %bb.366:
	s_or_b64 exec, exec, s[10:11]
.LBB25_367:
	s_or_b64 exec, exec, s[8:9]
.LBB25_368:
	s_or_b64 exec, exec, s[6:7]
	v_mov_b32_e32 v29, 0
	ds_read_b32 v29, v29 offset:4
	s_waitcnt lgkmcnt(0)
	v_mul_f32_e32 v29, v113, v29
.LBB25_369:
	s_or_b64 exec, exec, s[4:5]
	v_cmp_ne_u32_e32 vcc, 0, v0
	ds_write_b32 v112, v28
	s_waitcnt lgkmcnt(0)
	; wave barrier
	s_and_saveexec_b64 s[4:5], vcc
	s_cbranch_execz .LBB25_385
; %bb.370:
	s_andn2_b64 vcc, exec, s[54:55]
	s_cbranch_vccnz .LBB25_372
; %bb.371:
	v_cmp_eq_u32_e32 vcc, 1, v0
	v_cndmask_b32_e32 v113, v28, v29, vcc
	v_cmp_eq_u32_e32 vcc, 2, v0
	v_cndmask_b32_e32 v113, v113, v30, vcc
	;; [unrolled: 2-line block ×21, first 2 shown]
	v_cmp_eq_u32_e32 vcc, 22, v0
	ds_read_b32 v114, v112
	v_cndmask_b32_e32 v113, v113, v50, vcc
	v_cmp_eq_u32_e32 vcc, 23, v0
	v_cndmask_b32_e32 v113, v113, v51, vcc
	v_cmp_eq_u32_e32 vcc, 24, v0
	;; [unrolled: 2-line block ×3, first 2 shown]
	v_cndmask_b32_e32 v113, v113, v53, vcc
	s_waitcnt lgkmcnt(0)
	v_mul_f32_e32 v113, v113, v114
	s_cbranch_execz .LBB25_373
	s_branch .LBB25_374
.LBB25_372:
                                        ; implicit-def: $vgpr113
.LBB25_373:
	ds_read_b32 v113, v112
.LBB25_374:
	s_and_saveexec_b64 s[6:7], s[2:3]
	s_cbranch_execz .LBB25_384
; %bb.375:
	v_add_u32_e32 v114, -2, v0
	v_add_u32_e32 v115, -1, v0
	v_cmp_lt_u32_e32 vcc, 6, v114
	v_mov_b32_e32 v114, 1
	s_and_saveexec_b64 s[0:1], vcc
	s_cbranch_execz .LBB25_379
; %bb.376:
	v_and_b32_e32 v114, -8, v115
	v_sub_u32_e32 v116, 0, v114
	s_mov_b64 s[2:3], 8
	s_movk_i32 s10, 0x74
	s_mov_b64 s[8:9], 0
.LBB25_377:                             ; =>This Inner Loop Header: Depth=1
	s_add_i32 s11, s2, -7
	v_mov_b32_e32 v114, s10
	s_add_i32 s12, s2, -6
	s_set_gpr_idx_on s11, gpr_idx(SRC0)
	v_mov_b32_e32 v123, v28
	s_set_gpr_idx_off
	ds_read2_b32 v[117:118], v114 offset1:1
	s_add_i32 s13, s2, -5
	s_set_gpr_idx_on s12, gpr_idx(SRC0)
	v_mov_b32_e32 v124, v28
	s_set_gpr_idx_off
	s_add_i32 s14, s2, -4
	s_set_gpr_idx_on s13, gpr_idx(SRC0)
	v_mov_b32_e32 v125, v28
	s_set_gpr_idx_off
	ds_read2_b32 v[119:120], v114 offset0:2 offset1:3
	s_add_i32 s15, s2, -3
	s_set_gpr_idx_on s14, gpr_idx(SRC0)
	v_mov_b32_e32 v126, v28
	s_set_gpr_idx_off
	s_add_i32 s16, s2, -2
	s_set_gpr_idx_on s15, gpr_idx(SRC0)
	v_mov_b32_e32 v127, v28
	s_set_gpr_idx_off
	ds_read2_b32 v[121:122], v114 offset0:4 offset1:5
	s_add_i32 s17, s2, -1
	s_waitcnt lgkmcnt(2)
	v_fmac_f32_e32 v113, v123, v117
	s_set_gpr_idx_on s16, gpr_idx(SRC0)
	v_mov_b32_e32 v123, v28
	s_set_gpr_idx_off
	v_fmac_f32_e32 v113, v124, v118
	s_set_gpr_idx_on s17, gpr_idx(SRC0)
	v_mov_b32_e32 v124, v28
	s_set_gpr_idx_off
	ds_read2_b32 v[117:118], v114 offset0:6 offset1:7
	s_waitcnt lgkmcnt(2)
	v_fmac_f32_e32 v113, v125, v119
	s_set_gpr_idx_on s2, gpr_idx(SRC0)
	v_mov_b32_e32 v119, v28
	s_set_gpr_idx_off
	v_fmac_f32_e32 v113, v126, v120
	s_add_u32 s2, s2, 8
	s_waitcnt lgkmcnt(1)
	v_fmac_f32_e32 v113, v127, v121
	v_add_u32_e32 v114, s2, v116
	v_fmac_f32_e32 v113, v123, v122
	s_addc_u32 s3, s3, 0
	s_add_i32 s10, s10, 32
	s_add_i32 s11, s2, -7
	v_cmp_eq_u32_e32 vcc, 8, v114
	s_waitcnt lgkmcnt(0)
	v_fmac_f32_e32 v113, v124, v117
	v_mov_b32_e32 v114, s11
	s_or_b64 s[8:9], vcc, s[8:9]
	v_fmac_f32_e32 v113, v119, v118
	s_andn2_b64 exec, exec, s[8:9]
	s_cbranch_execnz .LBB25_377
; %bb.378:
	s_or_b64 exec, exec, s[8:9]
.LBB25_379:
	s_or_b64 exec, exec, s[0:1]
	v_and_b32_e32 v54, 7, v115
	v_cmp_ne_u32_e32 vcc, 0, v54
	s_and_saveexec_b64 s[2:3], vcc
	s_cbranch_execz .LBB25_383
; %bb.380:
	v_mov_b32_e32 v55, 0x70
	v_lshl_add_u32 v55, v114, 2, v55
	v_mov_b32_e32 v56, 0
	s_mov_b64 s[8:9], 0
.LBB25_381:                             ; =>This Inner Loop Header: Depth=1
	v_cmp_eq_u32_e32 vcc, 1, v114
	v_cndmask_b32_e32 v57, v28, v29, vcc
	v_add_u32_e32 v54, -1, v54
	v_cmp_eq_u32_e32 vcc, 2, v114
	v_cndmask_b32_e32 v57, v57, v30, vcc
	v_cmp_eq_u32_e32 vcc, 0, v54
	v_cmp_eq_u32_e64 s[0:1], 3, v114
	v_cndmask_b32_e64 v57, v57, v31, s[0:1]
	s_or_b64 s[8:9], vcc, s[8:9]
	v_cmp_eq_u32_e32 vcc, 4, v114
	v_cndmask_b32_e32 v57, v57, v32, vcc
	v_cmp_eq_u32_e32 vcc, 5, v114
	v_cndmask_b32_e32 v57, v57, v33, vcc
	;; [unrolled: 2-line block ×17, first 2 shown]
	v_cmp_eq_u32_e32 vcc, 21, v114
	ds_read_b32 v58, v55
	v_cndmask_b32_e32 v57, v57, v49, vcc
	v_cmp_eq_u32_e32 vcc, 22, v114
	v_cndmask_b32_e32 v57, v57, v50, vcc
	v_cmp_eq_u32_e32 vcc, 23, v114
	;; [unrolled: 2-line block ×4, first 2 shown]
	v_add_co_u32_e64 v114, s[0:1], 1, v114
	v_cndmask_b32_e32 v57, v57, v53, vcc
	v_add_u32_e32 v55, 4, v55
	v_addc_co_u32_e64 v56, s[0:1], 0, v56, s[0:1]
	s_waitcnt lgkmcnt(0)
	v_fmac_f32_e32 v113, v57, v58
	s_andn2_b64 exec, exec, s[8:9]
	s_cbranch_execnz .LBB25_381
; %bb.382:
	s_or_b64 exec, exec, s[8:9]
.LBB25_383:
	s_or_b64 exec, exec, s[2:3]
.LBB25_384:
	s_or_b64 exec, exec, s[6:7]
	v_mov_b32_e32 v28, 0
	ds_read_b32 v28, v28
	s_waitcnt lgkmcnt(0)
	v_mul_f32_e32 v28, v113, v28
.LBB25_385:
	s_or_b64 exec, exec, s[4:5]
	s_branch .LBB25_639
.LBB25_386:
	v_cmp_eq_u32_e64 s[2:3], 0, v0
	s_waitcnt vmcnt(25)
	ds_write_b32 v112, v3
	s_waitcnt lgkmcnt(0)
	; wave barrier
	s_and_saveexec_b64 s[0:1], s[2:3]
	s_cbranch_execz .LBB25_392
; %bb.387:
	s_and_b64 vcc, exec, s[54:55]
	s_cbranch_vccz .LBB25_389
; %bb.388:
	v_cmp_eq_u32_e32 vcc, 1, v0
	s_waitcnt vmcnt(1)
	v_cndmask_b32_e32 v3, v2, v3, vcc
	v_cmp_eq_u32_e32 vcc, 2, v0
	v_cndmask_b32_e32 v3, v3, v4, vcc
	v_cmp_eq_u32_e32 vcc, 3, v0
	;; [unrolled: 2-line block ×21, first 2 shown]
	ds_read_b32 v28, v112
	v_cndmask_b32_e32 v3, v3, v24, vcc
	v_cmp_eq_u32_e32 vcc, 23, v0
	v_cndmask_b32_e32 v3, v3, v25, vcc
	v_cmp_eq_u32_e32 vcc, 24, v0
	;; [unrolled: 2-line block ×3, first 2 shown]
	s_waitcnt vmcnt(0)
	v_cndmask_b32_e32 v3, v3, v27, vcc
	s_waitcnt lgkmcnt(0)
	v_mul_f32_e32 v3, v3, v28
	s_cbranch_execz .LBB25_390
	s_branch .LBB25_391
.LBB25_389:
                                        ; implicit-def: $vgpr3
.LBB25_390:
	ds_read_b32 v3, v112
.LBB25_391:
	v_mov_b32_e32 v28, 0
	ds_read_b32 v28, v28 offset:4
	s_waitcnt lgkmcnt(0)
	v_mul_f32_e32 v3, v3, v28
.LBB25_392:
	s_or_b64 exec, exec, s[0:1]
	v_cndmask_b32_e64 v28, 0, 1, s[54:55]
	v_cmp_gt_u32_e32 vcc, 2, v0
	v_cmp_ne_u32_e64 s[0:1], 1, v28
	s_waitcnt vmcnt(24)
	ds_write_b32 v112, v4
	s_waitcnt lgkmcnt(0)
	; wave barrier
	s_and_saveexec_b64 s[4:5], vcc
	s_cbranch_execz .LBB25_398
; %bb.393:
	s_and_b64 vcc, exec, s[0:1]
	s_cbranch_vccnz .LBB25_395
; %bb.394:
	v_cmp_eq_u32_e32 vcc, 1, v0
	s_waitcnt vmcnt(1)
	v_cndmask_b32_e32 v28, v2, v3, vcc
	v_cmp_eq_u32_e32 vcc, 2, v0
	v_cndmask_b32_e32 v4, v28, v4, vcc
	v_cmp_eq_u32_e32 vcc, 3, v0
	;; [unrolled: 2-line block ×21, first 2 shown]
	ds_read_b32 v28, v112
	v_cndmask_b32_e32 v4, v4, v24, vcc
	v_cmp_eq_u32_e32 vcc, 23, v0
	v_cndmask_b32_e32 v4, v4, v25, vcc
	v_cmp_eq_u32_e32 vcc, 24, v0
	;; [unrolled: 2-line block ×3, first 2 shown]
	s_waitcnt vmcnt(0)
	v_cndmask_b32_e32 v4, v4, v27, vcc
	s_waitcnt lgkmcnt(0)
	v_mul_f32_e32 v4, v4, v28
	s_cbranch_execz .LBB25_396
	s_branch .LBB25_397
.LBB25_395:
                                        ; implicit-def: $vgpr4
.LBB25_396:
	ds_read_b32 v4, v112
.LBB25_397:
	v_mov_b32_e32 v28, 0
	ds_read2_b32 v[28:29], v28 offset0:2 offset1:29
	s_waitcnt lgkmcnt(0)
	v_fma_f32 v29, v3, v29, v4
	v_cndmask_b32_e64 v4, v4, v29, s[2:3]
	v_mul_f32_e32 v4, v4, v28
.LBB25_398:
	s_or_b64 exec, exec, s[4:5]
	v_add_u32_e32 v30, 1, v0
	v_cmp_gt_u32_e64 s[4:5], 3, v0
	s_waitcnt vmcnt(23)
	ds_write_b32 v112, v5
	s_waitcnt lgkmcnt(0)
	; wave barrier
	s_and_saveexec_b64 s[6:7], s[4:5]
	s_cbranch_execz .LBB25_406
; %bb.399:
	s_and_b64 vcc, exec, s[0:1]
	s_cbranch_vccnz .LBB25_401
; %bb.400:
	v_cmp_eq_u32_e32 vcc, 1, v0
	s_waitcnt vmcnt(1)
	v_cndmask_b32_e32 v28, v2, v3, vcc
	v_cmp_eq_u32_e32 vcc, 2, v0
	v_cndmask_b32_e32 v28, v28, v4, vcc
	v_cmp_eq_u32_e32 vcc, 3, v0
	;; [unrolled: 2-line block ×21, first 2 shown]
	ds_read_b32 v29, v112
	v_cndmask_b32_e32 v28, v28, v24, vcc
	v_cmp_eq_u32_e32 vcc, 23, v0
	v_cndmask_b32_e32 v28, v28, v25, vcc
	v_cmp_eq_u32_e32 vcc, 24, v0
	;; [unrolled: 2-line block ×3, first 2 shown]
	s_waitcnt vmcnt(0)
	v_cndmask_b32_e32 v28, v28, v27, vcc
	s_waitcnt lgkmcnt(0)
	v_mul_f32_e32 v28, v28, v29
	s_cbranch_execz .LBB25_402
	s_branch .LBB25_403
.LBB25_401:
                                        ; implicit-def: $vgpr28
.LBB25_402:
	ds_read_b32 v28, v112
.LBB25_403:
	v_cmp_ne_u32_e32 vcc, 2, v0
	s_and_saveexec_b64 s[8:9], vcc
	s_cbranch_execz .LBB25_405
; %bb.404:
	v_cmp_eq_u32_e32 vcc, 1, v30
	s_waitcnt vmcnt(1)
	v_cndmask_b32_e32 v29, v2, v3, vcc
	v_cmp_eq_u32_e32 vcc, 2, v30
	v_cndmask_b32_e32 v29, v29, v4, vcc
	v_cmp_eq_u32_e32 vcc, 3, v30
	;; [unrolled: 2-line block ×21, first 2 shown]
	v_mov_b32_e32 v29, 0
	v_cndmask_b32_e32 v5, v5, v24, vcc
	v_cmp_eq_u32_e32 vcc, 23, v30
	ds_read_b32 v31, v112 offset:4
	ds_read_b32 v29, v29 offset:120
	v_cndmask_b32_e32 v5, v5, v25, vcc
	v_cmp_eq_u32_e32 vcc, 24, v30
	v_cndmask_b32_e32 v5, v5, v26, vcc
	v_cmp_eq_u32_e32 vcc, 25, v30
	s_waitcnt vmcnt(0)
	v_cndmask_b32_e32 v5, v5, v27, vcc
	s_waitcnt lgkmcnt(1)
	v_fmac_f32_e32 v28, v5, v31
	s_waitcnt lgkmcnt(0)
	v_fma_f32 v5, v4, v29, v28
	v_cndmask_b32_e64 v28, v28, v5, s[2:3]
.LBB25_405:
	s_or_b64 exec, exec, s[8:9]
	v_mov_b32_e32 v5, 0
	ds_read_b32 v5, v5 offset:12
	s_waitcnt lgkmcnt(0)
	v_mul_f32_e32 v5, v28, v5
.LBB25_406:
	s_or_b64 exec, exec, s[6:7]
	v_cmp_gt_u32_e32 vcc, 4, v0
	s_waitcnt vmcnt(22)
	ds_write_b32 v112, v6
	s_waitcnt lgkmcnt(0)
	; wave barrier
	s_and_saveexec_b64 s[8:9], vcc
	s_cbranch_execz .LBB25_416
; %bb.407:
	s_and_b64 vcc, exec, s[0:1]
	s_cbranch_vccnz .LBB25_409
; %bb.408:
	v_cmp_eq_u32_e32 vcc, 1, v0
	s_waitcnt vmcnt(1)
	v_cndmask_b32_e32 v28, v2, v3, vcc
	v_cmp_eq_u32_e32 vcc, 2, v0
	v_cndmask_b32_e32 v28, v28, v4, vcc
	v_cmp_eq_u32_e32 vcc, 3, v0
	;; [unrolled: 2-line block ×21, first 2 shown]
	ds_read_b32 v29, v112
	v_cndmask_b32_e32 v28, v28, v24, vcc
	v_cmp_eq_u32_e32 vcc, 23, v0
	v_cndmask_b32_e32 v28, v28, v25, vcc
	v_cmp_eq_u32_e32 vcc, 24, v0
	;; [unrolled: 2-line block ×3, first 2 shown]
	s_waitcnt vmcnt(0)
	v_cndmask_b32_e32 v28, v28, v27, vcc
	s_waitcnt lgkmcnt(0)
	v_mul_f32_e32 v31, v28, v29
	s_cbranch_execz .LBB25_410
	s_branch .LBB25_411
.LBB25_409:
                                        ; implicit-def: $vgpr31
.LBB25_410:
	ds_read_b32 v31, v112
.LBB25_411:
	v_cmp_ne_u32_e32 vcc, 3, v0
	s_and_saveexec_b64 s[10:11], vcc
	s_cbranch_execz .LBB25_415
; %bb.412:
	v_mov_b32_e32 v28, 0x74
	v_lshl_add_u32 v32, v0, 2, v28
	v_mov_b32_e32 v29, v1
	s_mov_b64 s[12:13], 0
	v_mov_b32_e32 v28, v0
.LBB25_413:                             ; =>This Inner Loop Header: Depth=1
	v_add_co_u32_e32 v28, vcc, 1, v28
	v_addc_co_u32_e32 v29, vcc, 0, v29, vcc
	v_cmp_eq_u32_e32 vcc, 1, v28
	s_waitcnt vmcnt(1)
	v_cndmask_b32_e32 v34, v2, v3, vcc
	v_cmp_lt_u32_e32 vcc, 2, v28
	v_cmp_eq_u32_e64 s[6:7], 2, v28
	v_cndmask_b32_e64 v34, v34, v4, s[6:7]
	s_or_b64 s[12:13], vcc, s[12:13]
	v_cmp_eq_u32_e32 vcc, 3, v28
	v_cndmask_b32_e32 v34, v34, v5, vcc
	v_cmp_eq_u32_e32 vcc, 4, v28
	v_cndmask_b32_e32 v34, v34, v6, vcc
	;; [unrolled: 2-line block ×18, first 2 shown]
	v_cmp_eq_u32_e32 vcc, 21, v28
	ds_read_b32 v33, v32
	v_cndmask_b32_e32 v34, v34, v23, vcc
	v_cmp_eq_u32_e32 vcc, 22, v28
	v_cndmask_b32_e32 v34, v34, v24, vcc
	v_cmp_eq_u32_e32 vcc, 23, v28
	;; [unrolled: 2-line block ×4, first 2 shown]
	s_waitcnt vmcnt(0)
	v_cndmask_b32_e32 v34, v34, v27, vcc
	v_add_u32_e32 v32, 4, v32
	s_waitcnt lgkmcnt(0)
	v_fmac_f32_e32 v31, v34, v33
	s_andn2_b64 exec, exec, s[12:13]
	s_cbranch_execnz .LBB25_413
; %bb.414:
	s_or_b64 exec, exec, s[12:13]
.LBB25_415:
	s_or_b64 exec, exec, s[10:11]
	v_mov_b32_e32 v6, 0
	ds_read_b32 v6, v6 offset:16
	s_waitcnt lgkmcnt(0)
	v_mul_f32_e32 v6, v31, v6
.LBB25_416:
	s_or_b64 exec, exec, s[8:9]
	v_cmp_gt_u32_e64 s[6:7], 5, v0
	s_waitcnt vmcnt(21)
	ds_write_b32 v112, v7
	s_waitcnt lgkmcnt(0)
	; wave barrier
	s_and_saveexec_b64 s[10:11], s[6:7]
	s_cbranch_execz .LBB25_426
; %bb.417:
	s_and_b64 vcc, exec, s[0:1]
	s_cbranch_vccnz .LBB25_419
; %bb.418:
	v_cmp_eq_u32_e32 vcc, 1, v0
	s_waitcnt vmcnt(1)
	v_cndmask_b32_e32 v28, v2, v3, vcc
	v_cmp_eq_u32_e32 vcc, 2, v0
	v_cndmask_b32_e32 v28, v28, v4, vcc
	v_cmp_eq_u32_e32 vcc, 3, v0
	v_cndmask_b32_e32 v28, v28, v5, vcc
	v_cmp_eq_u32_e32 vcc, 4, v0
	v_cndmask_b32_e32 v28, v28, v6, vcc
	v_cmp_eq_u32_e32 vcc, 5, v0
	v_cndmask_b32_e32 v28, v28, v7, vcc
	v_cmp_eq_u32_e32 vcc, 6, v0
	v_cndmask_b32_e32 v28, v28, v8, vcc
	v_cmp_eq_u32_e32 vcc, 7, v0
	v_cndmask_b32_e32 v28, v28, v9, vcc
	v_cmp_eq_u32_e32 vcc, 8, v0
	v_cndmask_b32_e32 v28, v28, v10, vcc
	v_cmp_eq_u32_e32 vcc, 9, v0
	v_cndmask_b32_e32 v28, v28, v11, vcc
	v_cmp_eq_u32_e32 vcc, 10, v0
	v_cndmask_b32_e32 v28, v28, v12, vcc
	v_cmp_eq_u32_e32 vcc, 11, v0
	v_cndmask_b32_e32 v28, v28, v13, vcc
	v_cmp_eq_u32_e32 vcc, 12, v0
	v_cndmask_b32_e32 v28, v28, v14, vcc
	v_cmp_eq_u32_e32 vcc, 13, v0
	v_cndmask_b32_e32 v28, v28, v15, vcc
	v_cmp_eq_u32_e32 vcc, 14, v0
	v_cndmask_b32_e32 v28, v28, v16, vcc
	v_cmp_eq_u32_e32 vcc, 15, v0
	v_cndmask_b32_e32 v28, v28, v17, vcc
	v_cmp_eq_u32_e32 vcc, 16, v0
	v_cndmask_b32_e32 v28, v28, v18, vcc
	v_cmp_eq_u32_e32 vcc, 17, v0
	v_cndmask_b32_e32 v28, v28, v19, vcc
	v_cmp_eq_u32_e32 vcc, 18, v0
	v_cndmask_b32_e32 v28, v28, v20, vcc
	v_cmp_eq_u32_e32 vcc, 19, v0
	v_cndmask_b32_e32 v28, v28, v21, vcc
	v_cmp_eq_u32_e32 vcc, 20, v0
	v_cndmask_b32_e32 v28, v28, v22, vcc
	v_cmp_eq_u32_e32 vcc, 21, v0
	v_cndmask_b32_e32 v28, v28, v23, vcc
	v_cmp_eq_u32_e32 vcc, 22, v0
	ds_read_b32 v29, v112
	v_cndmask_b32_e32 v28, v28, v24, vcc
	v_cmp_eq_u32_e32 vcc, 23, v0
	v_cndmask_b32_e32 v28, v28, v25, vcc
	v_cmp_eq_u32_e32 vcc, 24, v0
	;; [unrolled: 2-line block ×3, first 2 shown]
	s_waitcnt vmcnt(0)
	v_cndmask_b32_e32 v28, v28, v27, vcc
	s_waitcnt lgkmcnt(0)
	v_mul_f32_e32 v31, v28, v29
	s_cbranch_execz .LBB25_420
	s_branch .LBB25_421
.LBB25_419:
                                        ; implicit-def: $vgpr31
.LBB25_420:
	ds_read_b32 v31, v112
.LBB25_421:
	v_cmp_ne_u32_e32 vcc, 4, v0
	s_and_saveexec_b64 s[12:13], vcc
	s_cbranch_execz .LBB25_425
; %bb.422:
	v_mov_b32_e32 v28, 0x74
	v_lshl_add_u32 v32, v0, 2, v28
	v_mov_b32_e32 v29, v1
	s_mov_b64 s[14:15], 0
	v_mov_b32_e32 v28, v0
.LBB25_423:                             ; =>This Inner Loop Header: Depth=1
	v_add_co_u32_e32 v28, vcc, 1, v28
	v_addc_co_u32_e32 v29, vcc, 0, v29, vcc
	v_cmp_eq_u32_e32 vcc, 1, v28
	s_waitcnt vmcnt(1)
	v_cndmask_b32_e32 v34, v2, v3, vcc
	v_cmp_lt_u32_e32 vcc, 3, v28
	v_cmp_eq_u32_e64 s[8:9], 2, v28
	v_cndmask_b32_e64 v34, v34, v4, s[8:9]
	s_or_b64 s[14:15], vcc, s[14:15]
	v_cmp_eq_u32_e32 vcc, 3, v28
	v_cndmask_b32_e32 v34, v34, v5, vcc
	v_cmp_eq_u32_e32 vcc, 4, v28
	v_cndmask_b32_e32 v34, v34, v6, vcc
	;; [unrolled: 2-line block ×18, first 2 shown]
	v_cmp_eq_u32_e32 vcc, 21, v28
	ds_read_b32 v33, v32
	v_cndmask_b32_e32 v34, v34, v23, vcc
	v_cmp_eq_u32_e32 vcc, 22, v28
	v_cndmask_b32_e32 v34, v34, v24, vcc
	v_cmp_eq_u32_e32 vcc, 23, v28
	;; [unrolled: 2-line block ×4, first 2 shown]
	s_waitcnt vmcnt(0)
	v_cndmask_b32_e32 v34, v34, v27, vcc
	v_add_u32_e32 v32, 4, v32
	s_waitcnt lgkmcnt(0)
	v_fmac_f32_e32 v31, v34, v33
	s_andn2_b64 exec, exec, s[14:15]
	s_cbranch_execnz .LBB25_423
; %bb.424:
	s_or_b64 exec, exec, s[14:15]
.LBB25_425:
	s_or_b64 exec, exec, s[12:13]
	v_mov_b32_e32 v7, 0
	ds_read_b32 v7, v7 offset:20
	s_waitcnt lgkmcnt(0)
	v_mul_f32_e32 v7, v31, v7
.LBB25_426:
	s_or_b64 exec, exec, s[10:11]
	v_cmp_gt_u32_e32 vcc, 6, v0
	s_waitcnt vmcnt(20)
	ds_write_b32 v112, v8
	s_waitcnt lgkmcnt(0)
	; wave barrier
	s_and_saveexec_b64 s[10:11], vcc
	s_cbranch_execz .LBB25_436
; %bb.427:
	s_and_b64 vcc, exec, s[0:1]
	s_cbranch_vccnz .LBB25_429
; %bb.428:
	v_cmp_eq_u32_e32 vcc, 1, v0
	s_waitcnt vmcnt(1)
	v_cndmask_b32_e32 v28, v2, v3, vcc
	v_cmp_eq_u32_e32 vcc, 2, v0
	v_cndmask_b32_e32 v28, v28, v4, vcc
	v_cmp_eq_u32_e32 vcc, 3, v0
	;; [unrolled: 2-line block ×21, first 2 shown]
	ds_read_b32 v29, v112
	v_cndmask_b32_e32 v28, v28, v24, vcc
	v_cmp_eq_u32_e32 vcc, 23, v0
	v_cndmask_b32_e32 v28, v28, v25, vcc
	v_cmp_eq_u32_e32 vcc, 24, v0
	;; [unrolled: 2-line block ×3, first 2 shown]
	s_waitcnt vmcnt(0)
	v_cndmask_b32_e32 v28, v28, v27, vcc
	s_waitcnt lgkmcnt(0)
	v_mul_f32_e32 v31, v28, v29
	s_cbranch_execz .LBB25_430
	s_branch .LBB25_431
.LBB25_429:
                                        ; implicit-def: $vgpr31
.LBB25_430:
	ds_read_b32 v31, v112
.LBB25_431:
	v_cmp_ne_u32_e32 vcc, 5, v0
	s_and_saveexec_b64 s[12:13], vcc
	s_cbranch_execz .LBB25_435
; %bb.432:
	v_mov_b32_e32 v28, 0x74
	v_lshl_add_u32 v32, v0, 2, v28
	v_mov_b32_e32 v29, v1
	s_mov_b64 s[14:15], 0
	v_mov_b32_e32 v28, v0
.LBB25_433:                             ; =>This Inner Loop Header: Depth=1
	v_add_co_u32_e32 v28, vcc, 1, v28
	v_addc_co_u32_e32 v29, vcc, 0, v29, vcc
	v_cmp_eq_u32_e32 vcc, 1, v28
	s_waitcnt vmcnt(1)
	v_cndmask_b32_e32 v34, v2, v3, vcc
	v_cmp_lt_u32_e32 vcc, 4, v28
	v_cmp_eq_u32_e64 s[8:9], 2, v28
	v_cndmask_b32_e64 v34, v34, v4, s[8:9]
	s_or_b64 s[14:15], vcc, s[14:15]
	v_cmp_eq_u32_e32 vcc, 3, v28
	v_cndmask_b32_e32 v34, v34, v5, vcc
	v_cmp_eq_u32_e32 vcc, 4, v28
	v_cndmask_b32_e32 v34, v34, v6, vcc
	;; [unrolled: 2-line block ×18, first 2 shown]
	v_cmp_eq_u32_e32 vcc, 21, v28
	ds_read_b32 v33, v32
	v_cndmask_b32_e32 v34, v34, v23, vcc
	v_cmp_eq_u32_e32 vcc, 22, v28
	v_cndmask_b32_e32 v34, v34, v24, vcc
	v_cmp_eq_u32_e32 vcc, 23, v28
	;; [unrolled: 2-line block ×4, first 2 shown]
	s_waitcnt vmcnt(0)
	v_cndmask_b32_e32 v34, v34, v27, vcc
	v_add_u32_e32 v32, 4, v32
	s_waitcnt lgkmcnt(0)
	v_fmac_f32_e32 v31, v34, v33
	s_andn2_b64 exec, exec, s[14:15]
	s_cbranch_execnz .LBB25_433
; %bb.434:
	s_or_b64 exec, exec, s[14:15]
.LBB25_435:
	s_or_b64 exec, exec, s[12:13]
	v_mov_b32_e32 v8, 0
	ds_read_b32 v8, v8 offset:24
	s_waitcnt lgkmcnt(0)
	v_mul_f32_e32 v8, v31, v8
.LBB25_436:
	s_or_b64 exec, exec, s[10:11]
	v_cmp_gt_u32_e64 s[8:9], 7, v0
	s_waitcnt vmcnt(19)
	ds_write_b32 v112, v9
	s_waitcnt lgkmcnt(0)
	; wave barrier
	s_and_saveexec_b64 s[12:13], s[8:9]
	s_cbranch_execz .LBB25_446
; %bb.437:
	s_and_b64 vcc, exec, s[0:1]
	s_cbranch_vccnz .LBB25_439
; %bb.438:
	v_cmp_eq_u32_e32 vcc, 1, v0
	s_waitcnt vmcnt(1)
	v_cndmask_b32_e32 v28, v2, v3, vcc
	v_cmp_eq_u32_e32 vcc, 2, v0
	v_cndmask_b32_e32 v28, v28, v4, vcc
	v_cmp_eq_u32_e32 vcc, 3, v0
	v_cndmask_b32_e32 v28, v28, v5, vcc
	v_cmp_eq_u32_e32 vcc, 4, v0
	v_cndmask_b32_e32 v28, v28, v6, vcc
	v_cmp_eq_u32_e32 vcc, 5, v0
	v_cndmask_b32_e32 v28, v28, v7, vcc
	v_cmp_eq_u32_e32 vcc, 6, v0
	v_cndmask_b32_e32 v28, v28, v8, vcc
	v_cmp_eq_u32_e32 vcc, 7, v0
	v_cndmask_b32_e32 v28, v28, v9, vcc
	v_cmp_eq_u32_e32 vcc, 8, v0
	v_cndmask_b32_e32 v28, v28, v10, vcc
	v_cmp_eq_u32_e32 vcc, 9, v0
	v_cndmask_b32_e32 v28, v28, v11, vcc
	v_cmp_eq_u32_e32 vcc, 10, v0
	v_cndmask_b32_e32 v28, v28, v12, vcc
	v_cmp_eq_u32_e32 vcc, 11, v0
	v_cndmask_b32_e32 v28, v28, v13, vcc
	v_cmp_eq_u32_e32 vcc, 12, v0
	v_cndmask_b32_e32 v28, v28, v14, vcc
	v_cmp_eq_u32_e32 vcc, 13, v0
	v_cndmask_b32_e32 v28, v28, v15, vcc
	v_cmp_eq_u32_e32 vcc, 14, v0
	v_cndmask_b32_e32 v28, v28, v16, vcc
	v_cmp_eq_u32_e32 vcc, 15, v0
	v_cndmask_b32_e32 v28, v28, v17, vcc
	v_cmp_eq_u32_e32 vcc, 16, v0
	v_cndmask_b32_e32 v28, v28, v18, vcc
	v_cmp_eq_u32_e32 vcc, 17, v0
	v_cndmask_b32_e32 v28, v28, v19, vcc
	v_cmp_eq_u32_e32 vcc, 18, v0
	v_cndmask_b32_e32 v28, v28, v20, vcc
	v_cmp_eq_u32_e32 vcc, 19, v0
	v_cndmask_b32_e32 v28, v28, v21, vcc
	v_cmp_eq_u32_e32 vcc, 20, v0
	v_cndmask_b32_e32 v28, v28, v22, vcc
	v_cmp_eq_u32_e32 vcc, 21, v0
	v_cndmask_b32_e32 v28, v28, v23, vcc
	v_cmp_eq_u32_e32 vcc, 22, v0
	ds_read_b32 v29, v112
	v_cndmask_b32_e32 v28, v28, v24, vcc
	v_cmp_eq_u32_e32 vcc, 23, v0
	v_cndmask_b32_e32 v28, v28, v25, vcc
	v_cmp_eq_u32_e32 vcc, 24, v0
	;; [unrolled: 2-line block ×3, first 2 shown]
	s_waitcnt vmcnt(0)
	v_cndmask_b32_e32 v28, v28, v27, vcc
	s_waitcnt lgkmcnt(0)
	v_mul_f32_e32 v31, v28, v29
	s_cbranch_execz .LBB25_440
	s_branch .LBB25_441
.LBB25_439:
                                        ; implicit-def: $vgpr31
.LBB25_440:
	ds_read_b32 v31, v112
.LBB25_441:
	v_cmp_ne_u32_e32 vcc, 6, v0
	s_and_saveexec_b64 s[14:15], vcc
	s_cbranch_execz .LBB25_445
; %bb.442:
	v_mov_b32_e32 v28, 0x74
	v_lshl_add_u32 v32, v0, 2, v28
	v_mov_b32_e32 v29, v1
	s_mov_b64 s[16:17], 0
	v_mov_b32_e32 v28, v0
.LBB25_443:                             ; =>This Inner Loop Header: Depth=1
	v_add_co_u32_e32 v28, vcc, 1, v28
	v_addc_co_u32_e32 v29, vcc, 0, v29, vcc
	v_cmp_eq_u32_e32 vcc, 1, v28
	s_waitcnt vmcnt(1)
	v_cndmask_b32_e32 v34, v2, v3, vcc
	v_cmp_lt_u32_e32 vcc, 5, v28
	v_cmp_eq_u32_e64 s[10:11], 2, v28
	v_cndmask_b32_e64 v34, v34, v4, s[10:11]
	s_or_b64 s[16:17], vcc, s[16:17]
	v_cmp_eq_u32_e32 vcc, 3, v28
	v_cndmask_b32_e32 v34, v34, v5, vcc
	v_cmp_eq_u32_e32 vcc, 4, v28
	v_cndmask_b32_e32 v34, v34, v6, vcc
	;; [unrolled: 2-line block ×18, first 2 shown]
	v_cmp_eq_u32_e32 vcc, 21, v28
	ds_read_b32 v33, v32
	v_cndmask_b32_e32 v34, v34, v23, vcc
	v_cmp_eq_u32_e32 vcc, 22, v28
	v_cndmask_b32_e32 v34, v34, v24, vcc
	v_cmp_eq_u32_e32 vcc, 23, v28
	;; [unrolled: 2-line block ×4, first 2 shown]
	s_waitcnt vmcnt(0)
	v_cndmask_b32_e32 v34, v34, v27, vcc
	v_add_u32_e32 v32, 4, v32
	s_waitcnt lgkmcnt(0)
	v_fmac_f32_e32 v31, v34, v33
	s_andn2_b64 exec, exec, s[16:17]
	s_cbranch_execnz .LBB25_443
; %bb.444:
	s_or_b64 exec, exec, s[16:17]
.LBB25_445:
	s_or_b64 exec, exec, s[14:15]
	v_mov_b32_e32 v9, 0
	ds_read_b32 v9, v9 offset:28
	s_waitcnt lgkmcnt(0)
	v_mul_f32_e32 v9, v31, v9
.LBB25_446:
	s_or_b64 exec, exec, s[12:13]
	v_cmp_gt_u32_e32 vcc, 8, v0
	s_waitcnt vmcnt(18)
	ds_write_b32 v112, v10
	s_waitcnt lgkmcnt(0)
	; wave barrier
	s_and_saveexec_b64 s[12:13], vcc
	s_cbranch_execz .LBB25_456
; %bb.447:
	s_and_b64 vcc, exec, s[0:1]
	s_cbranch_vccnz .LBB25_449
; %bb.448:
	v_cmp_eq_u32_e32 vcc, 1, v0
	s_waitcnt vmcnt(1)
	v_cndmask_b32_e32 v28, v2, v3, vcc
	v_cmp_eq_u32_e32 vcc, 2, v0
	v_cndmask_b32_e32 v28, v28, v4, vcc
	v_cmp_eq_u32_e32 vcc, 3, v0
	;; [unrolled: 2-line block ×21, first 2 shown]
	ds_read_b32 v29, v112
	v_cndmask_b32_e32 v28, v28, v24, vcc
	v_cmp_eq_u32_e32 vcc, 23, v0
	v_cndmask_b32_e32 v28, v28, v25, vcc
	v_cmp_eq_u32_e32 vcc, 24, v0
	;; [unrolled: 2-line block ×3, first 2 shown]
	s_waitcnt vmcnt(0)
	v_cndmask_b32_e32 v28, v28, v27, vcc
	s_waitcnt lgkmcnt(0)
	v_mul_f32_e32 v31, v28, v29
	s_cbranch_execz .LBB25_450
	s_branch .LBB25_451
.LBB25_449:
                                        ; implicit-def: $vgpr31
.LBB25_450:
	ds_read_b32 v31, v112
.LBB25_451:
	v_cmp_ne_u32_e32 vcc, 7, v0
	s_and_saveexec_b64 s[14:15], vcc
	s_cbranch_execz .LBB25_455
; %bb.452:
	v_mov_b32_e32 v28, 0x74
	v_lshl_add_u32 v32, v0, 2, v28
	v_mov_b32_e32 v29, v1
	s_mov_b64 s[16:17], 0
	v_mov_b32_e32 v28, v0
.LBB25_453:                             ; =>This Inner Loop Header: Depth=1
	v_add_co_u32_e32 v28, vcc, 1, v28
	v_addc_co_u32_e32 v29, vcc, 0, v29, vcc
	v_cmp_eq_u32_e32 vcc, 1, v28
	s_waitcnt vmcnt(1)
	v_cndmask_b32_e32 v34, v2, v3, vcc
	v_cmp_lt_u32_e32 vcc, 6, v28
	v_cmp_eq_u32_e64 s[10:11], 2, v28
	v_cndmask_b32_e64 v34, v34, v4, s[10:11]
	s_or_b64 s[16:17], vcc, s[16:17]
	v_cmp_eq_u32_e32 vcc, 3, v28
	v_cndmask_b32_e32 v34, v34, v5, vcc
	v_cmp_eq_u32_e32 vcc, 4, v28
	v_cndmask_b32_e32 v34, v34, v6, vcc
	;; [unrolled: 2-line block ×18, first 2 shown]
	v_cmp_eq_u32_e32 vcc, 21, v28
	ds_read_b32 v33, v32
	v_cndmask_b32_e32 v34, v34, v23, vcc
	v_cmp_eq_u32_e32 vcc, 22, v28
	v_cndmask_b32_e32 v34, v34, v24, vcc
	v_cmp_eq_u32_e32 vcc, 23, v28
	;; [unrolled: 2-line block ×4, first 2 shown]
	s_waitcnt vmcnt(0)
	v_cndmask_b32_e32 v34, v34, v27, vcc
	v_add_u32_e32 v32, 4, v32
	s_waitcnt lgkmcnt(0)
	v_fmac_f32_e32 v31, v34, v33
	s_andn2_b64 exec, exec, s[16:17]
	s_cbranch_execnz .LBB25_453
; %bb.454:
	s_or_b64 exec, exec, s[16:17]
.LBB25_455:
	s_or_b64 exec, exec, s[14:15]
	v_mov_b32_e32 v10, 0
	ds_read_b32 v10, v10 offset:32
	s_waitcnt lgkmcnt(0)
	v_mul_f32_e32 v10, v31, v10
.LBB25_456:
	s_or_b64 exec, exec, s[12:13]
	v_cmp_gt_u32_e32 vcc, 9, v0
	s_waitcnt vmcnt(17)
	ds_write_b32 v112, v11
	s_waitcnt lgkmcnt(0)
	; wave barrier
	s_and_saveexec_b64 s[10:11], vcc
	s_cbranch_execz .LBB25_478
; %bb.457:
	s_and_b64 vcc, exec, s[0:1]
	s_cbranch_vccnz .LBB25_459
; %bb.458:
	v_cmp_eq_u32_e32 vcc, 1, v0
	s_waitcnt vmcnt(1)
	v_cndmask_b32_e32 v28, v2, v3, vcc
	v_cmp_eq_u32_e32 vcc, 2, v0
	v_cndmask_b32_e32 v28, v28, v4, vcc
	v_cmp_eq_u32_e32 vcc, 3, v0
	;; [unrolled: 2-line block ×21, first 2 shown]
	ds_read_b32 v29, v112
	v_cndmask_b32_e32 v28, v28, v24, vcc
	v_cmp_eq_u32_e32 vcc, 23, v0
	v_cndmask_b32_e32 v28, v28, v25, vcc
	v_cmp_eq_u32_e32 vcc, 24, v0
	;; [unrolled: 2-line block ×3, first 2 shown]
	s_waitcnt vmcnt(0)
	v_cndmask_b32_e32 v28, v28, v27, vcc
	s_waitcnt lgkmcnt(0)
	v_mul_f32_e32 v28, v28, v29
	s_cbranch_execz .LBB25_460
	s_branch .LBB25_461
.LBB25_459:
                                        ; implicit-def: $vgpr28
.LBB25_460:
	ds_read_b32 v28, v112
.LBB25_461:
	v_cmp_ne_u32_e32 vcc, 8, v0
	s_and_saveexec_b64 s[12:13], vcc
	s_cbranch_execz .LBB25_477
; %bb.462:
	v_cmp_eq_u32_e32 vcc, 1, v30
	s_waitcnt vmcnt(1)
	v_cndmask_b32_e32 v29, v2, v3, vcc
	v_cmp_eq_u32_e32 vcc, 2, v30
	v_cndmask_b32_e32 v29, v29, v4, vcc
	v_cmp_eq_u32_e32 vcc, 3, v30
	;; [unrolled: 2-line block ×21, first 2 shown]
	ds_read_b32 v31, v112 offset:4
	v_cndmask_b32_e32 v29, v29, v24, vcc
	v_cmp_eq_u32_e32 vcc, 23, v30
	v_cndmask_b32_e32 v29, v29, v25, vcc
	v_cmp_eq_u32_e32 vcc, 24, v30
	;; [unrolled: 2-line block ×3, first 2 shown]
	s_waitcnt vmcnt(0)
	v_cndmask_b32_e32 v29, v29, v27, vcc
	s_waitcnt lgkmcnt(0)
	v_fmac_f32_e32 v28, v29, v31
	s_and_saveexec_b64 s[14:15], s[8:9]
	s_cbranch_execz .LBB25_476
; %bb.463:
	v_add_u32_e32 v29, 2, v0
	v_cmp_eq_u32_e32 vcc, 1, v29
	v_cndmask_b32_e32 v30, v2, v3, vcc
	v_cmp_eq_u32_e32 vcc, 2, v29
	v_cndmask_b32_e32 v30, v30, v4, vcc
	;; [unrolled: 2-line block ×21, first 2 shown]
	v_cmp_eq_u32_e32 vcc, 22, v29
	ds_read_b32 v31, v112 offset:8
	v_cndmask_b32_e32 v30, v30, v24, vcc
	v_cmp_eq_u32_e32 vcc, 23, v29
	v_cndmask_b32_e32 v30, v30, v25, vcc
	v_cmp_eq_u32_e32 vcc, 24, v29
	;; [unrolled: 2-line block ×3, first 2 shown]
	v_cndmask_b32_e32 v29, v30, v27, vcc
	s_waitcnt lgkmcnt(0)
	v_fmac_f32_e32 v28, v29, v31
	v_cmp_ne_u32_e32 vcc, 6, v0
	s_and_saveexec_b64 s[8:9], vcc
	s_cbranch_execz .LBB25_475
; %bb.464:
	v_add_u32_e32 v29, 3, v0
	v_cmp_eq_u32_e32 vcc, 1, v29
	v_cndmask_b32_e32 v30, v2, v3, vcc
	v_cmp_eq_u32_e32 vcc, 2, v29
	v_cndmask_b32_e32 v30, v30, v4, vcc
	;; [unrolled: 2-line block ×21, first 2 shown]
	v_cmp_eq_u32_e32 vcc, 22, v29
	ds_read_b32 v31, v112 offset:12
	v_cndmask_b32_e32 v30, v30, v24, vcc
	v_cmp_eq_u32_e32 vcc, 23, v29
	v_cndmask_b32_e32 v30, v30, v25, vcc
	v_cmp_eq_u32_e32 vcc, 24, v29
	;; [unrolled: 2-line block ×3, first 2 shown]
	v_cndmask_b32_e32 v29, v30, v27, vcc
	s_waitcnt lgkmcnt(0)
	v_fmac_f32_e32 v28, v29, v31
	s_and_saveexec_b64 s[16:17], s[6:7]
	s_cbranch_execz .LBB25_474
; %bb.465:
	v_add_u32_e32 v29, 4, v0
	v_cmp_eq_u32_e32 vcc, 1, v29
	v_cndmask_b32_e32 v30, v2, v3, vcc
	v_cmp_eq_u32_e32 vcc, 2, v29
	v_cndmask_b32_e32 v30, v30, v4, vcc
	;; [unrolled: 2-line block ×21, first 2 shown]
	v_cmp_eq_u32_e32 vcc, 22, v29
	ds_read_b32 v31, v112 offset:16
	v_cndmask_b32_e32 v30, v30, v24, vcc
	v_cmp_eq_u32_e32 vcc, 23, v29
	v_cndmask_b32_e32 v30, v30, v25, vcc
	v_cmp_eq_u32_e32 vcc, 24, v29
	;; [unrolled: 2-line block ×3, first 2 shown]
	v_cndmask_b32_e32 v29, v30, v27, vcc
	s_waitcnt lgkmcnt(0)
	v_fmac_f32_e32 v28, v29, v31
	v_cmp_ne_u32_e32 vcc, 4, v0
	s_and_saveexec_b64 s[6:7], vcc
	s_cbranch_execz .LBB25_473
; %bb.466:
	v_add_u32_e32 v29, 5, v0
	v_cmp_eq_u32_e32 vcc, 1, v29
	v_cndmask_b32_e32 v30, v2, v3, vcc
	v_cmp_eq_u32_e32 vcc, 2, v29
	v_cndmask_b32_e32 v30, v30, v4, vcc
	;; [unrolled: 2-line block ×21, first 2 shown]
	v_cmp_eq_u32_e32 vcc, 22, v29
	ds_read_b32 v31, v112 offset:20
	v_cndmask_b32_e32 v30, v30, v24, vcc
	v_cmp_eq_u32_e32 vcc, 23, v29
	v_cndmask_b32_e32 v30, v30, v25, vcc
	v_cmp_eq_u32_e32 vcc, 24, v29
	;; [unrolled: 2-line block ×3, first 2 shown]
	v_cndmask_b32_e32 v29, v30, v27, vcc
	s_waitcnt lgkmcnt(0)
	v_fmac_f32_e32 v28, v29, v31
	s_and_saveexec_b64 s[18:19], s[4:5]
	s_cbranch_execz .LBB25_472
; %bb.467:
	v_add_u32_e32 v29, 6, v0
	v_cmp_eq_u32_e32 vcc, 1, v29
	v_cndmask_b32_e32 v30, v2, v3, vcc
	v_cmp_eq_u32_e32 vcc, 2, v29
	v_cndmask_b32_e32 v30, v30, v4, vcc
	v_cmp_eq_u32_e32 vcc, 3, v29
	v_cndmask_b32_e32 v30, v30, v5, vcc
	v_cmp_eq_u32_e32 vcc, 4, v29
	v_cndmask_b32_e32 v30, v30, v6, vcc
	v_cmp_eq_u32_e32 vcc, 5, v29
	v_cndmask_b32_e32 v30, v30, v7, vcc
	v_cmp_eq_u32_e32 vcc, 6, v29
	v_cndmask_b32_e32 v30, v30, v8, vcc
	v_cmp_eq_u32_e32 vcc, 7, v29
	v_cndmask_b32_e32 v30, v30, v9, vcc
	v_cmp_eq_u32_e32 vcc, 8, v29
	v_cndmask_b32_e32 v30, v30, v10, vcc
	v_cmp_eq_u32_e32 vcc, 9, v29
	v_cndmask_b32_e32 v30, v30, v11, vcc
	v_cmp_eq_u32_e32 vcc, 10, v29
	v_cndmask_b32_e32 v30, v30, v12, vcc
	v_cmp_eq_u32_e32 vcc, 11, v29
	v_cndmask_b32_e32 v30, v30, v13, vcc
	v_cmp_eq_u32_e32 vcc, 12, v29
	v_cndmask_b32_e32 v30, v30, v14, vcc
	v_cmp_eq_u32_e32 vcc, 13, v29
	v_cndmask_b32_e32 v30, v30, v15, vcc
	v_cmp_eq_u32_e32 vcc, 14, v29
	v_cndmask_b32_e32 v30, v30, v16, vcc
	v_cmp_eq_u32_e32 vcc, 15, v29
	v_cndmask_b32_e32 v30, v30, v17, vcc
	v_cmp_eq_u32_e32 vcc, 16, v29
	v_cndmask_b32_e32 v30, v30, v18, vcc
	v_cmp_eq_u32_e32 vcc, 17, v29
	v_cndmask_b32_e32 v30, v30, v19, vcc
	v_cmp_eq_u32_e32 vcc, 18, v29
	v_cndmask_b32_e32 v30, v30, v20, vcc
	v_cmp_eq_u32_e32 vcc, 19, v29
	v_cndmask_b32_e32 v30, v30, v21, vcc
	v_cmp_eq_u32_e32 vcc, 20, v29
	v_cndmask_b32_e32 v30, v30, v22, vcc
	v_cmp_eq_u32_e32 vcc, 21, v29
	v_cndmask_b32_e32 v30, v30, v23, vcc
	v_cmp_eq_u32_e32 vcc, 22, v29
	ds_read_b32 v31, v112 offset:24
	v_cndmask_b32_e32 v30, v30, v24, vcc
	v_cmp_eq_u32_e32 vcc, 23, v29
	v_cndmask_b32_e32 v30, v30, v25, vcc
	v_cmp_eq_u32_e32 vcc, 24, v29
	v_cndmask_b32_e32 v30, v30, v26, vcc
	v_cmp_eq_u32_e32 vcc, 25, v29
	v_cndmask_b32_e32 v29, v30, v27, vcc
	s_waitcnt lgkmcnt(0)
	v_fmac_f32_e32 v28, v29, v31
	v_cmp_ne_u32_e32 vcc, 2, v0
	s_and_saveexec_b64 s[4:5], vcc
	s_cbranch_execz .LBB25_471
; %bb.468:
	v_add_u32_e32 v29, 7, v0
	v_cmp_eq_u32_e32 vcc, 1, v29
	v_cndmask_b32_e32 v30, v2, v3, vcc
	v_cmp_eq_u32_e32 vcc, 2, v29
	v_cndmask_b32_e32 v30, v30, v4, vcc
	;; [unrolled: 2-line block ×21, first 2 shown]
	v_cmp_eq_u32_e32 vcc, 22, v29
	ds_read_b32 v30, v112 offset:28
	v_cndmask_b32_e32 v11, v11, v24, vcc
	v_cmp_eq_u32_e32 vcc, 23, v29
	v_cndmask_b32_e32 v11, v11, v25, vcc
	v_cmp_eq_u32_e32 vcc, 24, v29
	;; [unrolled: 2-line block ×3, first 2 shown]
	v_cndmask_b32_e32 v11, v11, v27, vcc
	s_waitcnt lgkmcnt(0)
	v_fmac_f32_e32 v28, v11, v30
	s_and_saveexec_b64 s[20:21], s[2:3]
	s_cbranch_execz .LBB25_470
; %bb.469:
	ds_read_b32 v11, v112 offset:32
	s_waitcnt lgkmcnt(0)
	v_fmac_f32_e32 v28, v10, v11
.LBB25_470:
	s_or_b64 exec, exec, s[20:21]
.LBB25_471:
	s_or_b64 exec, exec, s[4:5]
.LBB25_472:
	s_or_b64 exec, exec, s[18:19]
.LBB25_473:
	s_or_b64 exec, exec, s[6:7]
.LBB25_474:
	s_or_b64 exec, exec, s[16:17]
.LBB25_475:
	s_or_b64 exec, exec, s[8:9]
.LBB25_476:
	s_or_b64 exec, exec, s[14:15]
.LBB25_477:
	s_or_b64 exec, exec, s[12:13]
	v_mov_b32_e32 v11, 0
	ds_read_b32 v11, v11 offset:36
	s_waitcnt lgkmcnt(0)
	v_mul_f32_e32 v11, v28, v11
.LBB25_478:
	s_or_b64 exec, exec, s[10:11]
	v_cmp_gt_u32_e32 vcc, 10, v0
	s_waitcnt vmcnt(16)
	ds_write_b32 v112, v12
	s_waitcnt lgkmcnt(0)
	; wave barrier
	s_and_saveexec_b64 s[4:5], vcc
	s_cbranch_execz .LBB25_488
; %bb.479:
	s_and_b64 vcc, exec, s[0:1]
	s_cbranch_vccnz .LBB25_481
; %bb.480:
	v_cmp_eq_u32_e32 vcc, 1, v0
	s_waitcnt vmcnt(1)
	v_cndmask_b32_e32 v28, v2, v3, vcc
	v_cmp_eq_u32_e32 vcc, 2, v0
	v_cndmask_b32_e32 v28, v28, v4, vcc
	v_cmp_eq_u32_e32 vcc, 3, v0
	v_cndmask_b32_e32 v28, v28, v5, vcc
	v_cmp_eq_u32_e32 vcc, 4, v0
	v_cndmask_b32_e32 v28, v28, v6, vcc
	v_cmp_eq_u32_e32 vcc, 5, v0
	v_cndmask_b32_e32 v28, v28, v7, vcc
	v_cmp_eq_u32_e32 vcc, 6, v0
	v_cndmask_b32_e32 v28, v28, v8, vcc
	v_cmp_eq_u32_e32 vcc, 7, v0
	v_cndmask_b32_e32 v28, v28, v9, vcc
	v_cmp_eq_u32_e32 vcc, 8, v0
	v_cndmask_b32_e32 v28, v28, v10, vcc
	v_cmp_eq_u32_e32 vcc, 9, v0
	v_cndmask_b32_e32 v28, v28, v11, vcc
	v_cmp_eq_u32_e32 vcc, 10, v0
	v_cndmask_b32_e32 v28, v28, v12, vcc
	v_cmp_eq_u32_e32 vcc, 11, v0
	v_cndmask_b32_e32 v28, v28, v13, vcc
	v_cmp_eq_u32_e32 vcc, 12, v0
	v_cndmask_b32_e32 v28, v28, v14, vcc
	v_cmp_eq_u32_e32 vcc, 13, v0
	v_cndmask_b32_e32 v28, v28, v15, vcc
	v_cmp_eq_u32_e32 vcc, 14, v0
	v_cndmask_b32_e32 v28, v28, v16, vcc
	v_cmp_eq_u32_e32 vcc, 15, v0
	v_cndmask_b32_e32 v28, v28, v17, vcc
	v_cmp_eq_u32_e32 vcc, 16, v0
	v_cndmask_b32_e32 v28, v28, v18, vcc
	v_cmp_eq_u32_e32 vcc, 17, v0
	v_cndmask_b32_e32 v28, v28, v19, vcc
	v_cmp_eq_u32_e32 vcc, 18, v0
	v_cndmask_b32_e32 v28, v28, v20, vcc
	v_cmp_eq_u32_e32 vcc, 19, v0
	v_cndmask_b32_e32 v28, v28, v21, vcc
	v_cmp_eq_u32_e32 vcc, 20, v0
	v_cndmask_b32_e32 v28, v28, v22, vcc
	v_cmp_eq_u32_e32 vcc, 21, v0
	v_cndmask_b32_e32 v28, v28, v23, vcc
	v_cmp_eq_u32_e32 vcc, 22, v0
	ds_read_b32 v29, v112
	v_cndmask_b32_e32 v28, v28, v24, vcc
	v_cmp_eq_u32_e32 vcc, 23, v0
	v_cndmask_b32_e32 v28, v28, v25, vcc
	v_cmp_eq_u32_e32 vcc, 24, v0
	;; [unrolled: 2-line block ×3, first 2 shown]
	s_waitcnt vmcnt(0)
	v_cndmask_b32_e32 v28, v28, v27, vcc
	s_waitcnt lgkmcnt(0)
	v_mul_f32_e32 v30, v28, v29
	s_cbranch_execz .LBB25_482
	s_branch .LBB25_483
.LBB25_481:
                                        ; implicit-def: $vgpr30
.LBB25_482:
	ds_read_b32 v30, v112
.LBB25_483:
	v_cmp_ne_u32_e32 vcc, 9, v0
	s_and_saveexec_b64 s[6:7], vcc
	s_cbranch_execz .LBB25_487
; %bb.484:
	v_mov_b32_e32 v28, 0x74
	v_lshl_add_u32 v31, v0, 2, v28
	v_mov_b32_e32 v29, v1
	s_mov_b64 s[8:9], 0
	v_mov_b32_e32 v28, v0
.LBB25_485:                             ; =>This Inner Loop Header: Depth=1
	v_add_co_u32_e32 v28, vcc, 1, v28
	v_addc_co_u32_e32 v29, vcc, 0, v29, vcc
	v_cmp_eq_u32_e32 vcc, 1, v28
	s_waitcnt vmcnt(1)
	v_cndmask_b32_e32 v33, v2, v3, vcc
	v_cmp_lt_u32_e32 vcc, 8, v28
	v_cmp_eq_u32_e64 s[2:3], 2, v28
	v_cndmask_b32_e64 v33, v33, v4, s[2:3]
	s_or_b64 s[8:9], vcc, s[8:9]
	v_cmp_eq_u32_e32 vcc, 3, v28
	v_cndmask_b32_e32 v33, v33, v5, vcc
	v_cmp_eq_u32_e32 vcc, 4, v28
	v_cndmask_b32_e32 v33, v33, v6, vcc
	;; [unrolled: 2-line block ×18, first 2 shown]
	v_cmp_eq_u32_e32 vcc, 21, v28
	ds_read_b32 v32, v31
	v_cndmask_b32_e32 v33, v33, v23, vcc
	v_cmp_eq_u32_e32 vcc, 22, v28
	v_cndmask_b32_e32 v33, v33, v24, vcc
	v_cmp_eq_u32_e32 vcc, 23, v28
	;; [unrolled: 2-line block ×4, first 2 shown]
	s_waitcnt vmcnt(0)
	v_cndmask_b32_e32 v33, v33, v27, vcc
	v_add_u32_e32 v31, 4, v31
	s_waitcnt lgkmcnt(0)
	v_fmac_f32_e32 v30, v33, v32
	s_andn2_b64 exec, exec, s[8:9]
	s_cbranch_execnz .LBB25_485
; %bb.486:
	s_or_b64 exec, exec, s[8:9]
.LBB25_487:
	s_or_b64 exec, exec, s[6:7]
	v_mov_b32_e32 v12, 0
	ds_read_b32 v12, v12 offset:40
	s_waitcnt lgkmcnt(0)
	v_mul_f32_e32 v12, v30, v12
.LBB25_488:
	s_or_b64 exec, exec, s[4:5]
	v_cmp_gt_u32_e32 vcc, 11, v0
	s_waitcnt vmcnt(15)
	ds_write_b32 v112, v13
	s_waitcnt lgkmcnt(0)
	; wave barrier
	s_and_saveexec_b64 s[4:5], vcc
	s_cbranch_execz .LBB25_498
; %bb.489:
	s_and_b64 vcc, exec, s[0:1]
	s_cbranch_vccnz .LBB25_491
; %bb.490:
	v_cmp_eq_u32_e32 vcc, 1, v0
	s_waitcnt vmcnt(1)
	v_cndmask_b32_e32 v28, v2, v3, vcc
	v_cmp_eq_u32_e32 vcc, 2, v0
	v_cndmask_b32_e32 v28, v28, v4, vcc
	v_cmp_eq_u32_e32 vcc, 3, v0
	;; [unrolled: 2-line block ×21, first 2 shown]
	ds_read_b32 v29, v112
	v_cndmask_b32_e32 v28, v28, v24, vcc
	v_cmp_eq_u32_e32 vcc, 23, v0
	v_cndmask_b32_e32 v28, v28, v25, vcc
	v_cmp_eq_u32_e32 vcc, 24, v0
	;; [unrolled: 2-line block ×3, first 2 shown]
	s_waitcnt vmcnt(0)
	v_cndmask_b32_e32 v28, v28, v27, vcc
	s_waitcnt lgkmcnt(0)
	v_mul_f32_e32 v30, v28, v29
	s_cbranch_execz .LBB25_492
	s_branch .LBB25_493
.LBB25_491:
                                        ; implicit-def: $vgpr30
.LBB25_492:
	ds_read_b32 v30, v112
.LBB25_493:
	v_cmp_ne_u32_e32 vcc, 10, v0
	s_and_saveexec_b64 s[6:7], vcc
	s_cbranch_execz .LBB25_497
; %bb.494:
	v_mov_b32_e32 v28, 0x74
	v_lshl_add_u32 v31, v0, 2, v28
	v_mov_b32_e32 v29, v1
	s_mov_b64 s[8:9], 0
	v_mov_b32_e32 v28, v0
.LBB25_495:                             ; =>This Inner Loop Header: Depth=1
	v_add_co_u32_e32 v28, vcc, 1, v28
	v_addc_co_u32_e32 v29, vcc, 0, v29, vcc
	v_cmp_eq_u32_e32 vcc, 1, v28
	s_waitcnt vmcnt(1)
	v_cndmask_b32_e32 v33, v2, v3, vcc
	v_cmp_lt_u32_e32 vcc, 9, v28
	v_cmp_eq_u32_e64 s[2:3], 2, v28
	v_cndmask_b32_e64 v33, v33, v4, s[2:3]
	s_or_b64 s[8:9], vcc, s[8:9]
	v_cmp_eq_u32_e32 vcc, 3, v28
	v_cndmask_b32_e32 v33, v33, v5, vcc
	v_cmp_eq_u32_e32 vcc, 4, v28
	v_cndmask_b32_e32 v33, v33, v6, vcc
	;; [unrolled: 2-line block ×18, first 2 shown]
	v_cmp_eq_u32_e32 vcc, 21, v28
	ds_read_b32 v32, v31
	v_cndmask_b32_e32 v33, v33, v23, vcc
	v_cmp_eq_u32_e32 vcc, 22, v28
	v_cndmask_b32_e32 v33, v33, v24, vcc
	v_cmp_eq_u32_e32 vcc, 23, v28
	;; [unrolled: 2-line block ×4, first 2 shown]
	s_waitcnt vmcnt(0)
	v_cndmask_b32_e32 v33, v33, v27, vcc
	v_add_u32_e32 v31, 4, v31
	s_waitcnt lgkmcnt(0)
	v_fmac_f32_e32 v30, v33, v32
	s_andn2_b64 exec, exec, s[8:9]
	s_cbranch_execnz .LBB25_495
; %bb.496:
	s_or_b64 exec, exec, s[8:9]
.LBB25_497:
	s_or_b64 exec, exec, s[6:7]
	v_mov_b32_e32 v13, 0
	ds_read_b32 v13, v13 offset:44
	s_waitcnt lgkmcnt(0)
	v_mul_f32_e32 v13, v30, v13
.LBB25_498:
	s_or_b64 exec, exec, s[4:5]
	v_cmp_gt_u32_e32 vcc, 12, v0
	s_waitcnt vmcnt(14)
	ds_write_b32 v112, v14
	s_waitcnt lgkmcnt(0)
	; wave barrier
	s_and_saveexec_b64 s[4:5], vcc
	s_cbranch_execz .LBB25_508
; %bb.499:
	s_and_b64 vcc, exec, s[0:1]
	s_cbranch_vccnz .LBB25_501
; %bb.500:
	v_cmp_eq_u32_e32 vcc, 1, v0
	s_waitcnt vmcnt(1)
	v_cndmask_b32_e32 v28, v2, v3, vcc
	v_cmp_eq_u32_e32 vcc, 2, v0
	v_cndmask_b32_e32 v28, v28, v4, vcc
	v_cmp_eq_u32_e32 vcc, 3, v0
	;; [unrolled: 2-line block ×21, first 2 shown]
	ds_read_b32 v29, v112
	v_cndmask_b32_e32 v28, v28, v24, vcc
	v_cmp_eq_u32_e32 vcc, 23, v0
	v_cndmask_b32_e32 v28, v28, v25, vcc
	v_cmp_eq_u32_e32 vcc, 24, v0
	;; [unrolled: 2-line block ×3, first 2 shown]
	s_waitcnt vmcnt(0)
	v_cndmask_b32_e32 v28, v28, v27, vcc
	s_waitcnt lgkmcnt(0)
	v_mul_f32_e32 v30, v28, v29
	s_cbranch_execz .LBB25_502
	s_branch .LBB25_503
.LBB25_501:
                                        ; implicit-def: $vgpr30
.LBB25_502:
	ds_read_b32 v30, v112
.LBB25_503:
	v_cmp_ne_u32_e32 vcc, 11, v0
	s_and_saveexec_b64 s[6:7], vcc
	s_cbranch_execz .LBB25_507
; %bb.504:
	v_mov_b32_e32 v28, 0x74
	v_lshl_add_u32 v31, v0, 2, v28
	v_mov_b32_e32 v29, v1
	s_mov_b64 s[8:9], 0
	v_mov_b32_e32 v28, v0
.LBB25_505:                             ; =>This Inner Loop Header: Depth=1
	v_add_co_u32_e32 v28, vcc, 1, v28
	v_addc_co_u32_e32 v29, vcc, 0, v29, vcc
	v_cmp_eq_u32_e32 vcc, 1, v28
	s_waitcnt vmcnt(1)
	v_cndmask_b32_e32 v33, v2, v3, vcc
	v_cmp_lt_u32_e32 vcc, 10, v28
	v_cmp_eq_u32_e64 s[2:3], 2, v28
	v_cndmask_b32_e64 v33, v33, v4, s[2:3]
	s_or_b64 s[8:9], vcc, s[8:9]
	v_cmp_eq_u32_e32 vcc, 3, v28
	v_cndmask_b32_e32 v33, v33, v5, vcc
	v_cmp_eq_u32_e32 vcc, 4, v28
	v_cndmask_b32_e32 v33, v33, v6, vcc
	;; [unrolled: 2-line block ×18, first 2 shown]
	v_cmp_eq_u32_e32 vcc, 21, v28
	ds_read_b32 v32, v31
	v_cndmask_b32_e32 v33, v33, v23, vcc
	v_cmp_eq_u32_e32 vcc, 22, v28
	v_cndmask_b32_e32 v33, v33, v24, vcc
	v_cmp_eq_u32_e32 vcc, 23, v28
	;; [unrolled: 2-line block ×4, first 2 shown]
	s_waitcnt vmcnt(0)
	v_cndmask_b32_e32 v33, v33, v27, vcc
	v_add_u32_e32 v31, 4, v31
	s_waitcnt lgkmcnt(0)
	v_fmac_f32_e32 v30, v33, v32
	s_andn2_b64 exec, exec, s[8:9]
	s_cbranch_execnz .LBB25_505
; %bb.506:
	s_or_b64 exec, exec, s[8:9]
.LBB25_507:
	s_or_b64 exec, exec, s[6:7]
	v_mov_b32_e32 v14, 0
	ds_read_b32 v14, v14 offset:48
	s_waitcnt lgkmcnt(0)
	v_mul_f32_e32 v14, v30, v14
.LBB25_508:
	s_or_b64 exec, exec, s[4:5]
	v_cmp_gt_u32_e32 vcc, 13, v0
	s_waitcnt vmcnt(13)
	ds_write_b32 v112, v15
	s_waitcnt lgkmcnt(0)
	; wave barrier
	s_and_saveexec_b64 s[4:5], vcc
	s_cbranch_execz .LBB25_518
; %bb.509:
	s_and_b64 vcc, exec, s[0:1]
	s_cbranch_vccnz .LBB25_511
; %bb.510:
	v_cmp_eq_u32_e32 vcc, 1, v0
	s_waitcnt vmcnt(1)
	v_cndmask_b32_e32 v28, v2, v3, vcc
	v_cmp_eq_u32_e32 vcc, 2, v0
	v_cndmask_b32_e32 v28, v28, v4, vcc
	v_cmp_eq_u32_e32 vcc, 3, v0
	;; [unrolled: 2-line block ×21, first 2 shown]
	ds_read_b32 v29, v112
	v_cndmask_b32_e32 v28, v28, v24, vcc
	v_cmp_eq_u32_e32 vcc, 23, v0
	v_cndmask_b32_e32 v28, v28, v25, vcc
	v_cmp_eq_u32_e32 vcc, 24, v0
	;; [unrolled: 2-line block ×3, first 2 shown]
	s_waitcnt vmcnt(0)
	v_cndmask_b32_e32 v28, v28, v27, vcc
	s_waitcnt lgkmcnt(0)
	v_mul_f32_e32 v30, v28, v29
	s_cbranch_execz .LBB25_512
	s_branch .LBB25_513
.LBB25_511:
                                        ; implicit-def: $vgpr30
.LBB25_512:
	ds_read_b32 v30, v112
.LBB25_513:
	v_cmp_ne_u32_e32 vcc, 12, v0
	s_and_saveexec_b64 s[6:7], vcc
	s_cbranch_execz .LBB25_517
; %bb.514:
	v_mov_b32_e32 v28, 0x74
	v_lshl_add_u32 v31, v0, 2, v28
	v_mov_b32_e32 v29, v1
	s_mov_b64 s[8:9], 0
	v_mov_b32_e32 v28, v0
.LBB25_515:                             ; =>This Inner Loop Header: Depth=1
	v_add_co_u32_e32 v28, vcc, 1, v28
	v_addc_co_u32_e32 v29, vcc, 0, v29, vcc
	v_cmp_eq_u32_e32 vcc, 1, v28
	s_waitcnt vmcnt(1)
	v_cndmask_b32_e32 v33, v2, v3, vcc
	v_cmp_lt_u32_e32 vcc, 11, v28
	v_cmp_eq_u32_e64 s[2:3], 2, v28
	v_cndmask_b32_e64 v33, v33, v4, s[2:3]
	s_or_b64 s[8:9], vcc, s[8:9]
	v_cmp_eq_u32_e32 vcc, 3, v28
	v_cndmask_b32_e32 v33, v33, v5, vcc
	v_cmp_eq_u32_e32 vcc, 4, v28
	v_cndmask_b32_e32 v33, v33, v6, vcc
	;; [unrolled: 2-line block ×18, first 2 shown]
	v_cmp_eq_u32_e32 vcc, 21, v28
	ds_read_b32 v32, v31
	v_cndmask_b32_e32 v33, v33, v23, vcc
	v_cmp_eq_u32_e32 vcc, 22, v28
	v_cndmask_b32_e32 v33, v33, v24, vcc
	v_cmp_eq_u32_e32 vcc, 23, v28
	;; [unrolled: 2-line block ×4, first 2 shown]
	s_waitcnt vmcnt(0)
	v_cndmask_b32_e32 v33, v33, v27, vcc
	v_add_u32_e32 v31, 4, v31
	s_waitcnt lgkmcnt(0)
	v_fmac_f32_e32 v30, v33, v32
	s_andn2_b64 exec, exec, s[8:9]
	s_cbranch_execnz .LBB25_515
; %bb.516:
	s_or_b64 exec, exec, s[8:9]
.LBB25_517:
	s_or_b64 exec, exec, s[6:7]
	v_mov_b32_e32 v15, 0
	ds_read_b32 v15, v15 offset:52
	s_waitcnt lgkmcnt(0)
	v_mul_f32_e32 v15, v30, v15
.LBB25_518:
	s_or_b64 exec, exec, s[4:5]
	v_cmp_gt_u32_e32 vcc, 14, v0
	s_waitcnt vmcnt(12)
	ds_write_b32 v112, v16
	s_waitcnt lgkmcnt(0)
	; wave barrier
	s_and_saveexec_b64 s[4:5], vcc
	s_cbranch_execz .LBB25_528
; %bb.519:
	s_and_b64 vcc, exec, s[0:1]
	s_cbranch_vccnz .LBB25_521
; %bb.520:
	v_cmp_eq_u32_e32 vcc, 1, v0
	s_waitcnt vmcnt(1)
	v_cndmask_b32_e32 v28, v2, v3, vcc
	v_cmp_eq_u32_e32 vcc, 2, v0
	v_cndmask_b32_e32 v28, v28, v4, vcc
	v_cmp_eq_u32_e32 vcc, 3, v0
	;; [unrolled: 2-line block ×21, first 2 shown]
	ds_read_b32 v29, v112
	v_cndmask_b32_e32 v28, v28, v24, vcc
	v_cmp_eq_u32_e32 vcc, 23, v0
	v_cndmask_b32_e32 v28, v28, v25, vcc
	v_cmp_eq_u32_e32 vcc, 24, v0
	v_cndmask_b32_e32 v28, v28, v26, vcc
	v_cmp_eq_u32_e32 vcc, 25, v0
	s_waitcnt vmcnt(0)
	v_cndmask_b32_e32 v28, v28, v27, vcc
	s_waitcnt lgkmcnt(0)
	v_mul_f32_e32 v30, v28, v29
	s_cbranch_execz .LBB25_522
	s_branch .LBB25_523
.LBB25_521:
                                        ; implicit-def: $vgpr30
.LBB25_522:
	ds_read_b32 v30, v112
.LBB25_523:
	v_cmp_ne_u32_e32 vcc, 13, v0
	s_and_saveexec_b64 s[6:7], vcc
	s_cbranch_execz .LBB25_527
; %bb.524:
	v_mov_b32_e32 v28, 0x74
	v_lshl_add_u32 v31, v0, 2, v28
	v_mov_b32_e32 v29, v1
	s_mov_b64 s[8:9], 0
	v_mov_b32_e32 v28, v0
.LBB25_525:                             ; =>This Inner Loop Header: Depth=1
	v_add_co_u32_e32 v28, vcc, 1, v28
	v_addc_co_u32_e32 v29, vcc, 0, v29, vcc
	v_cmp_eq_u32_e32 vcc, 1, v28
	s_waitcnt vmcnt(1)
	v_cndmask_b32_e32 v33, v2, v3, vcc
	v_cmp_lt_u32_e32 vcc, 12, v28
	v_cmp_eq_u32_e64 s[2:3], 2, v28
	v_cndmask_b32_e64 v33, v33, v4, s[2:3]
	s_or_b64 s[8:9], vcc, s[8:9]
	v_cmp_eq_u32_e32 vcc, 3, v28
	v_cndmask_b32_e32 v33, v33, v5, vcc
	v_cmp_eq_u32_e32 vcc, 4, v28
	v_cndmask_b32_e32 v33, v33, v6, vcc
	;; [unrolled: 2-line block ×18, first 2 shown]
	v_cmp_eq_u32_e32 vcc, 21, v28
	ds_read_b32 v32, v31
	v_cndmask_b32_e32 v33, v33, v23, vcc
	v_cmp_eq_u32_e32 vcc, 22, v28
	v_cndmask_b32_e32 v33, v33, v24, vcc
	v_cmp_eq_u32_e32 vcc, 23, v28
	;; [unrolled: 2-line block ×4, first 2 shown]
	s_waitcnt vmcnt(0)
	v_cndmask_b32_e32 v33, v33, v27, vcc
	v_add_u32_e32 v31, 4, v31
	s_waitcnt lgkmcnt(0)
	v_fmac_f32_e32 v30, v33, v32
	s_andn2_b64 exec, exec, s[8:9]
	s_cbranch_execnz .LBB25_525
; %bb.526:
	s_or_b64 exec, exec, s[8:9]
.LBB25_527:
	s_or_b64 exec, exec, s[6:7]
	v_mov_b32_e32 v16, 0
	ds_read_b32 v16, v16 offset:56
	s_waitcnt lgkmcnt(0)
	v_mul_f32_e32 v16, v30, v16
.LBB25_528:
	s_or_b64 exec, exec, s[4:5]
	v_cmp_gt_u32_e32 vcc, 15, v0
	s_waitcnt vmcnt(11)
	ds_write_b32 v112, v17
	s_waitcnt lgkmcnt(0)
	; wave barrier
	s_and_saveexec_b64 s[4:5], vcc
	s_cbranch_execz .LBB25_538
; %bb.529:
	s_and_b64 vcc, exec, s[0:1]
	s_cbranch_vccnz .LBB25_531
; %bb.530:
	v_cmp_eq_u32_e32 vcc, 1, v0
	s_waitcnt vmcnt(1)
	v_cndmask_b32_e32 v28, v2, v3, vcc
	v_cmp_eq_u32_e32 vcc, 2, v0
	v_cndmask_b32_e32 v28, v28, v4, vcc
	v_cmp_eq_u32_e32 vcc, 3, v0
	;; [unrolled: 2-line block ×21, first 2 shown]
	ds_read_b32 v29, v112
	v_cndmask_b32_e32 v28, v28, v24, vcc
	v_cmp_eq_u32_e32 vcc, 23, v0
	v_cndmask_b32_e32 v28, v28, v25, vcc
	v_cmp_eq_u32_e32 vcc, 24, v0
	;; [unrolled: 2-line block ×3, first 2 shown]
	s_waitcnt vmcnt(0)
	v_cndmask_b32_e32 v28, v28, v27, vcc
	s_waitcnt lgkmcnt(0)
	v_mul_f32_e32 v30, v28, v29
	s_cbranch_execz .LBB25_532
	s_branch .LBB25_533
.LBB25_531:
                                        ; implicit-def: $vgpr30
.LBB25_532:
	ds_read_b32 v30, v112
.LBB25_533:
	v_cmp_ne_u32_e32 vcc, 14, v0
	s_and_saveexec_b64 s[6:7], vcc
	s_cbranch_execz .LBB25_537
; %bb.534:
	v_mov_b32_e32 v28, 0x74
	v_lshl_add_u32 v31, v0, 2, v28
	v_mov_b32_e32 v29, v1
	s_mov_b64 s[8:9], 0
	v_mov_b32_e32 v28, v0
.LBB25_535:                             ; =>This Inner Loop Header: Depth=1
	v_add_co_u32_e32 v28, vcc, 1, v28
	v_addc_co_u32_e32 v29, vcc, 0, v29, vcc
	v_cmp_eq_u32_e32 vcc, 1, v28
	s_waitcnt vmcnt(1)
	v_cndmask_b32_e32 v33, v2, v3, vcc
	v_cmp_lt_u32_e32 vcc, 13, v28
	v_cmp_eq_u32_e64 s[2:3], 2, v28
	v_cndmask_b32_e64 v33, v33, v4, s[2:3]
	s_or_b64 s[8:9], vcc, s[8:9]
	v_cmp_eq_u32_e32 vcc, 3, v28
	v_cndmask_b32_e32 v33, v33, v5, vcc
	v_cmp_eq_u32_e32 vcc, 4, v28
	v_cndmask_b32_e32 v33, v33, v6, vcc
	;; [unrolled: 2-line block ×18, first 2 shown]
	v_cmp_eq_u32_e32 vcc, 21, v28
	ds_read_b32 v32, v31
	v_cndmask_b32_e32 v33, v33, v23, vcc
	v_cmp_eq_u32_e32 vcc, 22, v28
	v_cndmask_b32_e32 v33, v33, v24, vcc
	v_cmp_eq_u32_e32 vcc, 23, v28
	;; [unrolled: 2-line block ×4, first 2 shown]
	s_waitcnt vmcnt(0)
	v_cndmask_b32_e32 v33, v33, v27, vcc
	v_add_u32_e32 v31, 4, v31
	s_waitcnt lgkmcnt(0)
	v_fmac_f32_e32 v30, v33, v32
	s_andn2_b64 exec, exec, s[8:9]
	s_cbranch_execnz .LBB25_535
; %bb.536:
	s_or_b64 exec, exec, s[8:9]
.LBB25_537:
	s_or_b64 exec, exec, s[6:7]
	v_mov_b32_e32 v17, 0
	ds_read_b32 v17, v17 offset:60
	s_waitcnt lgkmcnt(0)
	v_mul_f32_e32 v17, v30, v17
.LBB25_538:
	s_or_b64 exec, exec, s[4:5]
	v_cmp_gt_u32_e32 vcc, 16, v0
	s_waitcnt vmcnt(10)
	ds_write_b32 v112, v18
	s_waitcnt lgkmcnt(0)
	; wave barrier
	s_and_saveexec_b64 s[4:5], vcc
	s_cbranch_execz .LBB25_548
; %bb.539:
	s_and_b64 vcc, exec, s[0:1]
	s_cbranch_vccnz .LBB25_541
; %bb.540:
	v_cmp_eq_u32_e32 vcc, 1, v0
	s_waitcnt vmcnt(1)
	v_cndmask_b32_e32 v28, v2, v3, vcc
	v_cmp_eq_u32_e32 vcc, 2, v0
	v_cndmask_b32_e32 v28, v28, v4, vcc
	v_cmp_eq_u32_e32 vcc, 3, v0
	;; [unrolled: 2-line block ×21, first 2 shown]
	ds_read_b32 v29, v112
	v_cndmask_b32_e32 v28, v28, v24, vcc
	v_cmp_eq_u32_e32 vcc, 23, v0
	v_cndmask_b32_e32 v28, v28, v25, vcc
	v_cmp_eq_u32_e32 vcc, 24, v0
	;; [unrolled: 2-line block ×3, first 2 shown]
	s_waitcnt vmcnt(0)
	v_cndmask_b32_e32 v28, v28, v27, vcc
	s_waitcnt lgkmcnt(0)
	v_mul_f32_e32 v30, v28, v29
	s_cbranch_execz .LBB25_542
	s_branch .LBB25_543
.LBB25_541:
                                        ; implicit-def: $vgpr30
.LBB25_542:
	ds_read_b32 v30, v112
.LBB25_543:
	v_cmp_ne_u32_e32 vcc, 15, v0
	s_and_saveexec_b64 s[6:7], vcc
	s_cbranch_execz .LBB25_547
; %bb.544:
	v_mov_b32_e32 v28, 0x74
	v_lshl_add_u32 v31, v0, 2, v28
	v_mov_b32_e32 v29, v1
	s_mov_b64 s[8:9], 0
	v_mov_b32_e32 v28, v0
.LBB25_545:                             ; =>This Inner Loop Header: Depth=1
	v_add_co_u32_e32 v28, vcc, 1, v28
	v_addc_co_u32_e32 v29, vcc, 0, v29, vcc
	v_cmp_eq_u32_e32 vcc, 1, v28
	s_waitcnt vmcnt(1)
	v_cndmask_b32_e32 v33, v2, v3, vcc
	v_cmp_lt_u32_e32 vcc, 14, v28
	v_cmp_eq_u32_e64 s[2:3], 2, v28
	v_cndmask_b32_e64 v33, v33, v4, s[2:3]
	s_or_b64 s[8:9], vcc, s[8:9]
	v_cmp_eq_u32_e32 vcc, 3, v28
	v_cndmask_b32_e32 v33, v33, v5, vcc
	v_cmp_eq_u32_e32 vcc, 4, v28
	v_cndmask_b32_e32 v33, v33, v6, vcc
	v_cmp_eq_u32_e32 vcc, 5, v28
	v_cndmask_b32_e32 v33, v33, v7, vcc
	v_cmp_eq_u32_e32 vcc, 6, v28
	v_cndmask_b32_e32 v33, v33, v8, vcc
	v_cmp_eq_u32_e32 vcc, 7, v28
	v_cndmask_b32_e32 v33, v33, v9, vcc
	v_cmp_eq_u32_e32 vcc, 8, v28
	v_cndmask_b32_e32 v33, v33, v10, vcc
	v_cmp_eq_u32_e32 vcc, 9, v28
	v_cndmask_b32_e32 v33, v33, v11, vcc
	v_cmp_eq_u32_e32 vcc, 10, v28
	v_cndmask_b32_e32 v33, v33, v12, vcc
	v_cmp_eq_u32_e32 vcc, 11, v28
	v_cndmask_b32_e32 v33, v33, v13, vcc
	v_cmp_eq_u32_e32 vcc, 12, v28
	v_cndmask_b32_e32 v33, v33, v14, vcc
	v_cmp_eq_u32_e32 vcc, 13, v28
	v_cndmask_b32_e32 v33, v33, v15, vcc
	v_cmp_eq_u32_e32 vcc, 14, v28
	v_cndmask_b32_e32 v33, v33, v16, vcc
	v_cmp_eq_u32_e32 vcc, 15, v28
	v_cndmask_b32_e32 v33, v33, v17, vcc
	v_cmp_eq_u32_e32 vcc, 16, v28
	v_cndmask_b32_e32 v33, v33, v18, vcc
	v_cmp_eq_u32_e32 vcc, 17, v28
	v_cndmask_b32_e32 v33, v33, v19, vcc
	v_cmp_eq_u32_e32 vcc, 18, v28
	v_cndmask_b32_e32 v33, v33, v20, vcc
	v_cmp_eq_u32_e32 vcc, 19, v28
	v_cndmask_b32_e32 v33, v33, v21, vcc
	v_cmp_eq_u32_e32 vcc, 20, v28
	v_cndmask_b32_e32 v33, v33, v22, vcc
	v_cmp_eq_u32_e32 vcc, 21, v28
	ds_read_b32 v32, v31
	v_cndmask_b32_e32 v33, v33, v23, vcc
	v_cmp_eq_u32_e32 vcc, 22, v28
	v_cndmask_b32_e32 v33, v33, v24, vcc
	v_cmp_eq_u32_e32 vcc, 23, v28
	;; [unrolled: 2-line block ×4, first 2 shown]
	s_waitcnt vmcnt(0)
	v_cndmask_b32_e32 v33, v33, v27, vcc
	v_add_u32_e32 v31, 4, v31
	s_waitcnt lgkmcnt(0)
	v_fmac_f32_e32 v30, v33, v32
	s_andn2_b64 exec, exec, s[8:9]
	s_cbranch_execnz .LBB25_545
; %bb.546:
	s_or_b64 exec, exec, s[8:9]
.LBB25_547:
	s_or_b64 exec, exec, s[6:7]
	v_mov_b32_e32 v18, 0
	ds_read_b32 v18, v18 offset:64
	s_waitcnt lgkmcnt(0)
	v_mul_f32_e32 v18, v30, v18
.LBB25_548:
	s_or_b64 exec, exec, s[4:5]
	v_cmp_gt_u32_e32 vcc, 17, v0
	s_waitcnt vmcnt(9)
	ds_write_b32 v112, v19
	s_waitcnt lgkmcnt(0)
	; wave barrier
	s_and_saveexec_b64 s[4:5], vcc
	s_cbranch_execz .LBB25_558
; %bb.549:
	s_and_b64 vcc, exec, s[0:1]
	s_cbranch_vccnz .LBB25_551
; %bb.550:
	v_cmp_eq_u32_e32 vcc, 1, v0
	s_waitcnt vmcnt(1)
	v_cndmask_b32_e32 v28, v2, v3, vcc
	v_cmp_eq_u32_e32 vcc, 2, v0
	v_cndmask_b32_e32 v28, v28, v4, vcc
	v_cmp_eq_u32_e32 vcc, 3, v0
	;; [unrolled: 2-line block ×21, first 2 shown]
	ds_read_b32 v29, v112
	v_cndmask_b32_e32 v28, v28, v24, vcc
	v_cmp_eq_u32_e32 vcc, 23, v0
	v_cndmask_b32_e32 v28, v28, v25, vcc
	v_cmp_eq_u32_e32 vcc, 24, v0
	;; [unrolled: 2-line block ×3, first 2 shown]
	s_waitcnt vmcnt(0)
	v_cndmask_b32_e32 v28, v28, v27, vcc
	s_waitcnt lgkmcnt(0)
	v_mul_f32_e32 v30, v28, v29
	s_cbranch_execz .LBB25_552
	s_branch .LBB25_553
.LBB25_551:
                                        ; implicit-def: $vgpr30
.LBB25_552:
	ds_read_b32 v30, v112
.LBB25_553:
	v_cmp_ne_u32_e32 vcc, 16, v0
	s_and_saveexec_b64 s[6:7], vcc
	s_cbranch_execz .LBB25_557
; %bb.554:
	v_mov_b32_e32 v28, 0x74
	v_lshl_add_u32 v31, v0, 2, v28
	v_mov_b32_e32 v29, v1
	s_mov_b64 s[8:9], 0
	v_mov_b32_e32 v28, v0
.LBB25_555:                             ; =>This Inner Loop Header: Depth=1
	v_add_co_u32_e32 v28, vcc, 1, v28
	v_addc_co_u32_e32 v29, vcc, 0, v29, vcc
	v_cmp_eq_u32_e32 vcc, 1, v28
	s_waitcnt vmcnt(1)
	v_cndmask_b32_e32 v33, v2, v3, vcc
	v_cmp_lt_u32_e32 vcc, 15, v28
	v_cmp_eq_u32_e64 s[2:3], 2, v28
	v_cndmask_b32_e64 v33, v33, v4, s[2:3]
	s_or_b64 s[8:9], vcc, s[8:9]
	v_cmp_eq_u32_e32 vcc, 3, v28
	v_cndmask_b32_e32 v33, v33, v5, vcc
	v_cmp_eq_u32_e32 vcc, 4, v28
	v_cndmask_b32_e32 v33, v33, v6, vcc
	;; [unrolled: 2-line block ×18, first 2 shown]
	v_cmp_eq_u32_e32 vcc, 21, v28
	ds_read_b32 v32, v31
	v_cndmask_b32_e32 v33, v33, v23, vcc
	v_cmp_eq_u32_e32 vcc, 22, v28
	v_cndmask_b32_e32 v33, v33, v24, vcc
	v_cmp_eq_u32_e32 vcc, 23, v28
	;; [unrolled: 2-line block ×4, first 2 shown]
	s_waitcnt vmcnt(0)
	v_cndmask_b32_e32 v33, v33, v27, vcc
	v_add_u32_e32 v31, 4, v31
	s_waitcnt lgkmcnt(0)
	v_fmac_f32_e32 v30, v33, v32
	s_andn2_b64 exec, exec, s[8:9]
	s_cbranch_execnz .LBB25_555
; %bb.556:
	s_or_b64 exec, exec, s[8:9]
.LBB25_557:
	s_or_b64 exec, exec, s[6:7]
	v_mov_b32_e32 v19, 0
	ds_read_b32 v19, v19 offset:68
	s_waitcnt lgkmcnt(0)
	v_mul_f32_e32 v19, v30, v19
.LBB25_558:
	s_or_b64 exec, exec, s[4:5]
	v_cmp_gt_u32_e32 vcc, 18, v0
	s_waitcnt vmcnt(8)
	ds_write_b32 v112, v20
	s_waitcnt lgkmcnt(0)
	; wave barrier
	s_and_saveexec_b64 s[4:5], vcc
	s_cbranch_execz .LBB25_568
; %bb.559:
	s_and_b64 vcc, exec, s[0:1]
	s_cbranch_vccnz .LBB25_561
; %bb.560:
	v_cmp_eq_u32_e32 vcc, 1, v0
	s_waitcnt vmcnt(1)
	v_cndmask_b32_e32 v28, v2, v3, vcc
	v_cmp_eq_u32_e32 vcc, 2, v0
	v_cndmask_b32_e32 v28, v28, v4, vcc
	v_cmp_eq_u32_e32 vcc, 3, v0
	;; [unrolled: 2-line block ×21, first 2 shown]
	ds_read_b32 v29, v112
	v_cndmask_b32_e32 v28, v28, v24, vcc
	v_cmp_eq_u32_e32 vcc, 23, v0
	v_cndmask_b32_e32 v28, v28, v25, vcc
	v_cmp_eq_u32_e32 vcc, 24, v0
	;; [unrolled: 2-line block ×3, first 2 shown]
	s_waitcnt vmcnt(0)
	v_cndmask_b32_e32 v28, v28, v27, vcc
	s_waitcnt lgkmcnt(0)
	v_mul_f32_e32 v30, v28, v29
	s_cbranch_execz .LBB25_562
	s_branch .LBB25_563
.LBB25_561:
                                        ; implicit-def: $vgpr30
.LBB25_562:
	ds_read_b32 v30, v112
.LBB25_563:
	v_cmp_ne_u32_e32 vcc, 17, v0
	s_and_saveexec_b64 s[6:7], vcc
	s_cbranch_execz .LBB25_567
; %bb.564:
	v_mov_b32_e32 v28, 0x74
	v_lshl_add_u32 v31, v0, 2, v28
	v_mov_b32_e32 v29, v1
	s_mov_b64 s[8:9], 0
	v_mov_b32_e32 v28, v0
.LBB25_565:                             ; =>This Inner Loop Header: Depth=1
	v_add_co_u32_e32 v28, vcc, 1, v28
	v_addc_co_u32_e32 v29, vcc, 0, v29, vcc
	v_cmp_eq_u32_e32 vcc, 1, v28
	s_waitcnt vmcnt(1)
	v_cndmask_b32_e32 v33, v2, v3, vcc
	v_cmp_lt_u32_e32 vcc, 16, v28
	v_cmp_eq_u32_e64 s[2:3], 2, v28
	v_cndmask_b32_e64 v33, v33, v4, s[2:3]
	s_or_b64 s[8:9], vcc, s[8:9]
	v_cmp_eq_u32_e32 vcc, 3, v28
	v_cndmask_b32_e32 v33, v33, v5, vcc
	v_cmp_eq_u32_e32 vcc, 4, v28
	v_cndmask_b32_e32 v33, v33, v6, vcc
	;; [unrolled: 2-line block ×18, first 2 shown]
	v_cmp_eq_u32_e32 vcc, 21, v28
	ds_read_b32 v32, v31
	v_cndmask_b32_e32 v33, v33, v23, vcc
	v_cmp_eq_u32_e32 vcc, 22, v28
	v_cndmask_b32_e32 v33, v33, v24, vcc
	v_cmp_eq_u32_e32 vcc, 23, v28
	;; [unrolled: 2-line block ×4, first 2 shown]
	s_waitcnt vmcnt(0)
	v_cndmask_b32_e32 v33, v33, v27, vcc
	v_add_u32_e32 v31, 4, v31
	s_waitcnt lgkmcnt(0)
	v_fmac_f32_e32 v30, v33, v32
	s_andn2_b64 exec, exec, s[8:9]
	s_cbranch_execnz .LBB25_565
; %bb.566:
	s_or_b64 exec, exec, s[8:9]
.LBB25_567:
	s_or_b64 exec, exec, s[6:7]
	v_mov_b32_e32 v20, 0
	ds_read_b32 v20, v20 offset:72
	s_waitcnt lgkmcnt(0)
	v_mul_f32_e32 v20, v30, v20
.LBB25_568:
	s_or_b64 exec, exec, s[4:5]
	v_cmp_gt_u32_e32 vcc, 19, v0
	s_waitcnt vmcnt(7)
	ds_write_b32 v112, v21
	s_waitcnt lgkmcnt(0)
	; wave barrier
	s_and_saveexec_b64 s[4:5], vcc
	s_cbranch_execz .LBB25_578
; %bb.569:
	s_and_b64 vcc, exec, s[0:1]
	s_cbranch_vccnz .LBB25_571
; %bb.570:
	v_cmp_eq_u32_e32 vcc, 1, v0
	s_waitcnt vmcnt(1)
	v_cndmask_b32_e32 v28, v2, v3, vcc
	v_cmp_eq_u32_e32 vcc, 2, v0
	v_cndmask_b32_e32 v28, v28, v4, vcc
	v_cmp_eq_u32_e32 vcc, 3, v0
	;; [unrolled: 2-line block ×21, first 2 shown]
	ds_read_b32 v29, v112
	v_cndmask_b32_e32 v28, v28, v24, vcc
	v_cmp_eq_u32_e32 vcc, 23, v0
	v_cndmask_b32_e32 v28, v28, v25, vcc
	v_cmp_eq_u32_e32 vcc, 24, v0
	;; [unrolled: 2-line block ×3, first 2 shown]
	s_waitcnt vmcnt(0)
	v_cndmask_b32_e32 v28, v28, v27, vcc
	s_waitcnt lgkmcnt(0)
	v_mul_f32_e32 v30, v28, v29
	s_cbranch_execz .LBB25_572
	s_branch .LBB25_573
.LBB25_571:
                                        ; implicit-def: $vgpr30
.LBB25_572:
	ds_read_b32 v30, v112
.LBB25_573:
	v_cmp_ne_u32_e32 vcc, 18, v0
	s_and_saveexec_b64 s[6:7], vcc
	s_cbranch_execz .LBB25_577
; %bb.574:
	v_mov_b32_e32 v28, 0x74
	v_lshl_add_u32 v31, v0, 2, v28
	v_mov_b32_e32 v29, v1
	s_mov_b64 s[8:9], 0
	v_mov_b32_e32 v28, v0
.LBB25_575:                             ; =>This Inner Loop Header: Depth=1
	v_add_co_u32_e32 v28, vcc, 1, v28
	v_addc_co_u32_e32 v29, vcc, 0, v29, vcc
	v_cmp_eq_u32_e32 vcc, 1, v28
	s_waitcnt vmcnt(1)
	v_cndmask_b32_e32 v33, v2, v3, vcc
	v_cmp_lt_u32_e32 vcc, 17, v28
	v_cmp_eq_u32_e64 s[2:3], 2, v28
	v_cndmask_b32_e64 v33, v33, v4, s[2:3]
	s_or_b64 s[8:9], vcc, s[8:9]
	v_cmp_eq_u32_e32 vcc, 3, v28
	v_cndmask_b32_e32 v33, v33, v5, vcc
	v_cmp_eq_u32_e32 vcc, 4, v28
	v_cndmask_b32_e32 v33, v33, v6, vcc
	;; [unrolled: 2-line block ×18, first 2 shown]
	v_cmp_eq_u32_e32 vcc, 21, v28
	ds_read_b32 v32, v31
	v_cndmask_b32_e32 v33, v33, v23, vcc
	v_cmp_eq_u32_e32 vcc, 22, v28
	v_cndmask_b32_e32 v33, v33, v24, vcc
	v_cmp_eq_u32_e32 vcc, 23, v28
	;; [unrolled: 2-line block ×4, first 2 shown]
	s_waitcnt vmcnt(0)
	v_cndmask_b32_e32 v33, v33, v27, vcc
	v_add_u32_e32 v31, 4, v31
	s_waitcnt lgkmcnt(0)
	v_fmac_f32_e32 v30, v33, v32
	s_andn2_b64 exec, exec, s[8:9]
	s_cbranch_execnz .LBB25_575
; %bb.576:
	s_or_b64 exec, exec, s[8:9]
.LBB25_577:
	s_or_b64 exec, exec, s[6:7]
	v_mov_b32_e32 v21, 0
	ds_read_b32 v21, v21 offset:76
	s_waitcnt lgkmcnt(0)
	v_mul_f32_e32 v21, v30, v21
.LBB25_578:
	s_or_b64 exec, exec, s[4:5]
	v_cmp_gt_u32_e32 vcc, 20, v0
	s_waitcnt vmcnt(6)
	ds_write_b32 v112, v22
	s_waitcnt lgkmcnt(0)
	; wave barrier
	s_and_saveexec_b64 s[4:5], vcc
	s_cbranch_execz .LBB25_588
; %bb.579:
	s_and_b64 vcc, exec, s[0:1]
	s_cbranch_vccnz .LBB25_581
; %bb.580:
	v_cmp_eq_u32_e32 vcc, 1, v0
	s_waitcnt vmcnt(1)
	v_cndmask_b32_e32 v28, v2, v3, vcc
	v_cmp_eq_u32_e32 vcc, 2, v0
	v_cndmask_b32_e32 v28, v28, v4, vcc
	v_cmp_eq_u32_e32 vcc, 3, v0
	v_cndmask_b32_e32 v28, v28, v5, vcc
	v_cmp_eq_u32_e32 vcc, 4, v0
	v_cndmask_b32_e32 v28, v28, v6, vcc
	v_cmp_eq_u32_e32 vcc, 5, v0
	v_cndmask_b32_e32 v28, v28, v7, vcc
	v_cmp_eq_u32_e32 vcc, 6, v0
	v_cndmask_b32_e32 v28, v28, v8, vcc
	v_cmp_eq_u32_e32 vcc, 7, v0
	v_cndmask_b32_e32 v28, v28, v9, vcc
	v_cmp_eq_u32_e32 vcc, 8, v0
	v_cndmask_b32_e32 v28, v28, v10, vcc
	v_cmp_eq_u32_e32 vcc, 9, v0
	v_cndmask_b32_e32 v28, v28, v11, vcc
	v_cmp_eq_u32_e32 vcc, 10, v0
	v_cndmask_b32_e32 v28, v28, v12, vcc
	v_cmp_eq_u32_e32 vcc, 11, v0
	v_cndmask_b32_e32 v28, v28, v13, vcc
	v_cmp_eq_u32_e32 vcc, 12, v0
	v_cndmask_b32_e32 v28, v28, v14, vcc
	v_cmp_eq_u32_e32 vcc, 13, v0
	v_cndmask_b32_e32 v28, v28, v15, vcc
	v_cmp_eq_u32_e32 vcc, 14, v0
	v_cndmask_b32_e32 v28, v28, v16, vcc
	v_cmp_eq_u32_e32 vcc, 15, v0
	v_cndmask_b32_e32 v28, v28, v17, vcc
	v_cmp_eq_u32_e32 vcc, 16, v0
	v_cndmask_b32_e32 v28, v28, v18, vcc
	v_cmp_eq_u32_e32 vcc, 17, v0
	v_cndmask_b32_e32 v28, v28, v19, vcc
	v_cmp_eq_u32_e32 vcc, 18, v0
	v_cndmask_b32_e32 v28, v28, v20, vcc
	v_cmp_eq_u32_e32 vcc, 19, v0
	v_cndmask_b32_e32 v28, v28, v21, vcc
	v_cmp_eq_u32_e32 vcc, 20, v0
	v_cndmask_b32_e32 v28, v28, v22, vcc
	v_cmp_eq_u32_e32 vcc, 21, v0
	v_cndmask_b32_e32 v28, v28, v23, vcc
	v_cmp_eq_u32_e32 vcc, 22, v0
	ds_read_b32 v29, v112
	v_cndmask_b32_e32 v28, v28, v24, vcc
	v_cmp_eq_u32_e32 vcc, 23, v0
	v_cndmask_b32_e32 v28, v28, v25, vcc
	v_cmp_eq_u32_e32 vcc, 24, v0
	;; [unrolled: 2-line block ×3, first 2 shown]
	s_waitcnt vmcnt(0)
	v_cndmask_b32_e32 v28, v28, v27, vcc
	s_waitcnt lgkmcnt(0)
	v_mul_f32_e32 v30, v28, v29
	s_cbranch_execz .LBB25_582
	s_branch .LBB25_583
.LBB25_581:
                                        ; implicit-def: $vgpr30
.LBB25_582:
	ds_read_b32 v30, v112
.LBB25_583:
	v_cmp_ne_u32_e32 vcc, 19, v0
	s_and_saveexec_b64 s[6:7], vcc
	s_cbranch_execz .LBB25_587
; %bb.584:
	v_mov_b32_e32 v28, 0x74
	v_lshl_add_u32 v31, v0, 2, v28
	v_mov_b32_e32 v29, v1
	s_mov_b64 s[8:9], 0
	v_mov_b32_e32 v28, v0
.LBB25_585:                             ; =>This Inner Loop Header: Depth=1
	v_add_co_u32_e32 v28, vcc, 1, v28
	v_addc_co_u32_e32 v29, vcc, 0, v29, vcc
	v_cmp_eq_u32_e32 vcc, 1, v28
	s_waitcnt vmcnt(1)
	v_cndmask_b32_e32 v33, v2, v3, vcc
	v_cmp_lt_u32_e32 vcc, 18, v28
	v_cmp_eq_u32_e64 s[2:3], 2, v28
	v_cndmask_b32_e64 v33, v33, v4, s[2:3]
	s_or_b64 s[8:9], vcc, s[8:9]
	v_cmp_eq_u32_e32 vcc, 3, v28
	v_cndmask_b32_e32 v33, v33, v5, vcc
	v_cmp_eq_u32_e32 vcc, 4, v28
	v_cndmask_b32_e32 v33, v33, v6, vcc
	;; [unrolled: 2-line block ×18, first 2 shown]
	v_cmp_eq_u32_e32 vcc, 21, v28
	ds_read_b32 v32, v31
	v_cndmask_b32_e32 v33, v33, v23, vcc
	v_cmp_eq_u32_e32 vcc, 22, v28
	v_cndmask_b32_e32 v33, v33, v24, vcc
	v_cmp_eq_u32_e32 vcc, 23, v28
	;; [unrolled: 2-line block ×4, first 2 shown]
	s_waitcnt vmcnt(0)
	v_cndmask_b32_e32 v33, v33, v27, vcc
	v_add_u32_e32 v31, 4, v31
	s_waitcnt lgkmcnt(0)
	v_fmac_f32_e32 v30, v33, v32
	s_andn2_b64 exec, exec, s[8:9]
	s_cbranch_execnz .LBB25_585
; %bb.586:
	s_or_b64 exec, exec, s[8:9]
.LBB25_587:
	s_or_b64 exec, exec, s[6:7]
	v_mov_b32_e32 v22, 0
	ds_read_b32 v22, v22 offset:80
	s_waitcnt lgkmcnt(0)
	v_mul_f32_e32 v22, v30, v22
.LBB25_588:
	s_or_b64 exec, exec, s[4:5]
	v_cmp_gt_u32_e32 vcc, 21, v0
	s_waitcnt vmcnt(5)
	ds_write_b32 v112, v23
	s_waitcnt lgkmcnt(0)
	; wave barrier
	s_and_saveexec_b64 s[4:5], vcc
	s_cbranch_execz .LBB25_598
; %bb.589:
	s_and_b64 vcc, exec, s[0:1]
	s_cbranch_vccnz .LBB25_591
; %bb.590:
	v_cmp_eq_u32_e32 vcc, 1, v0
	s_waitcnt vmcnt(1)
	v_cndmask_b32_e32 v28, v2, v3, vcc
	v_cmp_eq_u32_e32 vcc, 2, v0
	v_cndmask_b32_e32 v28, v28, v4, vcc
	v_cmp_eq_u32_e32 vcc, 3, v0
	;; [unrolled: 2-line block ×21, first 2 shown]
	ds_read_b32 v29, v112
	v_cndmask_b32_e32 v28, v28, v24, vcc
	v_cmp_eq_u32_e32 vcc, 23, v0
	v_cndmask_b32_e32 v28, v28, v25, vcc
	v_cmp_eq_u32_e32 vcc, 24, v0
	v_cndmask_b32_e32 v28, v28, v26, vcc
	v_cmp_eq_u32_e32 vcc, 25, v0
	s_waitcnt vmcnt(0)
	v_cndmask_b32_e32 v28, v28, v27, vcc
	s_waitcnt lgkmcnt(0)
	v_mul_f32_e32 v30, v28, v29
	s_cbranch_execz .LBB25_592
	s_branch .LBB25_593
.LBB25_591:
                                        ; implicit-def: $vgpr30
.LBB25_592:
	ds_read_b32 v30, v112
.LBB25_593:
	v_cmp_ne_u32_e32 vcc, 20, v0
	s_and_saveexec_b64 s[6:7], vcc
	s_cbranch_execz .LBB25_597
; %bb.594:
	v_mov_b32_e32 v28, 0x74
	v_lshl_add_u32 v31, v0, 2, v28
	v_mov_b32_e32 v29, v1
	s_mov_b64 s[8:9], 0
	v_mov_b32_e32 v28, v0
.LBB25_595:                             ; =>This Inner Loop Header: Depth=1
	v_add_co_u32_e32 v28, vcc, 1, v28
	v_addc_co_u32_e32 v29, vcc, 0, v29, vcc
	v_cmp_eq_u32_e32 vcc, 1, v28
	s_waitcnt vmcnt(1)
	v_cndmask_b32_e32 v33, v2, v3, vcc
	v_cmp_lt_u32_e32 vcc, 19, v28
	v_cmp_eq_u32_e64 s[2:3], 2, v28
	v_cndmask_b32_e64 v33, v33, v4, s[2:3]
	s_or_b64 s[8:9], vcc, s[8:9]
	v_cmp_eq_u32_e32 vcc, 3, v28
	v_cndmask_b32_e32 v33, v33, v5, vcc
	v_cmp_eq_u32_e32 vcc, 4, v28
	v_cndmask_b32_e32 v33, v33, v6, vcc
	;; [unrolled: 2-line block ×18, first 2 shown]
	v_cmp_eq_u32_e32 vcc, 21, v28
	ds_read_b32 v32, v31
	v_cndmask_b32_e32 v33, v33, v23, vcc
	v_cmp_eq_u32_e32 vcc, 22, v28
	v_cndmask_b32_e32 v33, v33, v24, vcc
	v_cmp_eq_u32_e32 vcc, 23, v28
	v_cndmask_b32_e32 v33, v33, v25, vcc
	v_cmp_eq_u32_e32 vcc, 24, v28
	v_cndmask_b32_e32 v33, v33, v26, vcc
	v_cmp_eq_u32_e32 vcc, 25, v28
	s_waitcnt vmcnt(0)
	v_cndmask_b32_e32 v33, v33, v27, vcc
	v_add_u32_e32 v31, 4, v31
	s_waitcnt lgkmcnt(0)
	v_fmac_f32_e32 v30, v33, v32
	s_andn2_b64 exec, exec, s[8:9]
	s_cbranch_execnz .LBB25_595
; %bb.596:
	s_or_b64 exec, exec, s[8:9]
.LBB25_597:
	s_or_b64 exec, exec, s[6:7]
	v_mov_b32_e32 v23, 0
	ds_read_b32 v23, v23 offset:84
	s_waitcnt lgkmcnt(0)
	v_mul_f32_e32 v23, v30, v23
.LBB25_598:
	s_or_b64 exec, exec, s[4:5]
	v_cmp_gt_u32_e32 vcc, 22, v0
	s_waitcnt vmcnt(4)
	ds_write_b32 v112, v24
	s_waitcnt lgkmcnt(0)
	; wave barrier
	s_and_saveexec_b64 s[4:5], vcc
	s_cbranch_execz .LBB25_608
; %bb.599:
	s_and_b64 vcc, exec, s[0:1]
	s_cbranch_vccnz .LBB25_601
; %bb.600:
	v_cmp_eq_u32_e32 vcc, 1, v0
	s_waitcnt vmcnt(1)
	v_cndmask_b32_e32 v28, v2, v3, vcc
	v_cmp_eq_u32_e32 vcc, 2, v0
	v_cndmask_b32_e32 v28, v28, v4, vcc
	v_cmp_eq_u32_e32 vcc, 3, v0
	;; [unrolled: 2-line block ×21, first 2 shown]
	ds_read_b32 v29, v112
	v_cndmask_b32_e32 v28, v28, v24, vcc
	v_cmp_eq_u32_e32 vcc, 23, v0
	v_cndmask_b32_e32 v28, v28, v25, vcc
	v_cmp_eq_u32_e32 vcc, 24, v0
	;; [unrolled: 2-line block ×3, first 2 shown]
	s_waitcnt vmcnt(0)
	v_cndmask_b32_e32 v28, v28, v27, vcc
	s_waitcnt lgkmcnt(0)
	v_mul_f32_e32 v30, v28, v29
	s_cbranch_execz .LBB25_602
	s_branch .LBB25_603
.LBB25_601:
                                        ; implicit-def: $vgpr30
.LBB25_602:
	ds_read_b32 v30, v112
.LBB25_603:
	v_cmp_ne_u32_e32 vcc, 21, v0
	s_and_saveexec_b64 s[6:7], vcc
	s_cbranch_execz .LBB25_607
; %bb.604:
	v_mov_b32_e32 v28, 0x74
	v_lshl_add_u32 v31, v0, 2, v28
	v_mov_b32_e32 v29, v1
	s_mov_b64 s[8:9], 0
	v_mov_b32_e32 v28, v0
.LBB25_605:                             ; =>This Inner Loop Header: Depth=1
	v_add_co_u32_e32 v28, vcc, 1, v28
	v_addc_co_u32_e32 v29, vcc, 0, v29, vcc
	v_cmp_eq_u32_e32 vcc, 1, v28
	s_waitcnt vmcnt(1)
	v_cndmask_b32_e32 v33, v2, v3, vcc
	v_cmp_lt_u32_e32 vcc, 20, v28
	v_cmp_eq_u32_e64 s[2:3], 2, v28
	v_cndmask_b32_e64 v33, v33, v4, s[2:3]
	s_or_b64 s[8:9], vcc, s[8:9]
	v_cmp_eq_u32_e32 vcc, 3, v28
	v_cndmask_b32_e32 v33, v33, v5, vcc
	v_cmp_eq_u32_e32 vcc, 4, v28
	v_cndmask_b32_e32 v33, v33, v6, vcc
	v_cmp_eq_u32_e32 vcc, 5, v28
	v_cndmask_b32_e32 v33, v33, v7, vcc
	v_cmp_eq_u32_e32 vcc, 6, v28
	v_cndmask_b32_e32 v33, v33, v8, vcc
	v_cmp_eq_u32_e32 vcc, 7, v28
	v_cndmask_b32_e32 v33, v33, v9, vcc
	v_cmp_eq_u32_e32 vcc, 8, v28
	v_cndmask_b32_e32 v33, v33, v10, vcc
	v_cmp_eq_u32_e32 vcc, 9, v28
	v_cndmask_b32_e32 v33, v33, v11, vcc
	v_cmp_eq_u32_e32 vcc, 10, v28
	v_cndmask_b32_e32 v33, v33, v12, vcc
	v_cmp_eq_u32_e32 vcc, 11, v28
	v_cndmask_b32_e32 v33, v33, v13, vcc
	v_cmp_eq_u32_e32 vcc, 12, v28
	v_cndmask_b32_e32 v33, v33, v14, vcc
	v_cmp_eq_u32_e32 vcc, 13, v28
	v_cndmask_b32_e32 v33, v33, v15, vcc
	v_cmp_eq_u32_e32 vcc, 14, v28
	v_cndmask_b32_e32 v33, v33, v16, vcc
	v_cmp_eq_u32_e32 vcc, 15, v28
	v_cndmask_b32_e32 v33, v33, v17, vcc
	v_cmp_eq_u32_e32 vcc, 16, v28
	v_cndmask_b32_e32 v33, v33, v18, vcc
	v_cmp_eq_u32_e32 vcc, 17, v28
	v_cndmask_b32_e32 v33, v33, v19, vcc
	v_cmp_eq_u32_e32 vcc, 18, v28
	v_cndmask_b32_e32 v33, v33, v20, vcc
	v_cmp_eq_u32_e32 vcc, 19, v28
	v_cndmask_b32_e32 v33, v33, v21, vcc
	v_cmp_eq_u32_e32 vcc, 20, v28
	v_cndmask_b32_e32 v33, v33, v22, vcc
	v_cmp_eq_u32_e32 vcc, 21, v28
	ds_read_b32 v32, v31
	v_cndmask_b32_e32 v33, v33, v23, vcc
	v_cmp_eq_u32_e32 vcc, 22, v28
	v_cndmask_b32_e32 v33, v33, v24, vcc
	v_cmp_eq_u32_e32 vcc, 23, v28
	;; [unrolled: 2-line block ×4, first 2 shown]
	s_waitcnt vmcnt(0)
	v_cndmask_b32_e32 v33, v33, v27, vcc
	v_add_u32_e32 v31, 4, v31
	s_waitcnt lgkmcnt(0)
	v_fmac_f32_e32 v30, v33, v32
	s_andn2_b64 exec, exec, s[8:9]
	s_cbranch_execnz .LBB25_605
; %bb.606:
	s_or_b64 exec, exec, s[8:9]
.LBB25_607:
	s_or_b64 exec, exec, s[6:7]
	v_mov_b32_e32 v24, 0
	ds_read_b32 v24, v24 offset:88
	s_waitcnt lgkmcnt(0)
	v_mul_f32_e32 v24, v30, v24
.LBB25_608:
	s_or_b64 exec, exec, s[4:5]
	v_cmp_gt_u32_e32 vcc, 23, v0
	s_waitcnt vmcnt(3)
	ds_write_b32 v112, v25
	s_waitcnt lgkmcnt(0)
	; wave barrier
	s_and_saveexec_b64 s[4:5], vcc
	s_cbranch_execz .LBB25_618
; %bb.609:
	s_and_b64 vcc, exec, s[0:1]
	s_cbranch_vccnz .LBB25_611
; %bb.610:
	v_cmp_eq_u32_e32 vcc, 1, v0
	s_waitcnt vmcnt(1)
	v_cndmask_b32_e32 v28, v2, v3, vcc
	v_cmp_eq_u32_e32 vcc, 2, v0
	v_cndmask_b32_e32 v28, v28, v4, vcc
	v_cmp_eq_u32_e32 vcc, 3, v0
	;; [unrolled: 2-line block ×21, first 2 shown]
	ds_read_b32 v29, v112
	v_cndmask_b32_e32 v28, v28, v24, vcc
	v_cmp_eq_u32_e32 vcc, 23, v0
	v_cndmask_b32_e32 v28, v28, v25, vcc
	v_cmp_eq_u32_e32 vcc, 24, v0
	;; [unrolled: 2-line block ×3, first 2 shown]
	s_waitcnt vmcnt(0)
	v_cndmask_b32_e32 v28, v28, v27, vcc
	s_waitcnt lgkmcnt(0)
	v_mul_f32_e32 v30, v28, v29
	s_cbranch_execz .LBB25_612
	s_branch .LBB25_613
.LBB25_611:
                                        ; implicit-def: $vgpr30
.LBB25_612:
	ds_read_b32 v30, v112
.LBB25_613:
	v_cmp_ne_u32_e32 vcc, 22, v0
	s_and_saveexec_b64 s[6:7], vcc
	s_cbranch_execz .LBB25_617
; %bb.614:
	v_mov_b32_e32 v28, 0x74
	v_lshl_add_u32 v31, v0, 2, v28
	v_mov_b32_e32 v29, v1
	s_mov_b64 s[8:9], 0
	v_mov_b32_e32 v28, v0
.LBB25_615:                             ; =>This Inner Loop Header: Depth=1
	v_add_co_u32_e32 v28, vcc, 1, v28
	v_addc_co_u32_e32 v29, vcc, 0, v29, vcc
	v_cmp_eq_u32_e32 vcc, 1, v28
	s_waitcnt vmcnt(1)
	v_cndmask_b32_e32 v33, v2, v3, vcc
	v_cmp_lt_u32_e32 vcc, 21, v28
	v_cmp_eq_u32_e64 s[2:3], 2, v28
	v_cndmask_b32_e64 v33, v33, v4, s[2:3]
	s_or_b64 s[8:9], vcc, s[8:9]
	v_cmp_eq_u32_e32 vcc, 3, v28
	v_cndmask_b32_e32 v33, v33, v5, vcc
	v_cmp_eq_u32_e32 vcc, 4, v28
	v_cndmask_b32_e32 v33, v33, v6, vcc
	;; [unrolled: 2-line block ×18, first 2 shown]
	v_cmp_eq_u32_e32 vcc, 21, v28
	ds_read_b32 v32, v31
	v_cndmask_b32_e32 v33, v33, v23, vcc
	v_cmp_eq_u32_e32 vcc, 22, v28
	v_cndmask_b32_e32 v33, v33, v24, vcc
	v_cmp_eq_u32_e32 vcc, 23, v28
	;; [unrolled: 2-line block ×4, first 2 shown]
	s_waitcnt vmcnt(0)
	v_cndmask_b32_e32 v33, v33, v27, vcc
	v_add_u32_e32 v31, 4, v31
	s_waitcnt lgkmcnt(0)
	v_fmac_f32_e32 v30, v33, v32
	s_andn2_b64 exec, exec, s[8:9]
	s_cbranch_execnz .LBB25_615
; %bb.616:
	s_or_b64 exec, exec, s[8:9]
.LBB25_617:
	s_or_b64 exec, exec, s[6:7]
	v_mov_b32_e32 v25, 0
	ds_read_b32 v25, v25 offset:92
	s_waitcnt lgkmcnt(0)
	v_mul_f32_e32 v25, v30, v25
.LBB25_618:
	s_or_b64 exec, exec, s[4:5]
	v_cmp_gt_u32_e64 s[2:3], 24, v0
	s_waitcnt vmcnt(2)
	ds_write_b32 v112, v26
	s_waitcnt lgkmcnt(0)
	; wave barrier
	s_and_saveexec_b64 s[6:7], s[2:3]
	s_cbranch_execz .LBB25_628
; %bb.619:
	s_and_b64 vcc, exec, s[0:1]
	s_cbranch_vccnz .LBB25_621
; %bb.620:
	v_cmp_eq_u32_e32 vcc, 1, v0
	s_waitcnt vmcnt(1)
	v_cndmask_b32_e32 v28, v2, v3, vcc
	v_cmp_eq_u32_e32 vcc, 2, v0
	v_cndmask_b32_e32 v28, v28, v4, vcc
	v_cmp_eq_u32_e32 vcc, 3, v0
	;; [unrolled: 2-line block ×21, first 2 shown]
	ds_read_b32 v29, v112
	v_cndmask_b32_e32 v28, v28, v24, vcc
	v_cmp_eq_u32_e32 vcc, 23, v0
	v_cndmask_b32_e32 v28, v28, v25, vcc
	v_cmp_eq_u32_e32 vcc, 24, v0
	;; [unrolled: 2-line block ×3, first 2 shown]
	s_waitcnt vmcnt(0)
	v_cndmask_b32_e32 v28, v28, v27, vcc
	s_waitcnt lgkmcnt(0)
	v_mul_f32_e32 v30, v28, v29
	s_cbranch_execz .LBB25_622
	s_branch .LBB25_623
.LBB25_621:
                                        ; implicit-def: $vgpr30
.LBB25_622:
	ds_read_b32 v30, v112
.LBB25_623:
	v_cmp_ne_u32_e32 vcc, 23, v0
	s_and_saveexec_b64 s[8:9], vcc
	s_cbranch_execz .LBB25_627
; %bb.624:
	v_mov_b32_e32 v28, 0x74
	v_lshl_add_u32 v31, v0, 2, v28
	v_mov_b32_e32 v29, v1
	s_mov_b64 s[10:11], 0
	v_mov_b32_e32 v28, v0
.LBB25_625:                             ; =>This Inner Loop Header: Depth=1
	v_add_co_u32_e32 v28, vcc, 1, v28
	v_addc_co_u32_e32 v29, vcc, 0, v29, vcc
	v_cmp_eq_u32_e32 vcc, 1, v28
	s_waitcnt vmcnt(1)
	v_cndmask_b32_e32 v33, v2, v3, vcc
	v_cmp_lt_u32_e32 vcc, 22, v28
	v_cmp_eq_u32_e64 s[4:5], 2, v28
	v_cndmask_b32_e64 v33, v33, v4, s[4:5]
	s_or_b64 s[10:11], vcc, s[10:11]
	v_cmp_eq_u32_e32 vcc, 3, v28
	v_cndmask_b32_e32 v33, v33, v5, vcc
	v_cmp_eq_u32_e32 vcc, 4, v28
	v_cndmask_b32_e32 v33, v33, v6, vcc
	;; [unrolled: 2-line block ×18, first 2 shown]
	v_cmp_eq_u32_e32 vcc, 21, v28
	ds_read_b32 v32, v31
	v_cndmask_b32_e32 v33, v33, v23, vcc
	v_cmp_eq_u32_e32 vcc, 22, v28
	v_cndmask_b32_e32 v33, v33, v24, vcc
	v_cmp_eq_u32_e32 vcc, 23, v28
	;; [unrolled: 2-line block ×4, first 2 shown]
	s_waitcnt vmcnt(0)
	v_cndmask_b32_e32 v33, v33, v27, vcc
	v_add_u32_e32 v31, 4, v31
	s_waitcnt lgkmcnt(0)
	v_fmac_f32_e32 v30, v33, v32
	s_andn2_b64 exec, exec, s[10:11]
	s_cbranch_execnz .LBB25_625
; %bb.626:
	s_or_b64 exec, exec, s[10:11]
.LBB25_627:
	s_or_b64 exec, exec, s[8:9]
	v_mov_b32_e32 v26, 0
	ds_read_b32 v26, v26 offset:96
	s_waitcnt lgkmcnt(0)
	v_mul_f32_e32 v26, v30, v26
.LBB25_628:
	s_or_b64 exec, exec, s[6:7]
	v_cmp_ne_u32_e32 vcc, 25, v0
	s_waitcnt vmcnt(0)
	ds_write_b32 v112, v27
	s_waitcnt lgkmcnt(0)
	; wave barrier
	s_and_saveexec_b64 s[4:5], vcc
	s_cbranch_execz .LBB25_638
; %bb.629:
	s_and_b64 vcc, exec, s[0:1]
	s_cbranch_vccnz .LBB25_631
; %bb.630:
	v_cmp_eq_u32_e32 vcc, 1, v0
	v_cndmask_b32_e32 v28, v2, v3, vcc
	v_cmp_eq_u32_e32 vcc, 2, v0
	v_cndmask_b32_e32 v28, v28, v4, vcc
	;; [unrolled: 2-line block ×21, first 2 shown]
	v_cmp_eq_u32_e32 vcc, 22, v0
	ds_read_b32 v29, v112
	v_cndmask_b32_e32 v28, v28, v24, vcc
	v_cmp_eq_u32_e32 vcc, 23, v0
	v_cndmask_b32_e32 v28, v28, v25, vcc
	v_cmp_eq_u32_e32 vcc, 24, v0
	;; [unrolled: 2-line block ×3, first 2 shown]
	v_cndmask_b32_e32 v28, v28, v27, vcc
	s_waitcnt lgkmcnt(0)
	v_mul_f32_e32 v28, v28, v29
	s_cbranch_execz .LBB25_632
	s_branch .LBB25_633
.LBB25_631:
                                        ; implicit-def: $vgpr28
.LBB25_632:
	ds_read_b32 v28, v112
.LBB25_633:
	s_and_saveexec_b64 s[6:7], s[2:3]
	s_cbranch_execz .LBB25_637
; %bb.634:
	v_mov_b32_e32 v29, 0x74
	v_lshl_add_u32 v29, v0, 2, v29
	s_mov_b64 s[2:3], 0
.LBB25_635:                             ; =>This Inner Loop Header: Depth=1
	v_add_co_u32_e32 v0, vcc, 1, v0
	v_addc_co_u32_e32 v1, vcc, 0, v1, vcc
	v_cmp_eq_u32_e32 vcc, 1, v0
	v_cndmask_b32_e32 v31, v2, v3, vcc
	v_cmp_lt_u32_e32 vcc, 23, v0
	v_cmp_eq_u32_e64 s[0:1], 2, v0
	v_cndmask_b32_e64 v31, v31, v4, s[0:1]
	s_or_b64 s[2:3], vcc, s[2:3]
	v_cmp_eq_u32_e32 vcc, 3, v0
	v_cndmask_b32_e32 v31, v31, v5, vcc
	v_cmp_eq_u32_e32 vcc, 4, v0
	v_cndmask_b32_e32 v31, v31, v6, vcc
	;; [unrolled: 2-line block ×18, first 2 shown]
	v_cmp_eq_u32_e32 vcc, 21, v0
	ds_read_b32 v30, v29
	v_cndmask_b32_e32 v31, v31, v23, vcc
	v_cmp_eq_u32_e32 vcc, 22, v0
	v_cndmask_b32_e32 v31, v31, v24, vcc
	v_cmp_eq_u32_e32 vcc, 23, v0
	;; [unrolled: 2-line block ×4, first 2 shown]
	v_cndmask_b32_e32 v31, v31, v27, vcc
	v_add_u32_e32 v29, 4, v29
	s_waitcnt lgkmcnt(0)
	v_fmac_f32_e32 v28, v31, v30
	s_andn2_b64 exec, exec, s[2:3]
	s_cbranch_execnz .LBB25_635
; %bb.636:
	s_or_b64 exec, exec, s[2:3]
.LBB25_637:
	s_or_b64 exec, exec, s[6:7]
	v_mov_b32_e32 v0, 0
	ds_read_b32 v0, v0 offset:100
	s_waitcnt lgkmcnt(0)
	v_mul_f32_e32 v27, v28, v0
.LBB25_638:
	s_or_b64 exec, exec, s[4:5]
	v_mov_b32_e32 v59, v33
	v_mov_b32_e32 v58, v32
	;; [unrolled: 1-line block ×32, first 2 shown]
.LBB25_639:
	global_store_dword v[108:109], v28, off
	global_store_dword v[110:111], v29, off
	;; [unrolled: 1-line block ×26, first 2 shown]
.LBB25_640:
	s_endpgm
	.section	.rodata,"a",@progbits
	.p2align	6, 0x0
	.amdhsa_kernel _ZN9rocsolver6v33100L18trti2_kernel_smallILi26EfPfEEv13rocblas_fill_17rocblas_diagonal_T1_iil
		.amdhsa_group_segment_fixed_size 216
		.amdhsa_private_segment_fixed_size 0
		.amdhsa_kernarg_size 32
		.amdhsa_user_sgpr_count 6
		.amdhsa_user_sgpr_private_segment_buffer 1
		.amdhsa_user_sgpr_dispatch_ptr 0
		.amdhsa_user_sgpr_queue_ptr 0
		.amdhsa_user_sgpr_kernarg_segment_ptr 1
		.amdhsa_user_sgpr_dispatch_id 0
		.amdhsa_user_sgpr_flat_scratch_init 0
		.amdhsa_user_sgpr_private_segment_size 0
		.amdhsa_uses_dynamic_stack 0
		.amdhsa_system_sgpr_private_segment_wavefront_offset 0
		.amdhsa_system_sgpr_workgroup_id_x 1
		.amdhsa_system_sgpr_workgroup_id_y 0
		.amdhsa_system_sgpr_workgroup_id_z 0
		.amdhsa_system_sgpr_workgroup_info 0
		.amdhsa_system_vgpr_workitem_id 0
		.amdhsa_next_free_vgpr 130
		.amdhsa_next_free_sgpr 64
		.amdhsa_reserve_vcc 1
		.amdhsa_reserve_flat_scratch 0
		.amdhsa_float_round_mode_32 0
		.amdhsa_float_round_mode_16_64 0
		.amdhsa_float_denorm_mode_32 3
		.amdhsa_float_denorm_mode_16_64 3
		.amdhsa_dx10_clamp 1
		.amdhsa_ieee_mode 1
		.amdhsa_fp16_overflow 0
		.amdhsa_exception_fp_ieee_invalid_op 0
		.amdhsa_exception_fp_denorm_src 0
		.amdhsa_exception_fp_ieee_div_zero 0
		.amdhsa_exception_fp_ieee_overflow 0
		.amdhsa_exception_fp_ieee_underflow 0
		.amdhsa_exception_fp_ieee_inexact 0
		.amdhsa_exception_int_div_zero 0
	.end_amdhsa_kernel
	.section	.text._ZN9rocsolver6v33100L18trti2_kernel_smallILi26EfPfEEv13rocblas_fill_17rocblas_diagonal_T1_iil,"axG",@progbits,_ZN9rocsolver6v33100L18trti2_kernel_smallILi26EfPfEEv13rocblas_fill_17rocblas_diagonal_T1_iil,comdat
.Lfunc_end25:
	.size	_ZN9rocsolver6v33100L18trti2_kernel_smallILi26EfPfEEv13rocblas_fill_17rocblas_diagonal_T1_iil, .Lfunc_end25-_ZN9rocsolver6v33100L18trti2_kernel_smallILi26EfPfEEv13rocblas_fill_17rocblas_diagonal_T1_iil
                                        ; -- End function
	.set _ZN9rocsolver6v33100L18trti2_kernel_smallILi26EfPfEEv13rocblas_fill_17rocblas_diagonal_T1_iil.num_vgpr, 130
	.set _ZN9rocsolver6v33100L18trti2_kernel_smallILi26EfPfEEv13rocblas_fill_17rocblas_diagonal_T1_iil.num_agpr, 0
	.set _ZN9rocsolver6v33100L18trti2_kernel_smallILi26EfPfEEv13rocblas_fill_17rocblas_diagonal_T1_iil.numbered_sgpr, 64
	.set _ZN9rocsolver6v33100L18trti2_kernel_smallILi26EfPfEEv13rocblas_fill_17rocblas_diagonal_T1_iil.num_named_barrier, 0
	.set _ZN9rocsolver6v33100L18trti2_kernel_smallILi26EfPfEEv13rocblas_fill_17rocblas_diagonal_T1_iil.private_seg_size, 0
	.set _ZN9rocsolver6v33100L18trti2_kernel_smallILi26EfPfEEv13rocblas_fill_17rocblas_diagonal_T1_iil.uses_vcc, 1
	.set _ZN9rocsolver6v33100L18trti2_kernel_smallILi26EfPfEEv13rocblas_fill_17rocblas_diagonal_T1_iil.uses_flat_scratch, 0
	.set _ZN9rocsolver6v33100L18trti2_kernel_smallILi26EfPfEEv13rocblas_fill_17rocblas_diagonal_T1_iil.has_dyn_sized_stack, 0
	.set _ZN9rocsolver6v33100L18trti2_kernel_smallILi26EfPfEEv13rocblas_fill_17rocblas_diagonal_T1_iil.has_recursion, 0
	.set _ZN9rocsolver6v33100L18trti2_kernel_smallILi26EfPfEEv13rocblas_fill_17rocblas_diagonal_T1_iil.has_indirect_call, 0
	.section	.AMDGPU.csdata,"",@progbits
; Kernel info:
; codeLenInByte = 39588
; TotalNumSgprs: 68
; NumVgprs: 130
; ScratchSize: 0
; MemoryBound: 0
; FloatMode: 240
; IeeeMode: 1
; LDSByteSize: 216 bytes/workgroup (compile time only)
; SGPRBlocks: 8
; VGPRBlocks: 32
; NumSGPRsForWavesPerEU: 68
; NumVGPRsForWavesPerEU: 130
; Occupancy: 1
; WaveLimiterHint : 0
; COMPUTE_PGM_RSRC2:SCRATCH_EN: 0
; COMPUTE_PGM_RSRC2:USER_SGPR: 6
; COMPUTE_PGM_RSRC2:TRAP_HANDLER: 0
; COMPUTE_PGM_RSRC2:TGID_X_EN: 1
; COMPUTE_PGM_RSRC2:TGID_Y_EN: 0
; COMPUTE_PGM_RSRC2:TGID_Z_EN: 0
; COMPUTE_PGM_RSRC2:TIDIG_COMP_CNT: 0
	.section	.text._ZN9rocsolver6v33100L18trti2_kernel_smallILi27EfPfEEv13rocblas_fill_17rocblas_diagonal_T1_iil,"axG",@progbits,_ZN9rocsolver6v33100L18trti2_kernel_smallILi27EfPfEEv13rocblas_fill_17rocblas_diagonal_T1_iil,comdat
	.globl	_ZN9rocsolver6v33100L18trti2_kernel_smallILi27EfPfEEv13rocblas_fill_17rocblas_diagonal_T1_iil ; -- Begin function _ZN9rocsolver6v33100L18trti2_kernel_smallILi27EfPfEEv13rocblas_fill_17rocblas_diagonal_T1_iil
	.p2align	8
	.type	_ZN9rocsolver6v33100L18trti2_kernel_smallILi27EfPfEEv13rocblas_fill_17rocblas_diagonal_T1_iil,@function
_ZN9rocsolver6v33100L18trti2_kernel_smallILi27EfPfEEv13rocblas_fill_17rocblas_diagonal_T1_iil: ; @_ZN9rocsolver6v33100L18trti2_kernel_smallILi27EfPfEEv13rocblas_fill_17rocblas_diagonal_T1_iil
; %bb.0:
	v_cmp_gt_u32_e32 vcc, 27, v0
	s_and_saveexec_b64 s[0:1], vcc
	s_cbranch_execz .LBB26_666
; %bb.1:
	s_load_dwordx8 s[56:63], s[4:5], 0x0
	s_ashr_i32 s2, s6, 31
	v_lshlrev_b32_e32 v29, 2, v0
	v_mov_b32_e32 v30, -1.0
	s_waitcnt lgkmcnt(0)
	s_mul_hi_u32 s3, s62, s6
	s_mul_i32 s2, s62, s2
	s_add_i32 s2, s3, s2
	s_mul_i32 s3, s63, s6
	s_add_i32 s3, s2, s3
	s_mul_i32 s2, s62, s6
	s_ashr_i32 s1, s60, 31
	s_lshl_b64 s[2:3], s[2:3], 2
	s_mov_b32 s0, s60
	s_add_u32 s2, s58, s2
	s_addc_u32 s3, s59, s3
	s_lshl_b64 s[0:1], s[0:1], 2
	s_add_u32 s0, s2, s0
	s_addc_u32 s1, s3, s1
	s_add_i32 s2, s61, s61
	v_add_u32_e32 v1, s2, v0
	v_ashrrev_i32_e32 v2, 31, v1
	v_lshlrev_b64 v[2:3], 2, v[1:2]
	v_add_u32_e32 v1, s61, v1
	v_mov_b32_e32 v4, s1
	v_add_co_u32_e32 v61, vcc, s0, v2
	v_ashrrev_i32_e32 v2, 31, v1
	v_addc_co_u32_e32 v62, vcc, v4, v3, vcc
	v_lshlrev_b64 v[2:3], 2, v[1:2]
	v_add_u32_e32 v1, s61, v1
	v_add_co_u32_e32 v63, vcc, s0, v2
	v_ashrrev_i32_e32 v2, 31, v1
	v_addc_co_u32_e32 v64, vcc, v4, v3, vcc
	v_lshlrev_b64 v[2:3], 2, v[1:2]
	v_add_u32_e32 v1, s61, v1
	;; [unrolled: 5-line block ×23, first 2 shown]
	v_add_co_u32_e32 v107, vcc, s0, v2
	v_ashrrev_i32_e32 v2, 31, v1
	v_lshlrev_b64 v[1:2], 2, v[1:2]
	v_addc_co_u32_e32 v108, vcc, v4, v3, vcc
	v_mov_b32_e32 v3, s1
	v_add_co_u32_e32 v109, vcc, s0, v1
	v_addc_co_u32_e32 v110, vcc, v3, v2, vcc
	v_mov_b32_e32 v1, s1
	v_add_co_u32_e32 v111, vcc, s0, v29
	s_ashr_i32 s3, s61, 31
	s_mov_b32 s2, s61
	v_addc_co_u32_e32 v112, vcc, 0, v1, vcc
	s_lshl_b64 s[2:3], s[2:3], 2
	v_mov_b32_e32 v1, s3
	v_add_co_u32_e32 v113, vcc, s2, v111
	v_addc_co_u32_e32 v114, vcc, v112, v1, vcc
	global_load_dword v3, v[113:114], off
	global_load_dword v4, v[61:62], off
	;; [unrolled: 1-line block ×24, first 2 shown]
	global_load_dword v2, v29, s[0:1]
	global_load_dword v27, v[107:108], off
	global_load_dword v28, v[109:110], off
	s_cmpk_lg_i32 s57, 0x84
	v_mov_b32_e32 v1, 0
	s_cselect_b64 s[58:59], -1, 0
	s_cmpk_eq_i32 s57, 0x84
	v_cmp_eq_u32_e64 s[0:1], 0, v0
	s_cbranch_scc1 .LBB26_3
; %bb.2:
	v_cmp_eq_u32_e64 s[2:3], 1, v0
	s_waitcnt vmcnt(2)
	v_cndmask_b32_e64 v30, v2, v3, s[2:3]
	v_cmp_eq_u32_e64 s[4:5], 2, v0
	v_cndmask_b32_e64 v30, v30, v4, s[4:5]
	v_cmp_eq_u32_e64 s[6:7], 3, v0
	;; [unrolled: 2-line block ×24, first 2 shown]
	s_waitcnt vmcnt(1)
	v_cndmask_b32_e64 v30, v30, v27, s[52:53]
	v_cmp_eq_u32_e64 s[54:55], 26, v0
	s_waitcnt vmcnt(0)
	v_cndmask_b32_e64 v30, v30, v28, s[54:55]
	v_div_scale_f32 v31, s[60:61], v30, v30, 1.0
	v_div_scale_f32 v32, vcc, 1.0, v30, 1.0
	v_rcp_f32_e32 v33, v31
	v_fma_f32 v34, -v31, v33, 1.0
	v_fmac_f32_e32 v33, v34, v33
	v_mul_f32_e32 v34, v32, v33
	v_fma_f32 v35, -v31, v34, v32
	v_fmac_f32_e32 v34, v35, v33
	v_fma_f32 v31, -v31, v34, v32
	v_div_fmas_f32 v31, v31, v33, v34
	v_div_fixup_f32 v30, v31, v30, 1.0
	v_cndmask_b32_e64 v28, v28, v30, s[54:55]
	v_cndmask_b32_e64 v27, v27, v30, s[52:53]
	;; [unrolled: 1-line block ×27, first 2 shown]
	v_xor_b32_e32 v30, 0x80000000, v30
.LBB26_3:
	s_cmpk_eq_i32 s56, 0x79
	v_add_u32_e32 v115, 0x70, v29
	ds_write_b32 v29, v30
	s_cbranch_scc1 .LBB26_7
; %bb.4:
	s_waitcnt vmcnt(0)
	v_mov_b32_e32 v60, v33
	v_mov_b32_e32 v59, v32
	;; [unrolled: 1-line block ×32, first 2 shown]
	v_cmp_eq_u32_e64 s[2:3], 26, v0
	ds_write_b32 v115, v27
	s_waitcnt lgkmcnt(0)
	; wave barrier
	s_and_saveexec_b64 s[0:1], s[2:3]
	s_cbranch_execz .LBB26_11
; %bb.5:
	s_and_b64 vcc, exec, s[58:59]
	s_cbranch_vccz .LBB26_8
; %bb.6:
	v_cmp_eq_u32_e32 vcc, 1, v0
	v_cndmask_b32_e32 v29, v2, v3, vcc
	v_cmp_eq_u32_e32 vcc, 2, v0
	v_cndmask_b32_e32 v29, v29, v4, vcc
	;; [unrolled: 2-line block ×22, first 2 shown]
	v_cmp_eq_u32_e32 vcc, 23, v0
	ds_read_b32 v30, v115
	v_cndmask_b32_e32 v29, v29, v25, vcc
	v_cmp_eq_u32_e32 vcc, 24, v0
	v_cndmask_b32_e32 v29, v29, v26, vcc
	v_cmp_eq_u32_e32 vcc, 25, v0
	;; [unrolled: 2-line block ×3, first 2 shown]
	v_cndmask_b32_e32 v29, v29, v28, vcc
	s_waitcnt lgkmcnt(0)
	v_mul_f32_e32 v33, v29, v30
	s_cbranch_execz .LBB26_9
	s_branch .LBB26_10
.LBB26_7:
                                        ; implicit-def: $vgpr29_vgpr30_vgpr31_vgpr32_vgpr33_vgpr34_vgpr35_vgpr36_vgpr37_vgpr38_vgpr39_vgpr40_vgpr41_vgpr42_vgpr43_vgpr44_vgpr45_vgpr46_vgpr47_vgpr48_vgpr49_vgpr50_vgpr51_vgpr52_vgpr53_vgpr54_vgpr55_vgpr56_vgpr57_vgpr58_vgpr59_vgpr60
	s_cbranch_execnz .LBB26_402
	s_branch .LBB26_665
.LBB26_8:
                                        ; implicit-def: $vgpr33
.LBB26_9:
	ds_read_b32 v33, v115
.LBB26_10:
	v_mov_b32_e32 v29, 0
	ds_read_b32 v34, v29 offset:100
	v_mov_b32_e32 v29, v2
	v_mov_b32_e32 v30, v3
	;; [unrolled: 1-line block ×4, first 2 shown]
	s_waitcnt lgkmcnt(0)
	v_mul_f32_e32 v54, v33, v34
	v_mov_b32_e32 v33, v6
	v_mov_b32_e32 v34, v7
	;; [unrolled: 1-line block ×22, first 2 shown]
.LBB26_11:
	s_or_b64 exec, exec, s[0:1]
	v_cmp_lt_u32_e64 s[0:1], 24, v0
	ds_write_b32 v115, v53
	s_waitcnt lgkmcnt(0)
	; wave barrier
	s_and_saveexec_b64 s[4:5], s[0:1]
	s_cbranch_execz .LBB26_17
; %bb.12:
	s_andn2_b64 vcc, exec, s[58:59]
	s_cbranch_vccnz .LBB26_14
; %bb.13:
	v_cmp_eq_u32_e32 vcc, 1, v0
	v_cndmask_b32_e32 v56, v29, v30, vcc
	v_cmp_eq_u32_e32 vcc, 2, v0
	v_cndmask_b32_e32 v56, v56, v31, vcc
	;; [unrolled: 2-line block ×24, first 2 shown]
	ds_read_b32 v56, v115
	v_cmp_eq_u32_e32 vcc, 25, v0
	v_cndmask_b32_e32 v53, v53, v54, vcc
	v_cmp_eq_u32_e32 vcc, 26, v0
	v_cndmask_b32_e32 v53, v53, v55, vcc
	s_waitcnt lgkmcnt(0)
	v_mul_f32_e32 v53, v53, v56
	s_cbranch_execz .LBB26_15
	s_branch .LBB26_16
.LBB26_14:
                                        ; implicit-def: $vgpr53
.LBB26_15:
	ds_read_b32 v53, v115
.LBB26_16:
	v_mov_b32_e32 v56, 0
	ds_read2_b32 v[56:57], v56 offset0:24 offset1:53
	s_waitcnt lgkmcnt(0)
	v_fma_f32 v57, v54, v57, v53
	v_cndmask_b32_e64 v53, v53, v57, s[2:3]
	v_mul_f32_e32 v53, v53, v56
.LBB26_17:
	s_or_b64 exec, exec, s[4:5]
	v_cmp_lt_u32_e64 s[2:3], 23, v0
	ds_write_b32 v115, v52
	s_waitcnt lgkmcnt(0)
	; wave barrier
	s_and_saveexec_b64 s[4:5], s[2:3]
	s_cbranch_execz .LBB26_33
; %bb.18:
	s_andn2_b64 vcc, exec, s[58:59]
	s_cbranch_vccnz .LBB26_20
; %bb.19:
	v_cmp_eq_u32_e32 vcc, 1, v0
	v_cndmask_b32_e32 v116, v29, v30, vcc
	v_cmp_eq_u32_e32 vcc, 2, v0
	v_cndmask_b32_e32 v116, v116, v31, vcc
	;; [unrolled: 2-line block ×22, first 2 shown]
	v_cmp_eq_u32_e32 vcc, 23, v0
	ds_read_b32 v117, v115
	v_cndmask_b32_e32 v116, v116, v52, vcc
	v_cmp_eq_u32_e32 vcc, 24, v0
	v_cndmask_b32_e32 v116, v116, v53, vcc
	v_cmp_eq_u32_e32 vcc, 25, v0
	;; [unrolled: 2-line block ×3, first 2 shown]
	v_cndmask_b32_e32 v116, v116, v55, vcc
	s_waitcnt lgkmcnt(0)
	v_mul_f32_e32 v116, v116, v117
	s_cbranch_execz .LBB26_21
	s_branch .LBB26_22
.LBB26_20:
                                        ; implicit-def: $vgpr116
.LBB26_21:
	ds_read_b32 v116, v115
.LBB26_22:
	s_and_saveexec_b64 s[6:7], s[0:1]
	s_cbranch_execz .LBB26_32
; %bb.23:
	v_subrev_u32_e32 v117, 25, v0
	v_cmp_lt_u32_e32 vcc, 6, v117
	v_mov_b32_e32 v117, 24
	s_and_saveexec_b64 s[0:1], vcc
	s_cbranch_execz .LBB26_27
; %bb.24:
	v_and_b32_e32 v117, 24, v0
	v_sub_u32_e32 v118, 0, v117
	s_mov_b64 s[8:9], 31
	s_movk_i32 s12, 0xd0
	s_mov_b64 s[10:11], 0
.LBB26_25:                              ; =>This Inner Loop Header: Depth=1
	s_add_i32 s13, s8, -7
	v_mov_b32_e32 v117, s12
	s_add_i32 s14, s8, -6
	s_set_gpr_idx_on s13, gpr_idx(SRC0)
	v_mov_b32_e32 v127, v29
	s_set_gpr_idx_off
	s_add_i32 s15, s8, -5
	ds_read_b128 v[119:122], v117
	ds_read_b128 v[123:126], v117 offset:16
	s_set_gpr_idx_on s14, gpr_idx(SRC0)
	v_mov_b32_e32 v117, v29
	s_set_gpr_idx_off
	s_add_i32 s16, s8, -4
	s_set_gpr_idx_on s15, gpr_idx(SRC0)
	v_mov_b32_e32 v128, v29
	s_set_gpr_idx_off
	s_add_i32 s17, s8, -3
	;; [unrolled: 4-line block ×4, first 2 shown]
	s_waitcnt lgkmcnt(1)
	v_fmac_f32_e32 v116, v127, v119
	s_set_gpr_idx_on s18, gpr_idx(SRC0)
	v_mov_b32_e32 v119, v29
	s_set_gpr_idx_off
	v_fmac_f32_e32 v116, v117, v120
	s_set_gpr_idx_on s19, gpr_idx(SRC0)
	v_mov_b32_e32 v120, v29
	s_set_gpr_idx_off
	;; [unrolled: 4-line block ×3, first 2 shown]
	v_fmac_f32_e32 v116, v129, v122
	s_add_u32 s8, s8, 8
	s_waitcnt lgkmcnt(0)
	v_fmac_f32_e32 v116, v130, v123
	v_add_u32_e32 v117, s8, v118
	v_fmac_f32_e32 v116, v119, v124
	s_addc_u32 s9, s9, 0
	s_add_i32 s12, s12, 32
	s_add_i32 s13, s8, -7
	v_cmp_eq_u32_e32 vcc, 7, v117
	v_fmac_f32_e32 v116, v120, v125
	v_mov_b32_e32 v117, s13
	s_or_b64 s[10:11], vcc, s[10:11]
	v_fmac_f32_e32 v116, v121, v126
	s_andn2_b64 exec, exec, s[10:11]
	s_cbranch_execnz .LBB26_25
; %bb.26:
	s_or_b64 exec, exec, s[10:11]
.LBB26_27:
	s_or_b64 exec, exec, s[0:1]
	v_and_b32_e32 v56, 7, v0
	v_cmp_ne_u32_e32 vcc, 0, v56
	s_and_saveexec_b64 s[8:9], vcc
	s_cbranch_execz .LBB26_31
; %bb.28:
	v_mov_b32_e32 v57, 0x70
	v_lshl_add_u32 v57, v117, 2, v57
	v_mov_b32_e32 v58, 0
	s_mov_b64 s[10:11], 0
.LBB26_29:                              ; =>This Inner Loop Header: Depth=1
	v_cmp_eq_u32_e32 vcc, 1, v117
	v_cndmask_b32_e32 v59, v29, v30, vcc
	v_add_u32_e32 v56, -1, v56
	v_cmp_eq_u32_e32 vcc, 2, v117
	v_cndmask_b32_e32 v59, v59, v31, vcc
	v_cmp_eq_u32_e32 vcc, 0, v56
	v_cmp_eq_u32_e64 s[0:1], 3, v117
	v_cndmask_b32_e64 v59, v59, v32, s[0:1]
	s_or_b64 s[10:11], vcc, s[10:11]
	v_cmp_eq_u32_e32 vcc, 4, v117
	v_cndmask_b32_e32 v59, v59, v33, vcc
	v_cmp_eq_u32_e32 vcc, 5, v117
	v_cndmask_b32_e32 v59, v59, v34, vcc
	;; [unrolled: 2-line block ×18, first 2 shown]
	v_cmp_eq_u32_e32 vcc, 22, v117
	ds_read_b32 v60, v57
	v_cndmask_b32_e32 v59, v59, v51, vcc
	v_cmp_eq_u32_e32 vcc, 23, v117
	v_cndmask_b32_e32 v59, v59, v52, vcc
	v_cmp_eq_u32_e32 vcc, 24, v117
	;; [unrolled: 2-line block ×4, first 2 shown]
	v_add_co_u32_e64 v117, s[0:1], 1, v117
	v_cndmask_b32_e32 v59, v59, v55, vcc
	v_add_u32_e32 v57, 4, v57
	v_addc_co_u32_e64 v58, s[0:1], 0, v58, s[0:1]
	s_waitcnt lgkmcnt(0)
	v_fmac_f32_e32 v116, v59, v60
	s_andn2_b64 exec, exec, s[10:11]
	s_cbranch_execnz .LBB26_29
; %bb.30:
	s_or_b64 exec, exec, s[10:11]
.LBB26_31:
	s_or_b64 exec, exec, s[8:9]
.LBB26_32:
	s_or_b64 exec, exec, s[6:7]
	v_mov_b32_e32 v52, 0
	ds_read_b32 v52, v52 offset:92
	s_waitcnt lgkmcnt(0)
	v_mul_f32_e32 v52, v116, v52
.LBB26_33:
	s_or_b64 exec, exec, s[4:5]
	v_cmp_lt_u32_e64 s[0:1], 22, v0
	ds_write_b32 v115, v51
	s_waitcnt lgkmcnt(0)
	; wave barrier
	s_and_saveexec_b64 s[4:5], s[0:1]
	s_cbranch_execz .LBB26_49
; %bb.34:
	s_andn2_b64 vcc, exec, s[58:59]
	s_cbranch_vccnz .LBB26_36
; %bb.35:
	v_cmp_eq_u32_e32 vcc, 1, v0
	v_cndmask_b32_e32 v116, v29, v30, vcc
	v_cmp_eq_u32_e32 vcc, 2, v0
	v_cndmask_b32_e32 v116, v116, v31, vcc
	;; [unrolled: 2-line block ×22, first 2 shown]
	v_cmp_eq_u32_e32 vcc, 23, v0
	ds_read_b32 v117, v115
	v_cndmask_b32_e32 v116, v116, v52, vcc
	v_cmp_eq_u32_e32 vcc, 24, v0
	v_cndmask_b32_e32 v116, v116, v53, vcc
	v_cmp_eq_u32_e32 vcc, 25, v0
	;; [unrolled: 2-line block ×3, first 2 shown]
	v_cndmask_b32_e32 v116, v116, v55, vcc
	s_waitcnt lgkmcnt(0)
	v_mul_f32_e32 v116, v116, v117
	s_cbranch_execz .LBB26_37
	s_branch .LBB26_38
.LBB26_36:
                                        ; implicit-def: $vgpr116
.LBB26_37:
	ds_read_b32 v116, v115
.LBB26_38:
	s_and_saveexec_b64 s[6:7], s[2:3]
	s_cbranch_execz .LBB26_48
; %bb.39:
	v_subrev_u32_e32 v119, 24, v0
	v_mov_b32_e32 v117, 23
	v_subrev_u32_e32 v118, 23, v0
	v_cmp_lt_u32_e32 vcc, 6, v119
	s_and_saveexec_b64 s[2:3], vcc
	s_cbranch_execz .LBB26_43
; %bb.40:
	v_and_b32_e32 v117, -8, v118
	v_sub_u32_e32 v119, 0, v117
	s_mov_b64 s[8:9], 30
	s_movk_i32 s12, 0xcc
	s_mov_b64 s[10:11], 0
.LBB26_41:                              ; =>This Inner Loop Header: Depth=1
	s_add_i32 s13, s8, -7
	v_mov_b32_e32 v117, s12
	s_add_i32 s14, s8, -6
	s_set_gpr_idx_on s13, gpr_idx(SRC0)
	v_mov_b32_e32 v126, v29
	s_set_gpr_idx_off
	ds_read2_b32 v[120:121], v117 offset1:1
	s_add_i32 s15, s8, -5
	s_set_gpr_idx_on s14, gpr_idx(SRC0)
	v_mov_b32_e32 v127, v29
	s_set_gpr_idx_off
	s_add_i32 s16, s8, -4
	s_set_gpr_idx_on s15, gpr_idx(SRC0)
	v_mov_b32_e32 v128, v29
	s_set_gpr_idx_off
	ds_read2_b32 v[122:123], v117 offset0:2 offset1:3
	s_add_i32 s17, s8, -3
	s_set_gpr_idx_on s16, gpr_idx(SRC0)
	v_mov_b32_e32 v129, v29
	s_set_gpr_idx_off
	s_add_i32 s18, s8, -2
	s_set_gpr_idx_on s17, gpr_idx(SRC0)
	v_mov_b32_e32 v130, v29
	s_set_gpr_idx_off
	ds_read2_b32 v[124:125], v117 offset0:4 offset1:5
	s_add_i32 s19, s8, -1
	s_waitcnt lgkmcnt(2)
	v_fmac_f32_e32 v116, v126, v120
	s_set_gpr_idx_on s18, gpr_idx(SRC0)
	v_mov_b32_e32 v126, v29
	s_set_gpr_idx_off
	v_fmac_f32_e32 v116, v127, v121
	s_set_gpr_idx_on s19, gpr_idx(SRC0)
	v_mov_b32_e32 v127, v29
	s_set_gpr_idx_off
	ds_read2_b32 v[120:121], v117 offset0:6 offset1:7
	s_waitcnt lgkmcnt(2)
	v_fmac_f32_e32 v116, v128, v122
	s_set_gpr_idx_on s8, gpr_idx(SRC0)
	v_mov_b32_e32 v122, v29
	s_set_gpr_idx_off
	v_fmac_f32_e32 v116, v129, v123
	s_add_u32 s8, s8, 8
	s_waitcnt lgkmcnt(1)
	v_fmac_f32_e32 v116, v130, v124
	v_add_u32_e32 v117, s8, v119
	v_fmac_f32_e32 v116, v126, v125
	s_addc_u32 s9, s9, 0
	s_add_i32 s12, s12, 32
	s_add_i32 s13, s8, -7
	v_cmp_eq_u32_e32 vcc, 30, v117
	s_waitcnt lgkmcnt(0)
	v_fmac_f32_e32 v116, v127, v120
	v_mov_b32_e32 v117, s13
	s_or_b64 s[10:11], vcc, s[10:11]
	v_fmac_f32_e32 v116, v122, v121
	s_andn2_b64 exec, exec, s[10:11]
	s_cbranch_execnz .LBB26_41
; %bb.42:
	s_or_b64 exec, exec, s[10:11]
.LBB26_43:
	s_or_b64 exec, exec, s[2:3]
	v_and_b32_e32 v56, 7, v118
	v_cmp_ne_u32_e32 vcc, 0, v56
	s_and_saveexec_b64 s[8:9], vcc
	s_cbranch_execz .LBB26_47
; %bb.44:
	v_mov_b32_e32 v57, 0x70
	v_lshl_add_u32 v57, v117, 2, v57
	v_mov_b32_e32 v58, 0
	s_mov_b64 s[10:11], 0
.LBB26_45:                              ; =>This Inner Loop Header: Depth=1
	v_cmp_eq_u32_e32 vcc, 1, v117
	v_cndmask_b32_e32 v59, v29, v30, vcc
	v_add_u32_e32 v56, -1, v56
	v_cmp_eq_u32_e32 vcc, 2, v117
	v_cndmask_b32_e32 v59, v59, v31, vcc
	v_cmp_eq_u32_e32 vcc, 0, v56
	v_cmp_eq_u32_e64 s[2:3], 3, v117
	v_cndmask_b32_e64 v59, v59, v32, s[2:3]
	s_or_b64 s[10:11], vcc, s[10:11]
	v_cmp_eq_u32_e32 vcc, 4, v117
	v_cndmask_b32_e32 v59, v59, v33, vcc
	v_cmp_eq_u32_e32 vcc, 5, v117
	v_cndmask_b32_e32 v59, v59, v34, vcc
	;; [unrolled: 2-line block ×18, first 2 shown]
	v_cmp_eq_u32_e32 vcc, 22, v117
	ds_read_b32 v60, v57
	v_cndmask_b32_e32 v59, v59, v51, vcc
	v_cmp_eq_u32_e32 vcc, 23, v117
	v_cndmask_b32_e32 v59, v59, v52, vcc
	v_cmp_eq_u32_e32 vcc, 24, v117
	;; [unrolled: 2-line block ×4, first 2 shown]
	v_add_co_u32_e64 v117, s[2:3], 1, v117
	v_cndmask_b32_e32 v59, v59, v55, vcc
	v_add_u32_e32 v57, 4, v57
	v_addc_co_u32_e64 v58, s[2:3], 0, v58, s[2:3]
	s_waitcnt lgkmcnt(0)
	v_fmac_f32_e32 v116, v59, v60
	s_andn2_b64 exec, exec, s[10:11]
	s_cbranch_execnz .LBB26_45
; %bb.46:
	s_or_b64 exec, exec, s[10:11]
.LBB26_47:
	s_or_b64 exec, exec, s[8:9]
.LBB26_48:
	s_or_b64 exec, exec, s[6:7]
	v_mov_b32_e32 v51, 0
	ds_read_b32 v51, v51 offset:88
	s_waitcnt lgkmcnt(0)
	v_mul_f32_e32 v51, v116, v51
.LBB26_49:
	s_or_b64 exec, exec, s[4:5]
	v_cmp_lt_u32_e64 s[2:3], 21, v0
	ds_write_b32 v115, v50
	s_waitcnt lgkmcnt(0)
	; wave barrier
	s_and_saveexec_b64 s[4:5], s[2:3]
	s_cbranch_execz .LBB26_65
; %bb.50:
	s_andn2_b64 vcc, exec, s[58:59]
	s_cbranch_vccnz .LBB26_52
; %bb.51:
	v_cmp_eq_u32_e32 vcc, 1, v0
	v_cndmask_b32_e32 v116, v29, v30, vcc
	v_cmp_eq_u32_e32 vcc, 2, v0
	v_cndmask_b32_e32 v116, v116, v31, vcc
	;; [unrolled: 2-line block ×22, first 2 shown]
	v_cmp_eq_u32_e32 vcc, 23, v0
	ds_read_b32 v117, v115
	v_cndmask_b32_e32 v116, v116, v52, vcc
	v_cmp_eq_u32_e32 vcc, 24, v0
	v_cndmask_b32_e32 v116, v116, v53, vcc
	v_cmp_eq_u32_e32 vcc, 25, v0
	v_cndmask_b32_e32 v116, v116, v54, vcc
	v_cmp_eq_u32_e32 vcc, 26, v0
	v_cndmask_b32_e32 v116, v116, v55, vcc
	s_waitcnt lgkmcnt(0)
	v_mul_f32_e32 v116, v116, v117
	s_cbranch_execz .LBB26_53
	s_branch .LBB26_54
.LBB26_52:
                                        ; implicit-def: $vgpr116
.LBB26_53:
	ds_read_b32 v116, v115
.LBB26_54:
	s_and_saveexec_b64 s[6:7], s[0:1]
	s_cbranch_execz .LBB26_64
; %bb.55:
	v_subrev_u32_e32 v119, 23, v0
	v_mov_b32_e32 v117, 22
	v_subrev_u32_e32 v118, 22, v0
	v_cmp_lt_u32_e32 vcc, 6, v119
	s_and_saveexec_b64 s[0:1], vcc
	s_cbranch_execz .LBB26_59
; %bb.56:
	v_and_b32_e32 v117, -8, v118
	v_sub_u32_e32 v119, 0, v117
	s_mov_b64 s[8:9], 29
	s_movk_i32 s12, 0xc8
	s_mov_b64 s[10:11], 0
.LBB26_57:                              ; =>This Inner Loop Header: Depth=1
	s_add_i32 s13, s8, -7
	v_mov_b32_e32 v117, s12
	s_add_i32 s14, s8, -6
	s_set_gpr_idx_on s13, gpr_idx(SRC0)
	v_mov_b32_e32 v128, v29
	s_set_gpr_idx_off
	ds_read2_b64 v[120:123], v117 offset1:1
	s_add_i32 s15, s8, -5
	s_set_gpr_idx_on s14, gpr_idx(SRC0)
	v_mov_b32_e32 v129, v29
	s_set_gpr_idx_off
	s_add_i32 s16, s8, -4
	s_set_gpr_idx_on s15, gpr_idx(SRC0)
	v_mov_b32_e32 v130, v29
	s_set_gpr_idx_off
	;; [unrolled: 4-line block ×4, first 2 shown]
	ds_read2_b64 v[124:127], v117 offset0:2 offset1:3
	s_add_i32 s19, s8, -1
	s_waitcnt lgkmcnt(1)
	v_fmac_f32_e32 v116, v128, v120
	s_set_gpr_idx_on s18, gpr_idx(SRC0)
	v_mov_b32_e32 v120, v29
	s_set_gpr_idx_off
	v_fmac_f32_e32 v116, v129, v121
	s_set_gpr_idx_on s19, gpr_idx(SRC0)
	v_mov_b32_e32 v121, v29
	s_set_gpr_idx_off
	;; [unrolled: 4-line block ×3, first 2 shown]
	v_fmac_f32_e32 v116, v131, v123
	s_add_u32 s8, s8, 8
	s_waitcnt lgkmcnt(0)
	v_fmac_f32_e32 v116, v132, v124
	v_add_u32_e32 v117, s8, v119
	v_fmac_f32_e32 v116, v120, v125
	s_addc_u32 s9, s9, 0
	s_add_i32 s12, s12, 32
	s_add_i32 s13, s8, -7
	v_cmp_eq_u32_e32 vcc, 29, v117
	v_fmac_f32_e32 v116, v121, v126
	v_mov_b32_e32 v117, s13
	s_or_b64 s[10:11], vcc, s[10:11]
	v_fmac_f32_e32 v116, v122, v127
	s_andn2_b64 exec, exec, s[10:11]
	s_cbranch_execnz .LBB26_57
; %bb.58:
	s_or_b64 exec, exec, s[10:11]
.LBB26_59:
	s_or_b64 exec, exec, s[0:1]
	v_and_b32_e32 v56, 7, v118
	v_cmp_ne_u32_e32 vcc, 0, v56
	s_and_saveexec_b64 s[8:9], vcc
	s_cbranch_execz .LBB26_63
; %bb.60:
	v_mov_b32_e32 v57, 0x70
	v_lshl_add_u32 v57, v117, 2, v57
	v_mov_b32_e32 v58, 0
	s_mov_b64 s[10:11], 0
.LBB26_61:                              ; =>This Inner Loop Header: Depth=1
	v_cmp_eq_u32_e32 vcc, 1, v117
	v_cndmask_b32_e32 v59, v29, v30, vcc
	v_add_u32_e32 v56, -1, v56
	v_cmp_eq_u32_e32 vcc, 2, v117
	v_cndmask_b32_e32 v59, v59, v31, vcc
	v_cmp_eq_u32_e32 vcc, 0, v56
	v_cmp_eq_u32_e64 s[0:1], 3, v117
	v_cndmask_b32_e64 v59, v59, v32, s[0:1]
	s_or_b64 s[10:11], vcc, s[10:11]
	v_cmp_eq_u32_e32 vcc, 4, v117
	v_cndmask_b32_e32 v59, v59, v33, vcc
	v_cmp_eq_u32_e32 vcc, 5, v117
	v_cndmask_b32_e32 v59, v59, v34, vcc
	;; [unrolled: 2-line block ×18, first 2 shown]
	v_cmp_eq_u32_e32 vcc, 22, v117
	ds_read_b32 v60, v57
	v_cndmask_b32_e32 v59, v59, v51, vcc
	v_cmp_eq_u32_e32 vcc, 23, v117
	v_cndmask_b32_e32 v59, v59, v52, vcc
	v_cmp_eq_u32_e32 vcc, 24, v117
	;; [unrolled: 2-line block ×4, first 2 shown]
	v_add_co_u32_e64 v117, s[0:1], 1, v117
	v_cndmask_b32_e32 v59, v59, v55, vcc
	v_add_u32_e32 v57, 4, v57
	v_addc_co_u32_e64 v58, s[0:1], 0, v58, s[0:1]
	s_waitcnt lgkmcnt(0)
	v_fmac_f32_e32 v116, v59, v60
	s_andn2_b64 exec, exec, s[10:11]
	s_cbranch_execnz .LBB26_61
; %bb.62:
	s_or_b64 exec, exec, s[10:11]
.LBB26_63:
	s_or_b64 exec, exec, s[8:9]
.LBB26_64:
	s_or_b64 exec, exec, s[6:7]
	v_mov_b32_e32 v50, 0
	ds_read_b32 v50, v50 offset:84
	s_waitcnt lgkmcnt(0)
	v_mul_f32_e32 v50, v116, v50
.LBB26_65:
	s_or_b64 exec, exec, s[4:5]
	v_cmp_lt_u32_e64 s[0:1], 20, v0
	ds_write_b32 v115, v49
	s_waitcnt lgkmcnt(0)
	; wave barrier
	s_and_saveexec_b64 s[4:5], s[0:1]
	s_cbranch_execz .LBB26_81
; %bb.66:
	s_andn2_b64 vcc, exec, s[58:59]
	s_cbranch_vccnz .LBB26_68
; %bb.67:
	v_cmp_eq_u32_e32 vcc, 1, v0
	v_cndmask_b32_e32 v116, v29, v30, vcc
	v_cmp_eq_u32_e32 vcc, 2, v0
	v_cndmask_b32_e32 v116, v116, v31, vcc
	;; [unrolled: 2-line block ×22, first 2 shown]
	v_cmp_eq_u32_e32 vcc, 23, v0
	ds_read_b32 v117, v115
	v_cndmask_b32_e32 v116, v116, v52, vcc
	v_cmp_eq_u32_e32 vcc, 24, v0
	v_cndmask_b32_e32 v116, v116, v53, vcc
	v_cmp_eq_u32_e32 vcc, 25, v0
	;; [unrolled: 2-line block ×3, first 2 shown]
	v_cndmask_b32_e32 v116, v116, v55, vcc
	s_waitcnt lgkmcnt(0)
	v_mul_f32_e32 v116, v116, v117
	s_cbranch_execz .LBB26_69
	s_branch .LBB26_70
.LBB26_68:
                                        ; implicit-def: $vgpr116
.LBB26_69:
	ds_read_b32 v116, v115
.LBB26_70:
	s_and_saveexec_b64 s[6:7], s[2:3]
	s_cbranch_execz .LBB26_80
; %bb.71:
	v_subrev_u32_e32 v119, 22, v0
	v_mov_b32_e32 v117, 21
	v_subrev_u32_e32 v118, 21, v0
	v_cmp_lt_u32_e32 vcc, 6, v119
	s_and_saveexec_b64 s[2:3], vcc
	s_cbranch_execz .LBB26_75
; %bb.72:
	v_and_b32_e32 v117, -8, v118
	v_sub_u32_e32 v119, 0, v117
	s_mov_b64 s[8:9], 28
	s_movk_i32 s12, 0xc4
	s_mov_b64 s[10:11], 0
.LBB26_73:                              ; =>This Inner Loop Header: Depth=1
	s_add_i32 s13, s8, -7
	v_mov_b32_e32 v117, s12
	s_add_i32 s14, s8, -6
	s_set_gpr_idx_on s13, gpr_idx(SRC0)
	v_mov_b32_e32 v126, v29
	s_set_gpr_idx_off
	ds_read2_b32 v[120:121], v117 offset1:1
	s_add_i32 s15, s8, -5
	s_set_gpr_idx_on s14, gpr_idx(SRC0)
	v_mov_b32_e32 v127, v29
	s_set_gpr_idx_off
	s_add_i32 s16, s8, -4
	s_set_gpr_idx_on s15, gpr_idx(SRC0)
	v_mov_b32_e32 v128, v29
	s_set_gpr_idx_off
	ds_read2_b32 v[122:123], v117 offset0:2 offset1:3
	s_add_i32 s17, s8, -3
	s_set_gpr_idx_on s16, gpr_idx(SRC0)
	v_mov_b32_e32 v129, v29
	s_set_gpr_idx_off
	s_add_i32 s18, s8, -2
	s_set_gpr_idx_on s17, gpr_idx(SRC0)
	v_mov_b32_e32 v130, v29
	s_set_gpr_idx_off
	ds_read2_b32 v[124:125], v117 offset0:4 offset1:5
	s_add_i32 s19, s8, -1
	s_waitcnt lgkmcnt(2)
	v_fmac_f32_e32 v116, v126, v120
	s_set_gpr_idx_on s18, gpr_idx(SRC0)
	v_mov_b32_e32 v126, v29
	s_set_gpr_idx_off
	v_fmac_f32_e32 v116, v127, v121
	s_set_gpr_idx_on s19, gpr_idx(SRC0)
	v_mov_b32_e32 v127, v29
	s_set_gpr_idx_off
	ds_read2_b32 v[120:121], v117 offset0:6 offset1:7
	s_waitcnt lgkmcnt(2)
	v_fmac_f32_e32 v116, v128, v122
	s_set_gpr_idx_on s8, gpr_idx(SRC0)
	v_mov_b32_e32 v122, v29
	s_set_gpr_idx_off
	v_fmac_f32_e32 v116, v129, v123
	s_add_u32 s8, s8, 8
	s_waitcnt lgkmcnt(1)
	v_fmac_f32_e32 v116, v130, v124
	v_add_u32_e32 v117, s8, v119
	v_fmac_f32_e32 v116, v126, v125
	s_addc_u32 s9, s9, 0
	s_add_i32 s12, s12, 32
	s_add_i32 s13, s8, -7
	v_cmp_eq_u32_e32 vcc, 28, v117
	s_waitcnt lgkmcnt(0)
	v_fmac_f32_e32 v116, v127, v120
	v_mov_b32_e32 v117, s13
	s_or_b64 s[10:11], vcc, s[10:11]
	v_fmac_f32_e32 v116, v122, v121
	s_andn2_b64 exec, exec, s[10:11]
	s_cbranch_execnz .LBB26_73
; %bb.74:
	s_or_b64 exec, exec, s[10:11]
.LBB26_75:
	s_or_b64 exec, exec, s[2:3]
	v_and_b32_e32 v56, 7, v118
	v_cmp_ne_u32_e32 vcc, 0, v56
	s_and_saveexec_b64 s[8:9], vcc
	s_cbranch_execz .LBB26_79
; %bb.76:
	v_mov_b32_e32 v57, 0x70
	v_lshl_add_u32 v57, v117, 2, v57
	v_mov_b32_e32 v58, 0
	s_mov_b64 s[10:11], 0
.LBB26_77:                              ; =>This Inner Loop Header: Depth=1
	v_cmp_eq_u32_e32 vcc, 1, v117
	v_cndmask_b32_e32 v59, v29, v30, vcc
	v_add_u32_e32 v56, -1, v56
	v_cmp_eq_u32_e32 vcc, 2, v117
	v_cndmask_b32_e32 v59, v59, v31, vcc
	v_cmp_eq_u32_e32 vcc, 0, v56
	v_cmp_eq_u32_e64 s[2:3], 3, v117
	v_cndmask_b32_e64 v59, v59, v32, s[2:3]
	s_or_b64 s[10:11], vcc, s[10:11]
	v_cmp_eq_u32_e32 vcc, 4, v117
	v_cndmask_b32_e32 v59, v59, v33, vcc
	v_cmp_eq_u32_e32 vcc, 5, v117
	v_cndmask_b32_e32 v59, v59, v34, vcc
	;; [unrolled: 2-line block ×18, first 2 shown]
	v_cmp_eq_u32_e32 vcc, 22, v117
	ds_read_b32 v60, v57
	v_cndmask_b32_e32 v59, v59, v51, vcc
	v_cmp_eq_u32_e32 vcc, 23, v117
	v_cndmask_b32_e32 v59, v59, v52, vcc
	v_cmp_eq_u32_e32 vcc, 24, v117
	;; [unrolled: 2-line block ×4, first 2 shown]
	v_add_co_u32_e64 v117, s[2:3], 1, v117
	v_cndmask_b32_e32 v59, v59, v55, vcc
	v_add_u32_e32 v57, 4, v57
	v_addc_co_u32_e64 v58, s[2:3], 0, v58, s[2:3]
	s_waitcnt lgkmcnt(0)
	v_fmac_f32_e32 v116, v59, v60
	s_andn2_b64 exec, exec, s[10:11]
	s_cbranch_execnz .LBB26_77
; %bb.78:
	s_or_b64 exec, exec, s[10:11]
.LBB26_79:
	s_or_b64 exec, exec, s[8:9]
.LBB26_80:
	s_or_b64 exec, exec, s[6:7]
	v_mov_b32_e32 v49, 0
	ds_read_b32 v49, v49 offset:80
	s_waitcnt lgkmcnt(0)
	v_mul_f32_e32 v49, v116, v49
.LBB26_81:
	s_or_b64 exec, exec, s[4:5]
	v_cmp_lt_u32_e64 s[2:3], 19, v0
	ds_write_b32 v115, v48
	s_waitcnt lgkmcnt(0)
	; wave barrier
	s_and_saveexec_b64 s[4:5], s[2:3]
	s_cbranch_execz .LBB26_97
; %bb.82:
	s_andn2_b64 vcc, exec, s[58:59]
	s_cbranch_vccnz .LBB26_84
; %bb.83:
	v_cmp_eq_u32_e32 vcc, 1, v0
	v_cndmask_b32_e32 v116, v29, v30, vcc
	v_cmp_eq_u32_e32 vcc, 2, v0
	v_cndmask_b32_e32 v116, v116, v31, vcc
	;; [unrolled: 2-line block ×22, first 2 shown]
	v_cmp_eq_u32_e32 vcc, 23, v0
	ds_read_b32 v117, v115
	v_cndmask_b32_e32 v116, v116, v52, vcc
	v_cmp_eq_u32_e32 vcc, 24, v0
	v_cndmask_b32_e32 v116, v116, v53, vcc
	v_cmp_eq_u32_e32 vcc, 25, v0
	;; [unrolled: 2-line block ×3, first 2 shown]
	v_cndmask_b32_e32 v116, v116, v55, vcc
	s_waitcnt lgkmcnt(0)
	v_mul_f32_e32 v116, v116, v117
	s_cbranch_execz .LBB26_85
	s_branch .LBB26_86
.LBB26_84:
                                        ; implicit-def: $vgpr116
.LBB26_85:
	ds_read_b32 v116, v115
.LBB26_86:
	s_and_saveexec_b64 s[6:7], s[0:1]
	s_cbranch_execz .LBB26_96
; %bb.87:
	v_subrev_u32_e32 v119, 21, v0
	v_mov_b32_e32 v117, 20
	v_subrev_u32_e32 v118, 20, v0
	v_cmp_lt_u32_e32 vcc, 6, v119
	s_and_saveexec_b64 s[0:1], vcc
	s_cbranch_execz .LBB26_91
; %bb.88:
	v_and_b32_e32 v117, -8, v118
	v_sub_u32_e32 v119, 0, v117
	s_mov_b64 s[8:9], 27
	s_movk_i32 s12, 0xc0
	s_mov_b64 s[10:11], 0
.LBB26_89:                              ; =>This Inner Loop Header: Depth=1
	s_add_i32 s13, s8, -7
	v_mov_b32_e32 v117, s12
	s_add_i32 s14, s8, -6
	s_set_gpr_idx_on s13, gpr_idx(SRC0)
	v_mov_b32_e32 v128, v29
	s_set_gpr_idx_off
	s_add_i32 s15, s8, -5
	ds_read_b128 v[120:123], v117
	ds_read_b128 v[124:127], v117 offset:16
	s_set_gpr_idx_on s14, gpr_idx(SRC0)
	v_mov_b32_e32 v117, v29
	s_set_gpr_idx_off
	s_add_i32 s16, s8, -4
	s_set_gpr_idx_on s15, gpr_idx(SRC0)
	v_mov_b32_e32 v129, v29
	s_set_gpr_idx_off
	s_add_i32 s17, s8, -3
	;; [unrolled: 4-line block ×4, first 2 shown]
	s_waitcnt lgkmcnt(1)
	v_fmac_f32_e32 v116, v128, v120
	s_set_gpr_idx_on s18, gpr_idx(SRC0)
	v_mov_b32_e32 v120, v29
	s_set_gpr_idx_off
	v_fmac_f32_e32 v116, v117, v121
	s_set_gpr_idx_on s19, gpr_idx(SRC0)
	v_mov_b32_e32 v121, v29
	s_set_gpr_idx_off
	;; [unrolled: 4-line block ×3, first 2 shown]
	v_fmac_f32_e32 v116, v130, v123
	s_add_u32 s8, s8, 8
	s_waitcnt lgkmcnt(0)
	v_fmac_f32_e32 v116, v131, v124
	v_add_u32_e32 v117, s8, v119
	v_fmac_f32_e32 v116, v120, v125
	s_addc_u32 s9, s9, 0
	s_add_i32 s12, s12, 32
	s_add_i32 s13, s8, -7
	v_cmp_eq_u32_e32 vcc, 27, v117
	v_fmac_f32_e32 v116, v121, v126
	v_mov_b32_e32 v117, s13
	s_or_b64 s[10:11], vcc, s[10:11]
	v_fmac_f32_e32 v116, v122, v127
	s_andn2_b64 exec, exec, s[10:11]
	s_cbranch_execnz .LBB26_89
; %bb.90:
	s_or_b64 exec, exec, s[10:11]
.LBB26_91:
	s_or_b64 exec, exec, s[0:1]
	v_and_b32_e32 v56, 7, v118
	v_cmp_ne_u32_e32 vcc, 0, v56
	s_and_saveexec_b64 s[8:9], vcc
	s_cbranch_execz .LBB26_95
; %bb.92:
	v_mov_b32_e32 v57, 0x70
	v_lshl_add_u32 v57, v117, 2, v57
	v_mov_b32_e32 v58, 0
	s_mov_b64 s[10:11], 0
.LBB26_93:                              ; =>This Inner Loop Header: Depth=1
	v_cmp_eq_u32_e32 vcc, 1, v117
	v_cndmask_b32_e32 v59, v29, v30, vcc
	v_add_u32_e32 v56, -1, v56
	v_cmp_eq_u32_e32 vcc, 2, v117
	v_cndmask_b32_e32 v59, v59, v31, vcc
	v_cmp_eq_u32_e32 vcc, 0, v56
	v_cmp_eq_u32_e64 s[0:1], 3, v117
	v_cndmask_b32_e64 v59, v59, v32, s[0:1]
	s_or_b64 s[10:11], vcc, s[10:11]
	v_cmp_eq_u32_e32 vcc, 4, v117
	v_cndmask_b32_e32 v59, v59, v33, vcc
	v_cmp_eq_u32_e32 vcc, 5, v117
	v_cndmask_b32_e32 v59, v59, v34, vcc
	;; [unrolled: 2-line block ×18, first 2 shown]
	v_cmp_eq_u32_e32 vcc, 22, v117
	ds_read_b32 v60, v57
	v_cndmask_b32_e32 v59, v59, v51, vcc
	v_cmp_eq_u32_e32 vcc, 23, v117
	v_cndmask_b32_e32 v59, v59, v52, vcc
	v_cmp_eq_u32_e32 vcc, 24, v117
	;; [unrolled: 2-line block ×4, first 2 shown]
	v_add_co_u32_e64 v117, s[0:1], 1, v117
	v_cndmask_b32_e32 v59, v59, v55, vcc
	v_add_u32_e32 v57, 4, v57
	v_addc_co_u32_e64 v58, s[0:1], 0, v58, s[0:1]
	s_waitcnt lgkmcnt(0)
	v_fmac_f32_e32 v116, v59, v60
	s_andn2_b64 exec, exec, s[10:11]
	s_cbranch_execnz .LBB26_93
; %bb.94:
	s_or_b64 exec, exec, s[10:11]
.LBB26_95:
	s_or_b64 exec, exec, s[8:9]
.LBB26_96:
	s_or_b64 exec, exec, s[6:7]
	v_mov_b32_e32 v48, 0
	ds_read_b32 v48, v48 offset:76
	s_waitcnt lgkmcnt(0)
	v_mul_f32_e32 v48, v116, v48
.LBB26_97:
	s_or_b64 exec, exec, s[4:5]
	v_cmp_lt_u32_e64 s[0:1], 18, v0
	ds_write_b32 v115, v47
	s_waitcnt lgkmcnt(0)
	; wave barrier
	s_and_saveexec_b64 s[4:5], s[0:1]
	s_cbranch_execz .LBB26_113
; %bb.98:
	s_andn2_b64 vcc, exec, s[58:59]
	s_cbranch_vccnz .LBB26_100
; %bb.99:
	v_cmp_eq_u32_e32 vcc, 1, v0
	v_cndmask_b32_e32 v116, v29, v30, vcc
	v_cmp_eq_u32_e32 vcc, 2, v0
	v_cndmask_b32_e32 v116, v116, v31, vcc
	v_cmp_eq_u32_e32 vcc, 3, v0
	v_cndmask_b32_e32 v116, v116, v32, vcc
	v_cmp_eq_u32_e32 vcc, 4, v0
	v_cndmask_b32_e32 v116, v116, v33, vcc
	v_cmp_eq_u32_e32 vcc, 5, v0
	v_cndmask_b32_e32 v116, v116, v34, vcc
	v_cmp_eq_u32_e32 vcc, 6, v0
	v_cndmask_b32_e32 v116, v116, v35, vcc
	v_cmp_eq_u32_e32 vcc, 7, v0
	v_cndmask_b32_e32 v116, v116, v36, vcc
	v_cmp_eq_u32_e32 vcc, 8, v0
	v_cndmask_b32_e32 v116, v116, v37, vcc
	v_cmp_eq_u32_e32 vcc, 9, v0
	v_cndmask_b32_e32 v116, v116, v38, vcc
	v_cmp_eq_u32_e32 vcc, 10, v0
	v_cndmask_b32_e32 v116, v116, v39, vcc
	v_cmp_eq_u32_e32 vcc, 11, v0
	v_cndmask_b32_e32 v116, v116, v40, vcc
	v_cmp_eq_u32_e32 vcc, 12, v0
	v_cndmask_b32_e32 v116, v116, v41, vcc
	v_cmp_eq_u32_e32 vcc, 13, v0
	v_cndmask_b32_e32 v116, v116, v42, vcc
	v_cmp_eq_u32_e32 vcc, 14, v0
	v_cndmask_b32_e32 v116, v116, v43, vcc
	v_cmp_eq_u32_e32 vcc, 15, v0
	v_cndmask_b32_e32 v116, v116, v44, vcc
	v_cmp_eq_u32_e32 vcc, 16, v0
	v_cndmask_b32_e32 v116, v116, v45, vcc
	v_cmp_eq_u32_e32 vcc, 17, v0
	v_cndmask_b32_e32 v116, v116, v46, vcc
	v_cmp_eq_u32_e32 vcc, 18, v0
	v_cndmask_b32_e32 v116, v116, v47, vcc
	v_cmp_eq_u32_e32 vcc, 19, v0
	v_cndmask_b32_e32 v116, v116, v48, vcc
	v_cmp_eq_u32_e32 vcc, 20, v0
	v_cndmask_b32_e32 v116, v116, v49, vcc
	v_cmp_eq_u32_e32 vcc, 21, v0
	v_cndmask_b32_e32 v116, v116, v50, vcc
	v_cmp_eq_u32_e32 vcc, 22, v0
	v_cndmask_b32_e32 v116, v116, v51, vcc
	v_cmp_eq_u32_e32 vcc, 23, v0
	ds_read_b32 v117, v115
	v_cndmask_b32_e32 v116, v116, v52, vcc
	v_cmp_eq_u32_e32 vcc, 24, v0
	v_cndmask_b32_e32 v116, v116, v53, vcc
	v_cmp_eq_u32_e32 vcc, 25, v0
	;; [unrolled: 2-line block ×3, first 2 shown]
	v_cndmask_b32_e32 v116, v116, v55, vcc
	s_waitcnt lgkmcnt(0)
	v_mul_f32_e32 v116, v116, v117
	s_cbranch_execz .LBB26_101
	s_branch .LBB26_102
.LBB26_100:
                                        ; implicit-def: $vgpr116
.LBB26_101:
	ds_read_b32 v116, v115
.LBB26_102:
	s_and_saveexec_b64 s[6:7], s[2:3]
	s_cbranch_execz .LBB26_112
; %bb.103:
	v_subrev_u32_e32 v119, 20, v0
	v_mov_b32_e32 v117, 19
	v_subrev_u32_e32 v118, 19, v0
	v_cmp_lt_u32_e32 vcc, 6, v119
	s_and_saveexec_b64 s[2:3], vcc
	s_cbranch_execz .LBB26_107
; %bb.104:
	v_and_b32_e32 v117, -8, v118
	v_sub_u32_e32 v119, 0, v117
	s_mov_b64 s[8:9], 26
	s_movk_i32 s12, 0xbc
	s_mov_b64 s[10:11], 0
.LBB26_105:                             ; =>This Inner Loop Header: Depth=1
	s_add_i32 s13, s8, -7
	v_mov_b32_e32 v117, s12
	s_add_i32 s14, s8, -6
	s_set_gpr_idx_on s13, gpr_idx(SRC0)
	v_mov_b32_e32 v126, v29
	s_set_gpr_idx_off
	ds_read2_b32 v[120:121], v117 offset1:1
	s_add_i32 s15, s8, -5
	s_set_gpr_idx_on s14, gpr_idx(SRC0)
	v_mov_b32_e32 v127, v29
	s_set_gpr_idx_off
	s_add_i32 s16, s8, -4
	s_set_gpr_idx_on s15, gpr_idx(SRC0)
	v_mov_b32_e32 v128, v29
	s_set_gpr_idx_off
	ds_read2_b32 v[122:123], v117 offset0:2 offset1:3
	s_add_i32 s17, s8, -3
	s_set_gpr_idx_on s16, gpr_idx(SRC0)
	v_mov_b32_e32 v129, v29
	s_set_gpr_idx_off
	s_add_i32 s18, s8, -2
	s_set_gpr_idx_on s17, gpr_idx(SRC0)
	v_mov_b32_e32 v130, v29
	s_set_gpr_idx_off
	ds_read2_b32 v[124:125], v117 offset0:4 offset1:5
	s_add_i32 s19, s8, -1
	s_waitcnt lgkmcnt(2)
	v_fmac_f32_e32 v116, v126, v120
	s_set_gpr_idx_on s18, gpr_idx(SRC0)
	v_mov_b32_e32 v126, v29
	s_set_gpr_idx_off
	v_fmac_f32_e32 v116, v127, v121
	s_set_gpr_idx_on s19, gpr_idx(SRC0)
	v_mov_b32_e32 v127, v29
	s_set_gpr_idx_off
	ds_read2_b32 v[120:121], v117 offset0:6 offset1:7
	s_waitcnt lgkmcnt(2)
	v_fmac_f32_e32 v116, v128, v122
	s_set_gpr_idx_on s8, gpr_idx(SRC0)
	v_mov_b32_e32 v122, v29
	s_set_gpr_idx_off
	v_fmac_f32_e32 v116, v129, v123
	s_add_u32 s8, s8, 8
	s_waitcnt lgkmcnt(1)
	v_fmac_f32_e32 v116, v130, v124
	v_add_u32_e32 v117, s8, v119
	v_fmac_f32_e32 v116, v126, v125
	s_addc_u32 s9, s9, 0
	s_add_i32 s12, s12, 32
	s_add_i32 s13, s8, -7
	v_cmp_eq_u32_e32 vcc, 26, v117
	s_waitcnt lgkmcnt(0)
	v_fmac_f32_e32 v116, v127, v120
	v_mov_b32_e32 v117, s13
	s_or_b64 s[10:11], vcc, s[10:11]
	v_fmac_f32_e32 v116, v122, v121
	s_andn2_b64 exec, exec, s[10:11]
	s_cbranch_execnz .LBB26_105
; %bb.106:
	s_or_b64 exec, exec, s[10:11]
.LBB26_107:
	s_or_b64 exec, exec, s[2:3]
	v_and_b32_e32 v56, 7, v118
	v_cmp_ne_u32_e32 vcc, 0, v56
	s_and_saveexec_b64 s[8:9], vcc
	s_cbranch_execz .LBB26_111
; %bb.108:
	v_mov_b32_e32 v57, 0x70
	v_lshl_add_u32 v57, v117, 2, v57
	v_mov_b32_e32 v58, 0
	s_mov_b64 s[10:11], 0
.LBB26_109:                             ; =>This Inner Loop Header: Depth=1
	v_cmp_eq_u32_e32 vcc, 1, v117
	v_cndmask_b32_e32 v59, v29, v30, vcc
	v_add_u32_e32 v56, -1, v56
	v_cmp_eq_u32_e32 vcc, 2, v117
	v_cndmask_b32_e32 v59, v59, v31, vcc
	v_cmp_eq_u32_e32 vcc, 0, v56
	v_cmp_eq_u32_e64 s[2:3], 3, v117
	v_cndmask_b32_e64 v59, v59, v32, s[2:3]
	s_or_b64 s[10:11], vcc, s[10:11]
	v_cmp_eq_u32_e32 vcc, 4, v117
	v_cndmask_b32_e32 v59, v59, v33, vcc
	v_cmp_eq_u32_e32 vcc, 5, v117
	v_cndmask_b32_e32 v59, v59, v34, vcc
	;; [unrolled: 2-line block ×18, first 2 shown]
	v_cmp_eq_u32_e32 vcc, 22, v117
	ds_read_b32 v60, v57
	v_cndmask_b32_e32 v59, v59, v51, vcc
	v_cmp_eq_u32_e32 vcc, 23, v117
	v_cndmask_b32_e32 v59, v59, v52, vcc
	v_cmp_eq_u32_e32 vcc, 24, v117
	;; [unrolled: 2-line block ×4, first 2 shown]
	v_add_co_u32_e64 v117, s[2:3], 1, v117
	v_cndmask_b32_e32 v59, v59, v55, vcc
	v_add_u32_e32 v57, 4, v57
	v_addc_co_u32_e64 v58, s[2:3], 0, v58, s[2:3]
	s_waitcnt lgkmcnt(0)
	v_fmac_f32_e32 v116, v59, v60
	s_andn2_b64 exec, exec, s[10:11]
	s_cbranch_execnz .LBB26_109
; %bb.110:
	s_or_b64 exec, exec, s[10:11]
.LBB26_111:
	s_or_b64 exec, exec, s[8:9]
.LBB26_112:
	s_or_b64 exec, exec, s[6:7]
	v_mov_b32_e32 v47, 0
	ds_read_b32 v47, v47 offset:72
	s_waitcnt lgkmcnt(0)
	v_mul_f32_e32 v47, v116, v47
.LBB26_113:
	s_or_b64 exec, exec, s[4:5]
	v_cmp_lt_u32_e64 s[2:3], 17, v0
	ds_write_b32 v115, v46
	s_waitcnt lgkmcnt(0)
	; wave barrier
	s_and_saveexec_b64 s[4:5], s[2:3]
	s_cbranch_execz .LBB26_129
; %bb.114:
	s_andn2_b64 vcc, exec, s[58:59]
	s_cbranch_vccnz .LBB26_116
; %bb.115:
	v_cmp_eq_u32_e32 vcc, 1, v0
	v_cndmask_b32_e32 v116, v29, v30, vcc
	v_cmp_eq_u32_e32 vcc, 2, v0
	v_cndmask_b32_e32 v116, v116, v31, vcc
	;; [unrolled: 2-line block ×22, first 2 shown]
	v_cmp_eq_u32_e32 vcc, 23, v0
	ds_read_b32 v117, v115
	v_cndmask_b32_e32 v116, v116, v52, vcc
	v_cmp_eq_u32_e32 vcc, 24, v0
	v_cndmask_b32_e32 v116, v116, v53, vcc
	v_cmp_eq_u32_e32 vcc, 25, v0
	;; [unrolled: 2-line block ×3, first 2 shown]
	v_cndmask_b32_e32 v116, v116, v55, vcc
	s_waitcnt lgkmcnt(0)
	v_mul_f32_e32 v116, v116, v117
	s_cbranch_execz .LBB26_117
	s_branch .LBB26_118
.LBB26_116:
                                        ; implicit-def: $vgpr116
.LBB26_117:
	ds_read_b32 v116, v115
.LBB26_118:
	s_and_saveexec_b64 s[6:7], s[0:1]
	s_cbranch_execz .LBB26_128
; %bb.119:
	v_subrev_u32_e32 v119, 19, v0
	v_mov_b32_e32 v117, 18
	v_subrev_u32_e32 v118, 18, v0
	v_cmp_lt_u32_e32 vcc, 6, v119
	s_and_saveexec_b64 s[0:1], vcc
	s_cbranch_execz .LBB26_123
; %bb.120:
	v_and_b32_e32 v117, -8, v118
	v_sub_u32_e32 v119, 0, v117
	s_mov_b64 s[8:9], 25
	s_movk_i32 s12, 0xb8
	s_mov_b64 s[10:11], 0
.LBB26_121:                             ; =>This Inner Loop Header: Depth=1
	s_add_i32 s13, s8, -7
	v_mov_b32_e32 v117, s12
	s_add_i32 s14, s8, -6
	s_set_gpr_idx_on s13, gpr_idx(SRC0)
	v_mov_b32_e32 v128, v29
	s_set_gpr_idx_off
	ds_read2_b64 v[120:123], v117 offset1:1
	s_add_i32 s15, s8, -5
	s_set_gpr_idx_on s14, gpr_idx(SRC0)
	v_mov_b32_e32 v129, v29
	s_set_gpr_idx_off
	s_add_i32 s16, s8, -4
	s_set_gpr_idx_on s15, gpr_idx(SRC0)
	v_mov_b32_e32 v130, v29
	s_set_gpr_idx_off
	;; [unrolled: 4-line block ×4, first 2 shown]
	ds_read2_b64 v[124:127], v117 offset0:2 offset1:3
	s_add_i32 s19, s8, -1
	s_waitcnt lgkmcnt(1)
	v_fmac_f32_e32 v116, v128, v120
	s_set_gpr_idx_on s18, gpr_idx(SRC0)
	v_mov_b32_e32 v120, v29
	s_set_gpr_idx_off
	v_fmac_f32_e32 v116, v129, v121
	s_set_gpr_idx_on s19, gpr_idx(SRC0)
	v_mov_b32_e32 v121, v29
	s_set_gpr_idx_off
	;; [unrolled: 4-line block ×3, first 2 shown]
	v_fmac_f32_e32 v116, v131, v123
	s_add_u32 s8, s8, 8
	s_waitcnt lgkmcnt(0)
	v_fmac_f32_e32 v116, v132, v124
	v_add_u32_e32 v117, s8, v119
	v_fmac_f32_e32 v116, v120, v125
	s_addc_u32 s9, s9, 0
	s_add_i32 s12, s12, 32
	s_add_i32 s13, s8, -7
	v_cmp_eq_u32_e32 vcc, 25, v117
	v_fmac_f32_e32 v116, v121, v126
	v_mov_b32_e32 v117, s13
	s_or_b64 s[10:11], vcc, s[10:11]
	v_fmac_f32_e32 v116, v122, v127
	s_andn2_b64 exec, exec, s[10:11]
	s_cbranch_execnz .LBB26_121
; %bb.122:
	s_or_b64 exec, exec, s[10:11]
.LBB26_123:
	s_or_b64 exec, exec, s[0:1]
	v_and_b32_e32 v56, 7, v118
	v_cmp_ne_u32_e32 vcc, 0, v56
	s_and_saveexec_b64 s[8:9], vcc
	s_cbranch_execz .LBB26_127
; %bb.124:
	v_mov_b32_e32 v57, 0x70
	v_lshl_add_u32 v57, v117, 2, v57
	v_mov_b32_e32 v58, 0
	s_mov_b64 s[10:11], 0
.LBB26_125:                             ; =>This Inner Loop Header: Depth=1
	v_cmp_eq_u32_e32 vcc, 1, v117
	v_cndmask_b32_e32 v59, v29, v30, vcc
	v_add_u32_e32 v56, -1, v56
	v_cmp_eq_u32_e32 vcc, 2, v117
	v_cndmask_b32_e32 v59, v59, v31, vcc
	v_cmp_eq_u32_e32 vcc, 0, v56
	v_cmp_eq_u32_e64 s[0:1], 3, v117
	v_cndmask_b32_e64 v59, v59, v32, s[0:1]
	s_or_b64 s[10:11], vcc, s[10:11]
	v_cmp_eq_u32_e32 vcc, 4, v117
	v_cndmask_b32_e32 v59, v59, v33, vcc
	v_cmp_eq_u32_e32 vcc, 5, v117
	v_cndmask_b32_e32 v59, v59, v34, vcc
	;; [unrolled: 2-line block ×18, first 2 shown]
	v_cmp_eq_u32_e32 vcc, 22, v117
	ds_read_b32 v60, v57
	v_cndmask_b32_e32 v59, v59, v51, vcc
	v_cmp_eq_u32_e32 vcc, 23, v117
	v_cndmask_b32_e32 v59, v59, v52, vcc
	v_cmp_eq_u32_e32 vcc, 24, v117
	;; [unrolled: 2-line block ×4, first 2 shown]
	v_add_co_u32_e64 v117, s[0:1], 1, v117
	v_cndmask_b32_e32 v59, v59, v55, vcc
	v_add_u32_e32 v57, 4, v57
	v_addc_co_u32_e64 v58, s[0:1], 0, v58, s[0:1]
	s_waitcnt lgkmcnt(0)
	v_fmac_f32_e32 v116, v59, v60
	s_andn2_b64 exec, exec, s[10:11]
	s_cbranch_execnz .LBB26_125
; %bb.126:
	s_or_b64 exec, exec, s[10:11]
.LBB26_127:
	s_or_b64 exec, exec, s[8:9]
.LBB26_128:
	s_or_b64 exec, exec, s[6:7]
	v_mov_b32_e32 v46, 0
	ds_read_b32 v46, v46 offset:68
	s_waitcnt lgkmcnt(0)
	v_mul_f32_e32 v46, v116, v46
.LBB26_129:
	s_or_b64 exec, exec, s[4:5]
	v_cmp_lt_u32_e64 s[0:1], 16, v0
	ds_write_b32 v115, v45
	s_waitcnt lgkmcnt(0)
	; wave barrier
	s_and_saveexec_b64 s[4:5], s[0:1]
	s_cbranch_execz .LBB26_145
; %bb.130:
	s_andn2_b64 vcc, exec, s[58:59]
	s_cbranch_vccnz .LBB26_132
; %bb.131:
	v_cmp_eq_u32_e32 vcc, 1, v0
	v_cndmask_b32_e32 v116, v29, v30, vcc
	v_cmp_eq_u32_e32 vcc, 2, v0
	v_cndmask_b32_e32 v116, v116, v31, vcc
	;; [unrolled: 2-line block ×22, first 2 shown]
	v_cmp_eq_u32_e32 vcc, 23, v0
	ds_read_b32 v117, v115
	v_cndmask_b32_e32 v116, v116, v52, vcc
	v_cmp_eq_u32_e32 vcc, 24, v0
	v_cndmask_b32_e32 v116, v116, v53, vcc
	v_cmp_eq_u32_e32 vcc, 25, v0
	v_cndmask_b32_e32 v116, v116, v54, vcc
	v_cmp_eq_u32_e32 vcc, 26, v0
	v_cndmask_b32_e32 v116, v116, v55, vcc
	s_waitcnt lgkmcnt(0)
	v_mul_f32_e32 v116, v116, v117
	s_cbranch_execz .LBB26_133
	s_branch .LBB26_134
.LBB26_132:
                                        ; implicit-def: $vgpr116
.LBB26_133:
	ds_read_b32 v116, v115
.LBB26_134:
	s_and_saveexec_b64 s[6:7], s[2:3]
	s_cbranch_execz .LBB26_144
; %bb.135:
	v_subrev_u32_e32 v119, 18, v0
	v_mov_b32_e32 v117, 17
	v_subrev_u32_e32 v118, 17, v0
	v_cmp_lt_u32_e32 vcc, 6, v119
	s_and_saveexec_b64 s[2:3], vcc
	s_cbranch_execz .LBB26_139
; %bb.136:
	v_and_b32_e32 v117, -8, v118
	v_sub_u32_e32 v119, 0, v117
	s_mov_b64 s[8:9], 24
	s_movk_i32 s12, 0xb4
	s_mov_b64 s[10:11], 0
.LBB26_137:                             ; =>This Inner Loop Header: Depth=1
	s_add_i32 s13, s8, -7
	v_mov_b32_e32 v117, s12
	s_add_i32 s14, s8, -6
	s_set_gpr_idx_on s13, gpr_idx(SRC0)
	v_mov_b32_e32 v126, v29
	s_set_gpr_idx_off
	ds_read2_b32 v[120:121], v117 offset1:1
	s_add_i32 s15, s8, -5
	s_set_gpr_idx_on s14, gpr_idx(SRC0)
	v_mov_b32_e32 v127, v29
	s_set_gpr_idx_off
	s_add_i32 s16, s8, -4
	s_set_gpr_idx_on s15, gpr_idx(SRC0)
	v_mov_b32_e32 v128, v29
	s_set_gpr_idx_off
	ds_read2_b32 v[122:123], v117 offset0:2 offset1:3
	s_add_i32 s17, s8, -3
	s_set_gpr_idx_on s16, gpr_idx(SRC0)
	v_mov_b32_e32 v129, v29
	s_set_gpr_idx_off
	s_add_i32 s18, s8, -2
	s_set_gpr_idx_on s17, gpr_idx(SRC0)
	v_mov_b32_e32 v130, v29
	s_set_gpr_idx_off
	ds_read2_b32 v[124:125], v117 offset0:4 offset1:5
	s_add_i32 s19, s8, -1
	s_waitcnt lgkmcnt(2)
	v_fmac_f32_e32 v116, v126, v120
	s_set_gpr_idx_on s18, gpr_idx(SRC0)
	v_mov_b32_e32 v126, v29
	s_set_gpr_idx_off
	v_fmac_f32_e32 v116, v127, v121
	s_set_gpr_idx_on s19, gpr_idx(SRC0)
	v_mov_b32_e32 v127, v29
	s_set_gpr_idx_off
	ds_read2_b32 v[120:121], v117 offset0:6 offset1:7
	s_waitcnt lgkmcnt(2)
	v_fmac_f32_e32 v116, v128, v122
	s_set_gpr_idx_on s8, gpr_idx(SRC0)
	v_mov_b32_e32 v122, v29
	s_set_gpr_idx_off
	v_fmac_f32_e32 v116, v129, v123
	s_add_u32 s8, s8, 8
	s_waitcnt lgkmcnt(1)
	v_fmac_f32_e32 v116, v130, v124
	v_add_u32_e32 v117, s8, v119
	v_fmac_f32_e32 v116, v126, v125
	s_addc_u32 s9, s9, 0
	s_add_i32 s12, s12, 32
	s_add_i32 s13, s8, -7
	v_cmp_eq_u32_e32 vcc, 24, v117
	s_waitcnt lgkmcnt(0)
	v_fmac_f32_e32 v116, v127, v120
	v_mov_b32_e32 v117, s13
	s_or_b64 s[10:11], vcc, s[10:11]
	v_fmac_f32_e32 v116, v122, v121
	s_andn2_b64 exec, exec, s[10:11]
	s_cbranch_execnz .LBB26_137
; %bb.138:
	s_or_b64 exec, exec, s[10:11]
.LBB26_139:
	s_or_b64 exec, exec, s[2:3]
	v_and_b32_e32 v56, 7, v118
	v_cmp_ne_u32_e32 vcc, 0, v56
	s_and_saveexec_b64 s[8:9], vcc
	s_cbranch_execz .LBB26_143
; %bb.140:
	v_mov_b32_e32 v57, 0x70
	v_lshl_add_u32 v57, v117, 2, v57
	v_mov_b32_e32 v58, 0
	s_mov_b64 s[10:11], 0
.LBB26_141:                             ; =>This Inner Loop Header: Depth=1
	v_cmp_eq_u32_e32 vcc, 1, v117
	v_cndmask_b32_e32 v59, v29, v30, vcc
	v_add_u32_e32 v56, -1, v56
	v_cmp_eq_u32_e32 vcc, 2, v117
	v_cndmask_b32_e32 v59, v59, v31, vcc
	v_cmp_eq_u32_e32 vcc, 0, v56
	v_cmp_eq_u32_e64 s[2:3], 3, v117
	v_cndmask_b32_e64 v59, v59, v32, s[2:3]
	s_or_b64 s[10:11], vcc, s[10:11]
	v_cmp_eq_u32_e32 vcc, 4, v117
	v_cndmask_b32_e32 v59, v59, v33, vcc
	v_cmp_eq_u32_e32 vcc, 5, v117
	v_cndmask_b32_e32 v59, v59, v34, vcc
	;; [unrolled: 2-line block ×18, first 2 shown]
	v_cmp_eq_u32_e32 vcc, 22, v117
	ds_read_b32 v60, v57
	v_cndmask_b32_e32 v59, v59, v51, vcc
	v_cmp_eq_u32_e32 vcc, 23, v117
	v_cndmask_b32_e32 v59, v59, v52, vcc
	v_cmp_eq_u32_e32 vcc, 24, v117
	;; [unrolled: 2-line block ×4, first 2 shown]
	v_add_co_u32_e64 v117, s[2:3], 1, v117
	v_cndmask_b32_e32 v59, v59, v55, vcc
	v_add_u32_e32 v57, 4, v57
	v_addc_co_u32_e64 v58, s[2:3], 0, v58, s[2:3]
	s_waitcnt lgkmcnt(0)
	v_fmac_f32_e32 v116, v59, v60
	s_andn2_b64 exec, exec, s[10:11]
	s_cbranch_execnz .LBB26_141
; %bb.142:
	s_or_b64 exec, exec, s[10:11]
.LBB26_143:
	s_or_b64 exec, exec, s[8:9]
.LBB26_144:
	s_or_b64 exec, exec, s[6:7]
	v_mov_b32_e32 v45, 0
	ds_read_b32 v45, v45 offset:64
	s_waitcnt lgkmcnt(0)
	v_mul_f32_e32 v45, v116, v45
.LBB26_145:
	s_or_b64 exec, exec, s[4:5]
	v_cmp_lt_u32_e64 s[2:3], 15, v0
	ds_write_b32 v115, v44
	s_waitcnt lgkmcnt(0)
	; wave barrier
	s_and_saveexec_b64 s[4:5], s[2:3]
	s_cbranch_execz .LBB26_161
; %bb.146:
	s_andn2_b64 vcc, exec, s[58:59]
	s_cbranch_vccnz .LBB26_148
; %bb.147:
	v_cmp_eq_u32_e32 vcc, 1, v0
	v_cndmask_b32_e32 v116, v29, v30, vcc
	v_cmp_eq_u32_e32 vcc, 2, v0
	v_cndmask_b32_e32 v116, v116, v31, vcc
	;; [unrolled: 2-line block ×22, first 2 shown]
	v_cmp_eq_u32_e32 vcc, 23, v0
	ds_read_b32 v117, v115
	v_cndmask_b32_e32 v116, v116, v52, vcc
	v_cmp_eq_u32_e32 vcc, 24, v0
	v_cndmask_b32_e32 v116, v116, v53, vcc
	v_cmp_eq_u32_e32 vcc, 25, v0
	;; [unrolled: 2-line block ×3, first 2 shown]
	v_cndmask_b32_e32 v116, v116, v55, vcc
	s_waitcnt lgkmcnt(0)
	v_mul_f32_e32 v116, v116, v117
	s_cbranch_execz .LBB26_149
	s_branch .LBB26_150
.LBB26_148:
                                        ; implicit-def: $vgpr116
.LBB26_149:
	ds_read_b32 v116, v115
.LBB26_150:
	s_and_saveexec_b64 s[6:7], s[0:1]
	s_cbranch_execz .LBB26_160
; %bb.151:
	v_subrev_u32_e32 v117, 17, v0
	v_cmp_lt_u32_e32 vcc, 6, v117
	v_mov_b32_e32 v117, 16
	s_and_saveexec_b64 s[0:1], vcc
	s_cbranch_execz .LBB26_155
; %bb.152:
	v_and_b32_e32 v117, 24, v0
	v_sub_u32_e32 v118, 0, v117
	s_mov_b64 s[8:9], 23
	s_movk_i32 s12, 0xb0
	s_mov_b64 s[10:11], 0
.LBB26_153:                             ; =>This Inner Loop Header: Depth=1
	s_add_i32 s13, s8, -7
	v_mov_b32_e32 v117, s12
	s_add_i32 s14, s8, -6
	s_set_gpr_idx_on s13, gpr_idx(SRC0)
	v_mov_b32_e32 v127, v29
	s_set_gpr_idx_off
	s_add_i32 s15, s8, -5
	ds_read_b128 v[119:122], v117
	ds_read_b128 v[123:126], v117 offset:16
	s_set_gpr_idx_on s14, gpr_idx(SRC0)
	v_mov_b32_e32 v117, v29
	s_set_gpr_idx_off
	s_add_i32 s16, s8, -4
	s_set_gpr_idx_on s15, gpr_idx(SRC0)
	v_mov_b32_e32 v128, v29
	s_set_gpr_idx_off
	s_add_i32 s17, s8, -3
	s_set_gpr_idx_on s16, gpr_idx(SRC0)
	v_mov_b32_e32 v129, v29
	s_set_gpr_idx_off
	s_add_i32 s18, s8, -2
	s_set_gpr_idx_on s17, gpr_idx(SRC0)
	v_mov_b32_e32 v130, v29
	s_set_gpr_idx_off
	s_add_i32 s19, s8, -1
	s_waitcnt lgkmcnt(1)
	v_fmac_f32_e32 v116, v127, v119
	s_set_gpr_idx_on s18, gpr_idx(SRC0)
	v_mov_b32_e32 v119, v29
	s_set_gpr_idx_off
	v_fmac_f32_e32 v116, v117, v120
	s_set_gpr_idx_on s19, gpr_idx(SRC0)
	v_mov_b32_e32 v120, v29
	s_set_gpr_idx_off
	;; [unrolled: 4-line block ×3, first 2 shown]
	v_fmac_f32_e32 v116, v129, v122
	s_add_u32 s8, s8, 8
	s_waitcnt lgkmcnt(0)
	v_fmac_f32_e32 v116, v130, v123
	v_add_u32_e32 v117, s8, v118
	v_fmac_f32_e32 v116, v119, v124
	s_addc_u32 s9, s9, 0
	s_add_i32 s12, s12, 32
	s_add_i32 s13, s8, -7
	v_cmp_eq_u32_e32 vcc, 7, v117
	v_fmac_f32_e32 v116, v120, v125
	v_mov_b32_e32 v117, s13
	s_or_b64 s[10:11], vcc, s[10:11]
	v_fmac_f32_e32 v116, v121, v126
	s_andn2_b64 exec, exec, s[10:11]
	s_cbranch_execnz .LBB26_153
; %bb.154:
	s_or_b64 exec, exec, s[10:11]
.LBB26_155:
	s_or_b64 exec, exec, s[0:1]
	v_and_b32_e32 v56, 7, v0
	v_cmp_ne_u32_e32 vcc, 0, v56
	s_and_saveexec_b64 s[8:9], vcc
	s_cbranch_execz .LBB26_159
; %bb.156:
	v_mov_b32_e32 v57, 0x70
	v_lshl_add_u32 v57, v117, 2, v57
	v_mov_b32_e32 v58, 0
	s_mov_b64 s[10:11], 0
.LBB26_157:                             ; =>This Inner Loop Header: Depth=1
	v_cmp_eq_u32_e32 vcc, 1, v117
	v_cndmask_b32_e32 v59, v29, v30, vcc
	v_add_u32_e32 v56, -1, v56
	v_cmp_eq_u32_e32 vcc, 2, v117
	v_cndmask_b32_e32 v59, v59, v31, vcc
	v_cmp_eq_u32_e32 vcc, 0, v56
	v_cmp_eq_u32_e64 s[0:1], 3, v117
	v_cndmask_b32_e64 v59, v59, v32, s[0:1]
	s_or_b64 s[10:11], vcc, s[10:11]
	v_cmp_eq_u32_e32 vcc, 4, v117
	v_cndmask_b32_e32 v59, v59, v33, vcc
	v_cmp_eq_u32_e32 vcc, 5, v117
	v_cndmask_b32_e32 v59, v59, v34, vcc
	;; [unrolled: 2-line block ×18, first 2 shown]
	v_cmp_eq_u32_e32 vcc, 22, v117
	ds_read_b32 v60, v57
	v_cndmask_b32_e32 v59, v59, v51, vcc
	v_cmp_eq_u32_e32 vcc, 23, v117
	v_cndmask_b32_e32 v59, v59, v52, vcc
	v_cmp_eq_u32_e32 vcc, 24, v117
	;; [unrolled: 2-line block ×4, first 2 shown]
	v_add_co_u32_e64 v117, s[0:1], 1, v117
	v_cndmask_b32_e32 v59, v59, v55, vcc
	v_add_u32_e32 v57, 4, v57
	v_addc_co_u32_e64 v58, s[0:1], 0, v58, s[0:1]
	s_waitcnt lgkmcnt(0)
	v_fmac_f32_e32 v116, v59, v60
	s_andn2_b64 exec, exec, s[10:11]
	s_cbranch_execnz .LBB26_157
; %bb.158:
	s_or_b64 exec, exec, s[10:11]
.LBB26_159:
	s_or_b64 exec, exec, s[8:9]
.LBB26_160:
	s_or_b64 exec, exec, s[6:7]
	v_mov_b32_e32 v44, 0
	ds_read_b32 v44, v44 offset:60
	s_waitcnt lgkmcnt(0)
	v_mul_f32_e32 v44, v116, v44
.LBB26_161:
	s_or_b64 exec, exec, s[4:5]
	v_cmp_lt_u32_e64 s[0:1], 14, v0
	ds_write_b32 v115, v43
	s_waitcnt lgkmcnt(0)
	; wave barrier
	s_and_saveexec_b64 s[4:5], s[0:1]
	s_cbranch_execz .LBB26_177
; %bb.162:
	s_andn2_b64 vcc, exec, s[58:59]
	s_cbranch_vccnz .LBB26_164
; %bb.163:
	v_cmp_eq_u32_e32 vcc, 1, v0
	v_cndmask_b32_e32 v116, v29, v30, vcc
	v_cmp_eq_u32_e32 vcc, 2, v0
	v_cndmask_b32_e32 v116, v116, v31, vcc
	;; [unrolled: 2-line block ×22, first 2 shown]
	v_cmp_eq_u32_e32 vcc, 23, v0
	ds_read_b32 v117, v115
	v_cndmask_b32_e32 v116, v116, v52, vcc
	v_cmp_eq_u32_e32 vcc, 24, v0
	v_cndmask_b32_e32 v116, v116, v53, vcc
	v_cmp_eq_u32_e32 vcc, 25, v0
	;; [unrolled: 2-line block ×3, first 2 shown]
	v_cndmask_b32_e32 v116, v116, v55, vcc
	s_waitcnt lgkmcnt(0)
	v_mul_f32_e32 v116, v116, v117
	s_cbranch_execz .LBB26_165
	s_branch .LBB26_166
.LBB26_164:
                                        ; implicit-def: $vgpr116
.LBB26_165:
	ds_read_b32 v116, v115
.LBB26_166:
	s_and_saveexec_b64 s[6:7], s[2:3]
	s_cbranch_execz .LBB26_176
; %bb.167:
	v_add_u32_e32 v117, -16, v0
	v_add_u32_e32 v118, -15, v0
	v_cmp_lt_u32_e32 vcc, 6, v117
	v_mov_b32_e32 v117, 15
	s_and_saveexec_b64 s[2:3], vcc
	s_cbranch_execz .LBB26_171
; %bb.168:
	v_and_b32_e32 v117, -8, v118
	v_sub_u32_e32 v119, 0, v117
	s_mov_b64 s[8:9], 22
	s_movk_i32 s12, 0xac
	s_mov_b64 s[10:11], 0
.LBB26_169:                             ; =>This Inner Loop Header: Depth=1
	s_add_i32 s13, s8, -7
	v_mov_b32_e32 v117, s12
	s_add_i32 s14, s8, -6
	s_set_gpr_idx_on s13, gpr_idx(SRC0)
	v_mov_b32_e32 v126, v29
	s_set_gpr_idx_off
	ds_read2_b32 v[120:121], v117 offset1:1
	s_add_i32 s15, s8, -5
	s_set_gpr_idx_on s14, gpr_idx(SRC0)
	v_mov_b32_e32 v127, v29
	s_set_gpr_idx_off
	s_add_i32 s16, s8, -4
	s_set_gpr_idx_on s15, gpr_idx(SRC0)
	v_mov_b32_e32 v128, v29
	s_set_gpr_idx_off
	ds_read2_b32 v[122:123], v117 offset0:2 offset1:3
	s_add_i32 s17, s8, -3
	s_set_gpr_idx_on s16, gpr_idx(SRC0)
	v_mov_b32_e32 v129, v29
	s_set_gpr_idx_off
	s_add_i32 s18, s8, -2
	s_set_gpr_idx_on s17, gpr_idx(SRC0)
	v_mov_b32_e32 v130, v29
	s_set_gpr_idx_off
	ds_read2_b32 v[124:125], v117 offset0:4 offset1:5
	s_add_i32 s19, s8, -1
	s_waitcnt lgkmcnt(2)
	v_fmac_f32_e32 v116, v126, v120
	s_set_gpr_idx_on s18, gpr_idx(SRC0)
	v_mov_b32_e32 v126, v29
	s_set_gpr_idx_off
	v_fmac_f32_e32 v116, v127, v121
	s_set_gpr_idx_on s19, gpr_idx(SRC0)
	v_mov_b32_e32 v127, v29
	s_set_gpr_idx_off
	ds_read2_b32 v[120:121], v117 offset0:6 offset1:7
	s_waitcnt lgkmcnt(2)
	v_fmac_f32_e32 v116, v128, v122
	s_set_gpr_idx_on s8, gpr_idx(SRC0)
	v_mov_b32_e32 v122, v29
	s_set_gpr_idx_off
	v_fmac_f32_e32 v116, v129, v123
	s_add_u32 s8, s8, 8
	s_waitcnt lgkmcnt(1)
	v_fmac_f32_e32 v116, v130, v124
	v_add_u32_e32 v117, s8, v119
	v_fmac_f32_e32 v116, v126, v125
	s_addc_u32 s9, s9, 0
	s_add_i32 s12, s12, 32
	s_add_i32 s13, s8, -7
	v_cmp_eq_u32_e32 vcc, 22, v117
	s_waitcnt lgkmcnt(0)
	v_fmac_f32_e32 v116, v127, v120
	v_mov_b32_e32 v117, s13
	s_or_b64 s[10:11], vcc, s[10:11]
	v_fmac_f32_e32 v116, v122, v121
	s_andn2_b64 exec, exec, s[10:11]
	s_cbranch_execnz .LBB26_169
; %bb.170:
	s_or_b64 exec, exec, s[10:11]
.LBB26_171:
	s_or_b64 exec, exec, s[2:3]
	v_and_b32_e32 v56, 7, v118
	v_cmp_ne_u32_e32 vcc, 0, v56
	s_and_saveexec_b64 s[8:9], vcc
	s_cbranch_execz .LBB26_175
; %bb.172:
	v_mov_b32_e32 v57, 0x70
	v_lshl_add_u32 v57, v117, 2, v57
	v_mov_b32_e32 v58, 0
	s_mov_b64 s[10:11], 0
.LBB26_173:                             ; =>This Inner Loop Header: Depth=1
	v_cmp_eq_u32_e32 vcc, 1, v117
	v_cndmask_b32_e32 v59, v29, v30, vcc
	v_add_u32_e32 v56, -1, v56
	v_cmp_eq_u32_e32 vcc, 2, v117
	v_cndmask_b32_e32 v59, v59, v31, vcc
	v_cmp_eq_u32_e32 vcc, 0, v56
	v_cmp_eq_u32_e64 s[2:3], 3, v117
	v_cndmask_b32_e64 v59, v59, v32, s[2:3]
	s_or_b64 s[10:11], vcc, s[10:11]
	v_cmp_eq_u32_e32 vcc, 4, v117
	v_cndmask_b32_e32 v59, v59, v33, vcc
	v_cmp_eq_u32_e32 vcc, 5, v117
	v_cndmask_b32_e32 v59, v59, v34, vcc
	;; [unrolled: 2-line block ×18, first 2 shown]
	v_cmp_eq_u32_e32 vcc, 22, v117
	ds_read_b32 v60, v57
	v_cndmask_b32_e32 v59, v59, v51, vcc
	v_cmp_eq_u32_e32 vcc, 23, v117
	v_cndmask_b32_e32 v59, v59, v52, vcc
	v_cmp_eq_u32_e32 vcc, 24, v117
	;; [unrolled: 2-line block ×4, first 2 shown]
	v_add_co_u32_e64 v117, s[2:3], 1, v117
	v_cndmask_b32_e32 v59, v59, v55, vcc
	v_add_u32_e32 v57, 4, v57
	v_addc_co_u32_e64 v58, s[2:3], 0, v58, s[2:3]
	s_waitcnt lgkmcnt(0)
	v_fmac_f32_e32 v116, v59, v60
	s_andn2_b64 exec, exec, s[10:11]
	s_cbranch_execnz .LBB26_173
; %bb.174:
	s_or_b64 exec, exec, s[10:11]
.LBB26_175:
	s_or_b64 exec, exec, s[8:9]
.LBB26_176:
	s_or_b64 exec, exec, s[6:7]
	v_mov_b32_e32 v43, 0
	ds_read_b32 v43, v43 offset:56
	s_waitcnt lgkmcnt(0)
	v_mul_f32_e32 v43, v116, v43
.LBB26_177:
	s_or_b64 exec, exec, s[4:5]
	v_cmp_lt_u32_e64 s[2:3], 13, v0
	ds_write_b32 v115, v42
	s_waitcnt lgkmcnt(0)
	; wave barrier
	s_and_saveexec_b64 s[4:5], s[2:3]
	s_cbranch_execz .LBB26_193
; %bb.178:
	s_andn2_b64 vcc, exec, s[58:59]
	s_cbranch_vccnz .LBB26_180
; %bb.179:
	v_cmp_eq_u32_e32 vcc, 1, v0
	v_cndmask_b32_e32 v116, v29, v30, vcc
	v_cmp_eq_u32_e32 vcc, 2, v0
	v_cndmask_b32_e32 v116, v116, v31, vcc
	;; [unrolled: 2-line block ×22, first 2 shown]
	v_cmp_eq_u32_e32 vcc, 23, v0
	ds_read_b32 v117, v115
	v_cndmask_b32_e32 v116, v116, v52, vcc
	v_cmp_eq_u32_e32 vcc, 24, v0
	v_cndmask_b32_e32 v116, v116, v53, vcc
	v_cmp_eq_u32_e32 vcc, 25, v0
	;; [unrolled: 2-line block ×3, first 2 shown]
	v_cndmask_b32_e32 v116, v116, v55, vcc
	s_waitcnt lgkmcnt(0)
	v_mul_f32_e32 v116, v116, v117
	s_cbranch_execz .LBB26_181
	s_branch .LBB26_182
.LBB26_180:
                                        ; implicit-def: $vgpr116
.LBB26_181:
	ds_read_b32 v116, v115
.LBB26_182:
	s_and_saveexec_b64 s[6:7], s[0:1]
	s_cbranch_execz .LBB26_192
; %bb.183:
	v_add_u32_e32 v117, -15, v0
	v_add_u32_e32 v118, -14, v0
	v_cmp_lt_u32_e32 vcc, 6, v117
	v_mov_b32_e32 v117, 14
	s_and_saveexec_b64 s[0:1], vcc
	s_cbranch_execz .LBB26_187
; %bb.184:
	v_and_b32_e32 v117, -8, v118
	v_sub_u32_e32 v119, 0, v117
	s_mov_b64 s[8:9], 21
	s_movk_i32 s12, 0xa8
	s_mov_b64 s[10:11], 0
.LBB26_185:                             ; =>This Inner Loop Header: Depth=1
	s_add_i32 s13, s8, -7
	v_mov_b32_e32 v117, s12
	s_add_i32 s14, s8, -6
	s_set_gpr_idx_on s13, gpr_idx(SRC0)
	v_mov_b32_e32 v128, v29
	s_set_gpr_idx_off
	ds_read2_b64 v[120:123], v117 offset1:1
	s_add_i32 s15, s8, -5
	s_set_gpr_idx_on s14, gpr_idx(SRC0)
	v_mov_b32_e32 v129, v29
	s_set_gpr_idx_off
	s_add_i32 s16, s8, -4
	s_set_gpr_idx_on s15, gpr_idx(SRC0)
	v_mov_b32_e32 v130, v29
	s_set_gpr_idx_off
	;; [unrolled: 4-line block ×4, first 2 shown]
	ds_read2_b64 v[124:127], v117 offset0:2 offset1:3
	s_add_i32 s19, s8, -1
	s_waitcnt lgkmcnt(1)
	v_fmac_f32_e32 v116, v128, v120
	s_set_gpr_idx_on s18, gpr_idx(SRC0)
	v_mov_b32_e32 v120, v29
	s_set_gpr_idx_off
	v_fmac_f32_e32 v116, v129, v121
	s_set_gpr_idx_on s19, gpr_idx(SRC0)
	v_mov_b32_e32 v121, v29
	s_set_gpr_idx_off
	;; [unrolled: 4-line block ×3, first 2 shown]
	v_fmac_f32_e32 v116, v131, v123
	s_add_u32 s8, s8, 8
	s_waitcnt lgkmcnt(0)
	v_fmac_f32_e32 v116, v132, v124
	v_add_u32_e32 v117, s8, v119
	v_fmac_f32_e32 v116, v120, v125
	s_addc_u32 s9, s9, 0
	s_add_i32 s12, s12, 32
	s_add_i32 s13, s8, -7
	v_cmp_eq_u32_e32 vcc, 21, v117
	v_fmac_f32_e32 v116, v121, v126
	v_mov_b32_e32 v117, s13
	s_or_b64 s[10:11], vcc, s[10:11]
	v_fmac_f32_e32 v116, v122, v127
	s_andn2_b64 exec, exec, s[10:11]
	s_cbranch_execnz .LBB26_185
; %bb.186:
	s_or_b64 exec, exec, s[10:11]
.LBB26_187:
	s_or_b64 exec, exec, s[0:1]
	v_and_b32_e32 v56, 7, v118
	v_cmp_ne_u32_e32 vcc, 0, v56
	s_and_saveexec_b64 s[8:9], vcc
	s_cbranch_execz .LBB26_191
; %bb.188:
	v_mov_b32_e32 v57, 0x70
	v_lshl_add_u32 v57, v117, 2, v57
	v_mov_b32_e32 v58, 0
	s_mov_b64 s[10:11], 0
.LBB26_189:                             ; =>This Inner Loop Header: Depth=1
	v_cmp_eq_u32_e32 vcc, 1, v117
	v_cndmask_b32_e32 v59, v29, v30, vcc
	v_add_u32_e32 v56, -1, v56
	v_cmp_eq_u32_e32 vcc, 2, v117
	v_cndmask_b32_e32 v59, v59, v31, vcc
	v_cmp_eq_u32_e32 vcc, 0, v56
	v_cmp_eq_u32_e64 s[0:1], 3, v117
	v_cndmask_b32_e64 v59, v59, v32, s[0:1]
	s_or_b64 s[10:11], vcc, s[10:11]
	v_cmp_eq_u32_e32 vcc, 4, v117
	v_cndmask_b32_e32 v59, v59, v33, vcc
	v_cmp_eq_u32_e32 vcc, 5, v117
	v_cndmask_b32_e32 v59, v59, v34, vcc
	;; [unrolled: 2-line block ×18, first 2 shown]
	v_cmp_eq_u32_e32 vcc, 22, v117
	ds_read_b32 v60, v57
	v_cndmask_b32_e32 v59, v59, v51, vcc
	v_cmp_eq_u32_e32 vcc, 23, v117
	v_cndmask_b32_e32 v59, v59, v52, vcc
	v_cmp_eq_u32_e32 vcc, 24, v117
	;; [unrolled: 2-line block ×4, first 2 shown]
	v_add_co_u32_e64 v117, s[0:1], 1, v117
	v_cndmask_b32_e32 v59, v59, v55, vcc
	v_add_u32_e32 v57, 4, v57
	v_addc_co_u32_e64 v58, s[0:1], 0, v58, s[0:1]
	s_waitcnt lgkmcnt(0)
	v_fmac_f32_e32 v116, v59, v60
	s_andn2_b64 exec, exec, s[10:11]
	s_cbranch_execnz .LBB26_189
; %bb.190:
	s_or_b64 exec, exec, s[10:11]
.LBB26_191:
	s_or_b64 exec, exec, s[8:9]
.LBB26_192:
	s_or_b64 exec, exec, s[6:7]
	v_mov_b32_e32 v42, 0
	ds_read_b32 v42, v42 offset:52
	s_waitcnt lgkmcnt(0)
	v_mul_f32_e32 v42, v116, v42
.LBB26_193:
	s_or_b64 exec, exec, s[4:5]
	v_cmp_lt_u32_e64 s[0:1], 12, v0
	ds_write_b32 v115, v41
	s_waitcnt lgkmcnt(0)
	; wave barrier
	s_and_saveexec_b64 s[4:5], s[0:1]
	s_cbranch_execz .LBB26_209
; %bb.194:
	s_andn2_b64 vcc, exec, s[58:59]
	s_cbranch_vccnz .LBB26_196
; %bb.195:
	v_cmp_eq_u32_e32 vcc, 1, v0
	v_cndmask_b32_e32 v116, v29, v30, vcc
	v_cmp_eq_u32_e32 vcc, 2, v0
	v_cndmask_b32_e32 v116, v116, v31, vcc
	v_cmp_eq_u32_e32 vcc, 3, v0
	v_cndmask_b32_e32 v116, v116, v32, vcc
	v_cmp_eq_u32_e32 vcc, 4, v0
	v_cndmask_b32_e32 v116, v116, v33, vcc
	v_cmp_eq_u32_e32 vcc, 5, v0
	v_cndmask_b32_e32 v116, v116, v34, vcc
	v_cmp_eq_u32_e32 vcc, 6, v0
	v_cndmask_b32_e32 v116, v116, v35, vcc
	v_cmp_eq_u32_e32 vcc, 7, v0
	v_cndmask_b32_e32 v116, v116, v36, vcc
	v_cmp_eq_u32_e32 vcc, 8, v0
	v_cndmask_b32_e32 v116, v116, v37, vcc
	v_cmp_eq_u32_e32 vcc, 9, v0
	v_cndmask_b32_e32 v116, v116, v38, vcc
	v_cmp_eq_u32_e32 vcc, 10, v0
	v_cndmask_b32_e32 v116, v116, v39, vcc
	v_cmp_eq_u32_e32 vcc, 11, v0
	v_cndmask_b32_e32 v116, v116, v40, vcc
	v_cmp_eq_u32_e32 vcc, 12, v0
	v_cndmask_b32_e32 v116, v116, v41, vcc
	v_cmp_eq_u32_e32 vcc, 13, v0
	v_cndmask_b32_e32 v116, v116, v42, vcc
	v_cmp_eq_u32_e32 vcc, 14, v0
	v_cndmask_b32_e32 v116, v116, v43, vcc
	v_cmp_eq_u32_e32 vcc, 15, v0
	v_cndmask_b32_e32 v116, v116, v44, vcc
	v_cmp_eq_u32_e32 vcc, 16, v0
	v_cndmask_b32_e32 v116, v116, v45, vcc
	v_cmp_eq_u32_e32 vcc, 17, v0
	v_cndmask_b32_e32 v116, v116, v46, vcc
	v_cmp_eq_u32_e32 vcc, 18, v0
	v_cndmask_b32_e32 v116, v116, v47, vcc
	v_cmp_eq_u32_e32 vcc, 19, v0
	v_cndmask_b32_e32 v116, v116, v48, vcc
	v_cmp_eq_u32_e32 vcc, 20, v0
	v_cndmask_b32_e32 v116, v116, v49, vcc
	v_cmp_eq_u32_e32 vcc, 21, v0
	v_cndmask_b32_e32 v116, v116, v50, vcc
	v_cmp_eq_u32_e32 vcc, 22, v0
	v_cndmask_b32_e32 v116, v116, v51, vcc
	v_cmp_eq_u32_e32 vcc, 23, v0
	ds_read_b32 v117, v115
	v_cndmask_b32_e32 v116, v116, v52, vcc
	v_cmp_eq_u32_e32 vcc, 24, v0
	v_cndmask_b32_e32 v116, v116, v53, vcc
	v_cmp_eq_u32_e32 vcc, 25, v0
	v_cndmask_b32_e32 v116, v116, v54, vcc
	v_cmp_eq_u32_e32 vcc, 26, v0
	v_cndmask_b32_e32 v116, v116, v55, vcc
	s_waitcnt lgkmcnt(0)
	v_mul_f32_e32 v116, v116, v117
	s_cbranch_execz .LBB26_197
	s_branch .LBB26_198
.LBB26_196:
                                        ; implicit-def: $vgpr116
.LBB26_197:
	ds_read_b32 v116, v115
.LBB26_198:
	s_and_saveexec_b64 s[6:7], s[2:3]
	s_cbranch_execz .LBB26_208
; %bb.199:
	v_add_u32_e32 v117, -14, v0
	v_add_u32_e32 v118, -13, v0
	v_cmp_lt_u32_e32 vcc, 6, v117
	v_mov_b32_e32 v117, 13
	s_and_saveexec_b64 s[2:3], vcc
	s_cbranch_execz .LBB26_203
; %bb.200:
	v_and_b32_e32 v117, -8, v118
	v_sub_u32_e32 v119, 0, v117
	s_mov_b64 s[8:9], 20
	s_movk_i32 s12, 0xa4
	s_mov_b64 s[10:11], 0
.LBB26_201:                             ; =>This Inner Loop Header: Depth=1
	s_add_i32 s13, s8, -7
	v_mov_b32_e32 v117, s12
	s_add_i32 s14, s8, -6
	s_set_gpr_idx_on s13, gpr_idx(SRC0)
	v_mov_b32_e32 v126, v29
	s_set_gpr_idx_off
	ds_read2_b32 v[120:121], v117 offset1:1
	s_add_i32 s15, s8, -5
	s_set_gpr_idx_on s14, gpr_idx(SRC0)
	v_mov_b32_e32 v127, v29
	s_set_gpr_idx_off
	s_add_i32 s16, s8, -4
	s_set_gpr_idx_on s15, gpr_idx(SRC0)
	v_mov_b32_e32 v128, v29
	s_set_gpr_idx_off
	ds_read2_b32 v[122:123], v117 offset0:2 offset1:3
	s_add_i32 s17, s8, -3
	s_set_gpr_idx_on s16, gpr_idx(SRC0)
	v_mov_b32_e32 v129, v29
	s_set_gpr_idx_off
	s_add_i32 s18, s8, -2
	s_set_gpr_idx_on s17, gpr_idx(SRC0)
	v_mov_b32_e32 v130, v29
	s_set_gpr_idx_off
	ds_read2_b32 v[124:125], v117 offset0:4 offset1:5
	s_add_i32 s19, s8, -1
	s_waitcnt lgkmcnt(2)
	v_fmac_f32_e32 v116, v126, v120
	s_set_gpr_idx_on s18, gpr_idx(SRC0)
	v_mov_b32_e32 v126, v29
	s_set_gpr_idx_off
	v_fmac_f32_e32 v116, v127, v121
	s_set_gpr_idx_on s19, gpr_idx(SRC0)
	v_mov_b32_e32 v127, v29
	s_set_gpr_idx_off
	ds_read2_b32 v[120:121], v117 offset0:6 offset1:7
	s_waitcnt lgkmcnt(2)
	v_fmac_f32_e32 v116, v128, v122
	s_set_gpr_idx_on s8, gpr_idx(SRC0)
	v_mov_b32_e32 v122, v29
	s_set_gpr_idx_off
	v_fmac_f32_e32 v116, v129, v123
	s_add_u32 s8, s8, 8
	s_waitcnt lgkmcnt(1)
	v_fmac_f32_e32 v116, v130, v124
	v_add_u32_e32 v117, s8, v119
	v_fmac_f32_e32 v116, v126, v125
	s_addc_u32 s9, s9, 0
	s_add_i32 s12, s12, 32
	s_add_i32 s13, s8, -7
	v_cmp_eq_u32_e32 vcc, 20, v117
	s_waitcnt lgkmcnt(0)
	v_fmac_f32_e32 v116, v127, v120
	v_mov_b32_e32 v117, s13
	s_or_b64 s[10:11], vcc, s[10:11]
	v_fmac_f32_e32 v116, v122, v121
	s_andn2_b64 exec, exec, s[10:11]
	s_cbranch_execnz .LBB26_201
; %bb.202:
	s_or_b64 exec, exec, s[10:11]
.LBB26_203:
	s_or_b64 exec, exec, s[2:3]
	v_and_b32_e32 v56, 7, v118
	v_cmp_ne_u32_e32 vcc, 0, v56
	s_and_saveexec_b64 s[8:9], vcc
	s_cbranch_execz .LBB26_207
; %bb.204:
	v_mov_b32_e32 v57, 0x70
	v_lshl_add_u32 v57, v117, 2, v57
	v_mov_b32_e32 v58, 0
	s_mov_b64 s[10:11], 0
.LBB26_205:                             ; =>This Inner Loop Header: Depth=1
	v_cmp_eq_u32_e32 vcc, 1, v117
	v_cndmask_b32_e32 v59, v29, v30, vcc
	v_add_u32_e32 v56, -1, v56
	v_cmp_eq_u32_e32 vcc, 2, v117
	v_cndmask_b32_e32 v59, v59, v31, vcc
	v_cmp_eq_u32_e32 vcc, 0, v56
	v_cmp_eq_u32_e64 s[2:3], 3, v117
	v_cndmask_b32_e64 v59, v59, v32, s[2:3]
	s_or_b64 s[10:11], vcc, s[10:11]
	v_cmp_eq_u32_e32 vcc, 4, v117
	v_cndmask_b32_e32 v59, v59, v33, vcc
	v_cmp_eq_u32_e32 vcc, 5, v117
	v_cndmask_b32_e32 v59, v59, v34, vcc
	;; [unrolled: 2-line block ×18, first 2 shown]
	v_cmp_eq_u32_e32 vcc, 22, v117
	ds_read_b32 v60, v57
	v_cndmask_b32_e32 v59, v59, v51, vcc
	v_cmp_eq_u32_e32 vcc, 23, v117
	v_cndmask_b32_e32 v59, v59, v52, vcc
	v_cmp_eq_u32_e32 vcc, 24, v117
	;; [unrolled: 2-line block ×4, first 2 shown]
	v_add_co_u32_e64 v117, s[2:3], 1, v117
	v_cndmask_b32_e32 v59, v59, v55, vcc
	v_add_u32_e32 v57, 4, v57
	v_addc_co_u32_e64 v58, s[2:3], 0, v58, s[2:3]
	s_waitcnt lgkmcnt(0)
	v_fmac_f32_e32 v116, v59, v60
	s_andn2_b64 exec, exec, s[10:11]
	s_cbranch_execnz .LBB26_205
; %bb.206:
	s_or_b64 exec, exec, s[10:11]
.LBB26_207:
	s_or_b64 exec, exec, s[8:9]
.LBB26_208:
	s_or_b64 exec, exec, s[6:7]
	v_mov_b32_e32 v41, 0
	ds_read_b32 v41, v41 offset:48
	s_waitcnt lgkmcnt(0)
	v_mul_f32_e32 v41, v116, v41
.LBB26_209:
	s_or_b64 exec, exec, s[4:5]
	v_cmp_lt_u32_e64 s[2:3], 11, v0
	ds_write_b32 v115, v40
	s_waitcnt lgkmcnt(0)
	; wave barrier
	s_and_saveexec_b64 s[4:5], s[2:3]
	s_cbranch_execz .LBB26_225
; %bb.210:
	s_andn2_b64 vcc, exec, s[58:59]
	s_cbranch_vccnz .LBB26_212
; %bb.211:
	v_cmp_eq_u32_e32 vcc, 1, v0
	v_cndmask_b32_e32 v116, v29, v30, vcc
	v_cmp_eq_u32_e32 vcc, 2, v0
	v_cndmask_b32_e32 v116, v116, v31, vcc
	;; [unrolled: 2-line block ×22, first 2 shown]
	v_cmp_eq_u32_e32 vcc, 23, v0
	ds_read_b32 v117, v115
	v_cndmask_b32_e32 v116, v116, v52, vcc
	v_cmp_eq_u32_e32 vcc, 24, v0
	v_cndmask_b32_e32 v116, v116, v53, vcc
	v_cmp_eq_u32_e32 vcc, 25, v0
	;; [unrolled: 2-line block ×3, first 2 shown]
	v_cndmask_b32_e32 v116, v116, v55, vcc
	s_waitcnt lgkmcnt(0)
	v_mul_f32_e32 v116, v116, v117
	s_cbranch_execz .LBB26_213
	s_branch .LBB26_214
.LBB26_212:
                                        ; implicit-def: $vgpr116
.LBB26_213:
	ds_read_b32 v116, v115
.LBB26_214:
	s_and_saveexec_b64 s[6:7], s[0:1]
	s_cbranch_execz .LBB26_224
; %bb.215:
	v_add_u32_e32 v117, -13, v0
	v_add_u32_e32 v118, -12, v0
	v_cmp_lt_u32_e32 vcc, 6, v117
	v_mov_b32_e32 v117, 12
	s_and_saveexec_b64 s[0:1], vcc
	s_cbranch_execz .LBB26_219
; %bb.216:
	v_and_b32_e32 v117, -8, v118
	v_sub_u32_e32 v119, 0, v117
	s_mov_b64 s[8:9], 19
	s_movk_i32 s12, 0xa0
	s_mov_b64 s[10:11], 0
.LBB26_217:                             ; =>This Inner Loop Header: Depth=1
	s_add_i32 s13, s8, -7
	v_mov_b32_e32 v117, s12
	s_add_i32 s14, s8, -6
	s_set_gpr_idx_on s13, gpr_idx(SRC0)
	v_mov_b32_e32 v128, v29
	s_set_gpr_idx_off
	s_add_i32 s15, s8, -5
	ds_read_b128 v[120:123], v117
	ds_read_b128 v[124:127], v117 offset:16
	s_set_gpr_idx_on s14, gpr_idx(SRC0)
	v_mov_b32_e32 v117, v29
	s_set_gpr_idx_off
	s_add_i32 s16, s8, -4
	s_set_gpr_idx_on s15, gpr_idx(SRC0)
	v_mov_b32_e32 v129, v29
	s_set_gpr_idx_off
	s_add_i32 s17, s8, -3
	;; [unrolled: 4-line block ×4, first 2 shown]
	s_waitcnt lgkmcnt(1)
	v_fmac_f32_e32 v116, v128, v120
	s_set_gpr_idx_on s18, gpr_idx(SRC0)
	v_mov_b32_e32 v120, v29
	s_set_gpr_idx_off
	v_fmac_f32_e32 v116, v117, v121
	s_set_gpr_idx_on s19, gpr_idx(SRC0)
	v_mov_b32_e32 v121, v29
	s_set_gpr_idx_off
	;; [unrolled: 4-line block ×3, first 2 shown]
	v_fmac_f32_e32 v116, v130, v123
	s_add_u32 s8, s8, 8
	s_waitcnt lgkmcnt(0)
	v_fmac_f32_e32 v116, v131, v124
	v_add_u32_e32 v117, s8, v119
	v_fmac_f32_e32 v116, v120, v125
	s_addc_u32 s9, s9, 0
	s_add_i32 s12, s12, 32
	s_add_i32 s13, s8, -7
	v_cmp_eq_u32_e32 vcc, 19, v117
	v_fmac_f32_e32 v116, v121, v126
	v_mov_b32_e32 v117, s13
	s_or_b64 s[10:11], vcc, s[10:11]
	v_fmac_f32_e32 v116, v122, v127
	s_andn2_b64 exec, exec, s[10:11]
	s_cbranch_execnz .LBB26_217
; %bb.218:
	s_or_b64 exec, exec, s[10:11]
.LBB26_219:
	s_or_b64 exec, exec, s[0:1]
	v_and_b32_e32 v56, 7, v118
	v_cmp_ne_u32_e32 vcc, 0, v56
	s_and_saveexec_b64 s[8:9], vcc
	s_cbranch_execz .LBB26_223
; %bb.220:
	v_mov_b32_e32 v57, 0x70
	v_lshl_add_u32 v57, v117, 2, v57
	v_mov_b32_e32 v58, 0
	s_mov_b64 s[10:11], 0
.LBB26_221:                             ; =>This Inner Loop Header: Depth=1
	v_cmp_eq_u32_e32 vcc, 1, v117
	v_cndmask_b32_e32 v59, v29, v30, vcc
	v_add_u32_e32 v56, -1, v56
	v_cmp_eq_u32_e32 vcc, 2, v117
	v_cndmask_b32_e32 v59, v59, v31, vcc
	v_cmp_eq_u32_e32 vcc, 0, v56
	v_cmp_eq_u32_e64 s[0:1], 3, v117
	v_cndmask_b32_e64 v59, v59, v32, s[0:1]
	s_or_b64 s[10:11], vcc, s[10:11]
	v_cmp_eq_u32_e32 vcc, 4, v117
	v_cndmask_b32_e32 v59, v59, v33, vcc
	v_cmp_eq_u32_e32 vcc, 5, v117
	v_cndmask_b32_e32 v59, v59, v34, vcc
	v_cmp_eq_u32_e32 vcc, 6, v117
	v_cndmask_b32_e32 v59, v59, v35, vcc
	v_cmp_eq_u32_e32 vcc, 7, v117
	v_cndmask_b32_e32 v59, v59, v36, vcc
	v_cmp_eq_u32_e32 vcc, 8, v117
	v_cndmask_b32_e32 v59, v59, v37, vcc
	v_cmp_eq_u32_e32 vcc, 9, v117
	v_cndmask_b32_e32 v59, v59, v38, vcc
	v_cmp_eq_u32_e32 vcc, 10, v117
	v_cndmask_b32_e32 v59, v59, v39, vcc
	v_cmp_eq_u32_e32 vcc, 11, v117
	v_cndmask_b32_e32 v59, v59, v40, vcc
	v_cmp_eq_u32_e32 vcc, 12, v117
	v_cndmask_b32_e32 v59, v59, v41, vcc
	v_cmp_eq_u32_e32 vcc, 13, v117
	v_cndmask_b32_e32 v59, v59, v42, vcc
	v_cmp_eq_u32_e32 vcc, 14, v117
	v_cndmask_b32_e32 v59, v59, v43, vcc
	v_cmp_eq_u32_e32 vcc, 15, v117
	v_cndmask_b32_e32 v59, v59, v44, vcc
	v_cmp_eq_u32_e32 vcc, 16, v117
	v_cndmask_b32_e32 v59, v59, v45, vcc
	v_cmp_eq_u32_e32 vcc, 17, v117
	v_cndmask_b32_e32 v59, v59, v46, vcc
	v_cmp_eq_u32_e32 vcc, 18, v117
	v_cndmask_b32_e32 v59, v59, v47, vcc
	v_cmp_eq_u32_e32 vcc, 19, v117
	v_cndmask_b32_e32 v59, v59, v48, vcc
	v_cmp_eq_u32_e32 vcc, 20, v117
	v_cndmask_b32_e32 v59, v59, v49, vcc
	v_cmp_eq_u32_e32 vcc, 21, v117
	v_cndmask_b32_e32 v59, v59, v50, vcc
	v_cmp_eq_u32_e32 vcc, 22, v117
	ds_read_b32 v60, v57
	v_cndmask_b32_e32 v59, v59, v51, vcc
	v_cmp_eq_u32_e32 vcc, 23, v117
	v_cndmask_b32_e32 v59, v59, v52, vcc
	v_cmp_eq_u32_e32 vcc, 24, v117
	;; [unrolled: 2-line block ×4, first 2 shown]
	v_add_co_u32_e64 v117, s[0:1], 1, v117
	v_cndmask_b32_e32 v59, v59, v55, vcc
	v_add_u32_e32 v57, 4, v57
	v_addc_co_u32_e64 v58, s[0:1], 0, v58, s[0:1]
	s_waitcnt lgkmcnt(0)
	v_fmac_f32_e32 v116, v59, v60
	s_andn2_b64 exec, exec, s[10:11]
	s_cbranch_execnz .LBB26_221
; %bb.222:
	s_or_b64 exec, exec, s[10:11]
.LBB26_223:
	s_or_b64 exec, exec, s[8:9]
.LBB26_224:
	s_or_b64 exec, exec, s[6:7]
	v_mov_b32_e32 v40, 0
	ds_read_b32 v40, v40 offset:44
	s_waitcnt lgkmcnt(0)
	v_mul_f32_e32 v40, v116, v40
.LBB26_225:
	s_or_b64 exec, exec, s[4:5]
	v_cmp_lt_u32_e64 s[0:1], 10, v0
	ds_write_b32 v115, v39
	s_waitcnt lgkmcnt(0)
	; wave barrier
	s_and_saveexec_b64 s[4:5], s[0:1]
	s_cbranch_execz .LBB26_241
; %bb.226:
	s_andn2_b64 vcc, exec, s[58:59]
	s_cbranch_vccnz .LBB26_228
; %bb.227:
	v_cmp_eq_u32_e32 vcc, 1, v0
	v_cndmask_b32_e32 v116, v29, v30, vcc
	v_cmp_eq_u32_e32 vcc, 2, v0
	v_cndmask_b32_e32 v116, v116, v31, vcc
	;; [unrolled: 2-line block ×22, first 2 shown]
	v_cmp_eq_u32_e32 vcc, 23, v0
	ds_read_b32 v117, v115
	v_cndmask_b32_e32 v116, v116, v52, vcc
	v_cmp_eq_u32_e32 vcc, 24, v0
	v_cndmask_b32_e32 v116, v116, v53, vcc
	v_cmp_eq_u32_e32 vcc, 25, v0
	;; [unrolled: 2-line block ×3, first 2 shown]
	v_cndmask_b32_e32 v116, v116, v55, vcc
	s_waitcnt lgkmcnt(0)
	v_mul_f32_e32 v116, v116, v117
	s_cbranch_execz .LBB26_229
	s_branch .LBB26_230
.LBB26_228:
                                        ; implicit-def: $vgpr116
.LBB26_229:
	ds_read_b32 v116, v115
.LBB26_230:
	s_and_saveexec_b64 s[6:7], s[2:3]
	s_cbranch_execz .LBB26_240
; %bb.231:
	v_add_u32_e32 v117, -12, v0
	v_add_u32_e32 v118, -11, v0
	v_cmp_lt_u32_e32 vcc, 6, v117
	v_mov_b32_e32 v117, 11
	s_and_saveexec_b64 s[2:3], vcc
	s_cbranch_execz .LBB26_235
; %bb.232:
	v_and_b32_e32 v117, -8, v118
	v_sub_u32_e32 v119, 0, v117
	s_mov_b64 s[8:9], 18
	s_movk_i32 s12, 0x9c
	s_mov_b64 s[10:11], 0
.LBB26_233:                             ; =>This Inner Loop Header: Depth=1
	s_add_i32 s13, s8, -7
	v_mov_b32_e32 v117, s12
	s_add_i32 s14, s8, -6
	s_set_gpr_idx_on s13, gpr_idx(SRC0)
	v_mov_b32_e32 v126, v29
	s_set_gpr_idx_off
	ds_read2_b32 v[120:121], v117 offset1:1
	s_add_i32 s15, s8, -5
	s_set_gpr_idx_on s14, gpr_idx(SRC0)
	v_mov_b32_e32 v127, v29
	s_set_gpr_idx_off
	s_add_i32 s16, s8, -4
	s_set_gpr_idx_on s15, gpr_idx(SRC0)
	v_mov_b32_e32 v128, v29
	s_set_gpr_idx_off
	ds_read2_b32 v[122:123], v117 offset0:2 offset1:3
	s_add_i32 s17, s8, -3
	s_set_gpr_idx_on s16, gpr_idx(SRC0)
	v_mov_b32_e32 v129, v29
	s_set_gpr_idx_off
	s_add_i32 s18, s8, -2
	s_set_gpr_idx_on s17, gpr_idx(SRC0)
	v_mov_b32_e32 v130, v29
	s_set_gpr_idx_off
	ds_read2_b32 v[124:125], v117 offset0:4 offset1:5
	s_add_i32 s19, s8, -1
	s_waitcnt lgkmcnt(2)
	v_fmac_f32_e32 v116, v126, v120
	s_set_gpr_idx_on s18, gpr_idx(SRC0)
	v_mov_b32_e32 v126, v29
	s_set_gpr_idx_off
	v_fmac_f32_e32 v116, v127, v121
	s_set_gpr_idx_on s19, gpr_idx(SRC0)
	v_mov_b32_e32 v127, v29
	s_set_gpr_idx_off
	ds_read2_b32 v[120:121], v117 offset0:6 offset1:7
	s_waitcnt lgkmcnt(2)
	v_fmac_f32_e32 v116, v128, v122
	s_set_gpr_idx_on s8, gpr_idx(SRC0)
	v_mov_b32_e32 v122, v29
	s_set_gpr_idx_off
	v_fmac_f32_e32 v116, v129, v123
	s_add_u32 s8, s8, 8
	s_waitcnt lgkmcnt(1)
	v_fmac_f32_e32 v116, v130, v124
	v_add_u32_e32 v117, s8, v119
	v_fmac_f32_e32 v116, v126, v125
	s_addc_u32 s9, s9, 0
	s_add_i32 s12, s12, 32
	s_add_i32 s13, s8, -7
	v_cmp_eq_u32_e32 vcc, 18, v117
	s_waitcnt lgkmcnt(0)
	v_fmac_f32_e32 v116, v127, v120
	v_mov_b32_e32 v117, s13
	s_or_b64 s[10:11], vcc, s[10:11]
	v_fmac_f32_e32 v116, v122, v121
	s_andn2_b64 exec, exec, s[10:11]
	s_cbranch_execnz .LBB26_233
; %bb.234:
	s_or_b64 exec, exec, s[10:11]
.LBB26_235:
	s_or_b64 exec, exec, s[2:3]
	v_and_b32_e32 v56, 7, v118
	v_cmp_ne_u32_e32 vcc, 0, v56
	s_and_saveexec_b64 s[8:9], vcc
	s_cbranch_execz .LBB26_239
; %bb.236:
	v_mov_b32_e32 v57, 0x70
	v_lshl_add_u32 v57, v117, 2, v57
	v_mov_b32_e32 v58, 0
	s_mov_b64 s[10:11], 0
.LBB26_237:                             ; =>This Inner Loop Header: Depth=1
	v_cmp_eq_u32_e32 vcc, 1, v117
	v_cndmask_b32_e32 v59, v29, v30, vcc
	v_add_u32_e32 v56, -1, v56
	v_cmp_eq_u32_e32 vcc, 2, v117
	v_cndmask_b32_e32 v59, v59, v31, vcc
	v_cmp_eq_u32_e32 vcc, 0, v56
	v_cmp_eq_u32_e64 s[2:3], 3, v117
	v_cndmask_b32_e64 v59, v59, v32, s[2:3]
	s_or_b64 s[10:11], vcc, s[10:11]
	v_cmp_eq_u32_e32 vcc, 4, v117
	v_cndmask_b32_e32 v59, v59, v33, vcc
	v_cmp_eq_u32_e32 vcc, 5, v117
	v_cndmask_b32_e32 v59, v59, v34, vcc
	;; [unrolled: 2-line block ×18, first 2 shown]
	v_cmp_eq_u32_e32 vcc, 22, v117
	ds_read_b32 v60, v57
	v_cndmask_b32_e32 v59, v59, v51, vcc
	v_cmp_eq_u32_e32 vcc, 23, v117
	v_cndmask_b32_e32 v59, v59, v52, vcc
	v_cmp_eq_u32_e32 vcc, 24, v117
	;; [unrolled: 2-line block ×4, first 2 shown]
	v_add_co_u32_e64 v117, s[2:3], 1, v117
	v_cndmask_b32_e32 v59, v59, v55, vcc
	v_add_u32_e32 v57, 4, v57
	v_addc_co_u32_e64 v58, s[2:3], 0, v58, s[2:3]
	s_waitcnt lgkmcnt(0)
	v_fmac_f32_e32 v116, v59, v60
	s_andn2_b64 exec, exec, s[10:11]
	s_cbranch_execnz .LBB26_237
; %bb.238:
	s_or_b64 exec, exec, s[10:11]
.LBB26_239:
	s_or_b64 exec, exec, s[8:9]
.LBB26_240:
	s_or_b64 exec, exec, s[6:7]
	v_mov_b32_e32 v39, 0
	ds_read_b32 v39, v39 offset:40
	s_waitcnt lgkmcnt(0)
	v_mul_f32_e32 v39, v116, v39
.LBB26_241:
	s_or_b64 exec, exec, s[4:5]
	v_cmp_lt_u32_e64 s[2:3], 9, v0
	ds_write_b32 v115, v38
	s_waitcnt lgkmcnt(0)
	; wave barrier
	s_and_saveexec_b64 s[4:5], s[2:3]
	s_cbranch_execz .LBB26_257
; %bb.242:
	s_andn2_b64 vcc, exec, s[58:59]
	s_cbranch_vccnz .LBB26_244
; %bb.243:
	v_cmp_eq_u32_e32 vcc, 1, v0
	v_cndmask_b32_e32 v116, v29, v30, vcc
	v_cmp_eq_u32_e32 vcc, 2, v0
	v_cndmask_b32_e32 v116, v116, v31, vcc
	;; [unrolled: 2-line block ×22, first 2 shown]
	v_cmp_eq_u32_e32 vcc, 23, v0
	ds_read_b32 v117, v115
	v_cndmask_b32_e32 v116, v116, v52, vcc
	v_cmp_eq_u32_e32 vcc, 24, v0
	v_cndmask_b32_e32 v116, v116, v53, vcc
	v_cmp_eq_u32_e32 vcc, 25, v0
	;; [unrolled: 2-line block ×3, first 2 shown]
	v_cndmask_b32_e32 v116, v116, v55, vcc
	s_waitcnt lgkmcnt(0)
	v_mul_f32_e32 v116, v116, v117
	s_cbranch_execz .LBB26_245
	s_branch .LBB26_246
.LBB26_244:
                                        ; implicit-def: $vgpr116
.LBB26_245:
	ds_read_b32 v116, v115
.LBB26_246:
	s_and_saveexec_b64 s[6:7], s[0:1]
	s_cbranch_execz .LBB26_256
; %bb.247:
	v_add_u32_e32 v117, -11, v0
	v_add_u32_e32 v118, -10, v0
	v_cmp_lt_u32_e32 vcc, 6, v117
	v_mov_b32_e32 v117, 10
	s_and_saveexec_b64 s[0:1], vcc
	s_cbranch_execz .LBB26_251
; %bb.248:
	v_and_b32_e32 v117, -8, v118
	v_sub_u32_e32 v119, 0, v117
	s_mov_b64 s[8:9], 17
	s_movk_i32 s12, 0x98
	s_mov_b64 s[10:11], 0
.LBB26_249:                             ; =>This Inner Loop Header: Depth=1
	s_add_i32 s13, s8, -7
	v_mov_b32_e32 v117, s12
	s_add_i32 s14, s8, -6
	s_set_gpr_idx_on s13, gpr_idx(SRC0)
	v_mov_b32_e32 v128, v29
	s_set_gpr_idx_off
	ds_read2_b64 v[120:123], v117 offset1:1
	s_add_i32 s15, s8, -5
	s_set_gpr_idx_on s14, gpr_idx(SRC0)
	v_mov_b32_e32 v129, v29
	s_set_gpr_idx_off
	s_add_i32 s16, s8, -4
	s_set_gpr_idx_on s15, gpr_idx(SRC0)
	v_mov_b32_e32 v130, v29
	s_set_gpr_idx_off
	;; [unrolled: 4-line block ×4, first 2 shown]
	ds_read2_b64 v[124:127], v117 offset0:2 offset1:3
	s_add_i32 s19, s8, -1
	s_waitcnt lgkmcnt(1)
	v_fmac_f32_e32 v116, v128, v120
	s_set_gpr_idx_on s18, gpr_idx(SRC0)
	v_mov_b32_e32 v120, v29
	s_set_gpr_idx_off
	v_fmac_f32_e32 v116, v129, v121
	s_set_gpr_idx_on s19, gpr_idx(SRC0)
	v_mov_b32_e32 v121, v29
	s_set_gpr_idx_off
	v_fmac_f32_e32 v116, v130, v122
	s_set_gpr_idx_on s8, gpr_idx(SRC0)
	v_mov_b32_e32 v122, v29
	s_set_gpr_idx_off
	v_fmac_f32_e32 v116, v131, v123
	s_add_u32 s8, s8, 8
	s_waitcnt lgkmcnt(0)
	v_fmac_f32_e32 v116, v132, v124
	v_add_u32_e32 v117, s8, v119
	v_fmac_f32_e32 v116, v120, v125
	s_addc_u32 s9, s9, 0
	s_add_i32 s12, s12, 32
	s_add_i32 s13, s8, -7
	v_cmp_eq_u32_e32 vcc, 17, v117
	v_fmac_f32_e32 v116, v121, v126
	v_mov_b32_e32 v117, s13
	s_or_b64 s[10:11], vcc, s[10:11]
	v_fmac_f32_e32 v116, v122, v127
	s_andn2_b64 exec, exec, s[10:11]
	s_cbranch_execnz .LBB26_249
; %bb.250:
	s_or_b64 exec, exec, s[10:11]
.LBB26_251:
	s_or_b64 exec, exec, s[0:1]
	v_and_b32_e32 v56, 7, v118
	v_cmp_ne_u32_e32 vcc, 0, v56
	s_and_saveexec_b64 s[8:9], vcc
	s_cbranch_execz .LBB26_255
; %bb.252:
	v_mov_b32_e32 v57, 0x70
	v_lshl_add_u32 v57, v117, 2, v57
	v_mov_b32_e32 v58, 0
	s_mov_b64 s[10:11], 0
.LBB26_253:                             ; =>This Inner Loop Header: Depth=1
	v_cmp_eq_u32_e32 vcc, 1, v117
	v_cndmask_b32_e32 v59, v29, v30, vcc
	v_add_u32_e32 v56, -1, v56
	v_cmp_eq_u32_e32 vcc, 2, v117
	v_cndmask_b32_e32 v59, v59, v31, vcc
	v_cmp_eq_u32_e32 vcc, 0, v56
	v_cmp_eq_u32_e64 s[0:1], 3, v117
	v_cndmask_b32_e64 v59, v59, v32, s[0:1]
	s_or_b64 s[10:11], vcc, s[10:11]
	v_cmp_eq_u32_e32 vcc, 4, v117
	v_cndmask_b32_e32 v59, v59, v33, vcc
	v_cmp_eq_u32_e32 vcc, 5, v117
	v_cndmask_b32_e32 v59, v59, v34, vcc
	;; [unrolled: 2-line block ×18, first 2 shown]
	v_cmp_eq_u32_e32 vcc, 22, v117
	ds_read_b32 v60, v57
	v_cndmask_b32_e32 v59, v59, v51, vcc
	v_cmp_eq_u32_e32 vcc, 23, v117
	v_cndmask_b32_e32 v59, v59, v52, vcc
	v_cmp_eq_u32_e32 vcc, 24, v117
	;; [unrolled: 2-line block ×4, first 2 shown]
	v_add_co_u32_e64 v117, s[0:1], 1, v117
	v_cndmask_b32_e32 v59, v59, v55, vcc
	v_add_u32_e32 v57, 4, v57
	v_addc_co_u32_e64 v58, s[0:1], 0, v58, s[0:1]
	s_waitcnt lgkmcnt(0)
	v_fmac_f32_e32 v116, v59, v60
	s_andn2_b64 exec, exec, s[10:11]
	s_cbranch_execnz .LBB26_253
; %bb.254:
	s_or_b64 exec, exec, s[10:11]
.LBB26_255:
	s_or_b64 exec, exec, s[8:9]
.LBB26_256:
	s_or_b64 exec, exec, s[6:7]
	v_mov_b32_e32 v38, 0
	ds_read_b32 v38, v38 offset:36
	s_waitcnt lgkmcnt(0)
	v_mul_f32_e32 v38, v116, v38
.LBB26_257:
	s_or_b64 exec, exec, s[4:5]
	v_cmp_lt_u32_e64 s[0:1], 8, v0
	ds_write_b32 v115, v37
	s_waitcnt lgkmcnt(0)
	; wave barrier
	s_and_saveexec_b64 s[4:5], s[0:1]
	s_cbranch_execz .LBB26_273
; %bb.258:
	s_andn2_b64 vcc, exec, s[58:59]
	s_cbranch_vccnz .LBB26_260
; %bb.259:
	v_cmp_eq_u32_e32 vcc, 1, v0
	v_cndmask_b32_e32 v116, v29, v30, vcc
	v_cmp_eq_u32_e32 vcc, 2, v0
	v_cndmask_b32_e32 v116, v116, v31, vcc
	;; [unrolled: 2-line block ×22, first 2 shown]
	v_cmp_eq_u32_e32 vcc, 23, v0
	ds_read_b32 v117, v115
	v_cndmask_b32_e32 v116, v116, v52, vcc
	v_cmp_eq_u32_e32 vcc, 24, v0
	v_cndmask_b32_e32 v116, v116, v53, vcc
	v_cmp_eq_u32_e32 vcc, 25, v0
	;; [unrolled: 2-line block ×3, first 2 shown]
	v_cndmask_b32_e32 v116, v116, v55, vcc
	s_waitcnt lgkmcnt(0)
	v_mul_f32_e32 v116, v116, v117
	s_cbranch_execz .LBB26_261
	s_branch .LBB26_262
.LBB26_260:
                                        ; implicit-def: $vgpr116
.LBB26_261:
	ds_read_b32 v116, v115
.LBB26_262:
	s_and_saveexec_b64 s[6:7], s[2:3]
	s_cbranch_execz .LBB26_272
; %bb.263:
	v_add_u32_e32 v117, -10, v0
	v_add_u32_e32 v118, -9, v0
	v_cmp_lt_u32_e32 vcc, 6, v117
	v_mov_b32_e32 v117, 9
	s_and_saveexec_b64 s[2:3], vcc
	s_cbranch_execz .LBB26_267
; %bb.264:
	v_and_b32_e32 v117, -8, v118
	v_sub_u32_e32 v119, 0, v117
	s_mov_b64 s[8:9], 16
	s_movk_i32 s12, 0x94
	s_mov_b64 s[10:11], 0
.LBB26_265:                             ; =>This Inner Loop Header: Depth=1
	s_add_i32 s13, s8, -7
	v_mov_b32_e32 v117, s12
	s_add_i32 s14, s8, -6
	s_set_gpr_idx_on s13, gpr_idx(SRC0)
	v_mov_b32_e32 v126, v29
	s_set_gpr_idx_off
	ds_read2_b32 v[120:121], v117 offset1:1
	s_add_i32 s15, s8, -5
	s_set_gpr_idx_on s14, gpr_idx(SRC0)
	v_mov_b32_e32 v127, v29
	s_set_gpr_idx_off
	s_add_i32 s16, s8, -4
	s_set_gpr_idx_on s15, gpr_idx(SRC0)
	v_mov_b32_e32 v128, v29
	s_set_gpr_idx_off
	ds_read2_b32 v[122:123], v117 offset0:2 offset1:3
	s_add_i32 s17, s8, -3
	s_set_gpr_idx_on s16, gpr_idx(SRC0)
	v_mov_b32_e32 v129, v29
	s_set_gpr_idx_off
	s_add_i32 s18, s8, -2
	s_set_gpr_idx_on s17, gpr_idx(SRC0)
	v_mov_b32_e32 v130, v29
	s_set_gpr_idx_off
	ds_read2_b32 v[124:125], v117 offset0:4 offset1:5
	s_add_i32 s19, s8, -1
	s_waitcnt lgkmcnt(2)
	v_fmac_f32_e32 v116, v126, v120
	s_set_gpr_idx_on s18, gpr_idx(SRC0)
	v_mov_b32_e32 v126, v29
	s_set_gpr_idx_off
	v_fmac_f32_e32 v116, v127, v121
	s_set_gpr_idx_on s19, gpr_idx(SRC0)
	v_mov_b32_e32 v127, v29
	s_set_gpr_idx_off
	ds_read2_b32 v[120:121], v117 offset0:6 offset1:7
	s_waitcnt lgkmcnt(2)
	v_fmac_f32_e32 v116, v128, v122
	s_set_gpr_idx_on s8, gpr_idx(SRC0)
	v_mov_b32_e32 v122, v29
	s_set_gpr_idx_off
	v_fmac_f32_e32 v116, v129, v123
	s_add_u32 s8, s8, 8
	s_waitcnt lgkmcnt(1)
	v_fmac_f32_e32 v116, v130, v124
	v_add_u32_e32 v117, s8, v119
	v_fmac_f32_e32 v116, v126, v125
	s_addc_u32 s9, s9, 0
	s_add_i32 s12, s12, 32
	s_add_i32 s13, s8, -7
	v_cmp_eq_u32_e32 vcc, 16, v117
	s_waitcnt lgkmcnt(0)
	v_fmac_f32_e32 v116, v127, v120
	v_mov_b32_e32 v117, s13
	s_or_b64 s[10:11], vcc, s[10:11]
	v_fmac_f32_e32 v116, v122, v121
	s_andn2_b64 exec, exec, s[10:11]
	s_cbranch_execnz .LBB26_265
; %bb.266:
	s_or_b64 exec, exec, s[10:11]
.LBB26_267:
	s_or_b64 exec, exec, s[2:3]
	v_and_b32_e32 v56, 7, v118
	v_cmp_ne_u32_e32 vcc, 0, v56
	s_and_saveexec_b64 s[8:9], vcc
	s_cbranch_execz .LBB26_271
; %bb.268:
	v_mov_b32_e32 v57, 0x70
	v_lshl_add_u32 v57, v117, 2, v57
	v_mov_b32_e32 v58, 0
	s_mov_b64 s[10:11], 0
.LBB26_269:                             ; =>This Inner Loop Header: Depth=1
	v_cmp_eq_u32_e32 vcc, 1, v117
	v_cndmask_b32_e32 v59, v29, v30, vcc
	v_add_u32_e32 v56, -1, v56
	v_cmp_eq_u32_e32 vcc, 2, v117
	v_cndmask_b32_e32 v59, v59, v31, vcc
	v_cmp_eq_u32_e32 vcc, 0, v56
	v_cmp_eq_u32_e64 s[2:3], 3, v117
	v_cndmask_b32_e64 v59, v59, v32, s[2:3]
	s_or_b64 s[10:11], vcc, s[10:11]
	v_cmp_eq_u32_e32 vcc, 4, v117
	v_cndmask_b32_e32 v59, v59, v33, vcc
	v_cmp_eq_u32_e32 vcc, 5, v117
	v_cndmask_b32_e32 v59, v59, v34, vcc
	;; [unrolled: 2-line block ×18, first 2 shown]
	v_cmp_eq_u32_e32 vcc, 22, v117
	ds_read_b32 v60, v57
	v_cndmask_b32_e32 v59, v59, v51, vcc
	v_cmp_eq_u32_e32 vcc, 23, v117
	v_cndmask_b32_e32 v59, v59, v52, vcc
	v_cmp_eq_u32_e32 vcc, 24, v117
	;; [unrolled: 2-line block ×4, first 2 shown]
	v_add_co_u32_e64 v117, s[2:3], 1, v117
	v_cndmask_b32_e32 v59, v59, v55, vcc
	v_add_u32_e32 v57, 4, v57
	v_addc_co_u32_e64 v58, s[2:3], 0, v58, s[2:3]
	s_waitcnt lgkmcnt(0)
	v_fmac_f32_e32 v116, v59, v60
	s_andn2_b64 exec, exec, s[10:11]
	s_cbranch_execnz .LBB26_269
; %bb.270:
	s_or_b64 exec, exec, s[10:11]
.LBB26_271:
	s_or_b64 exec, exec, s[8:9]
.LBB26_272:
	s_or_b64 exec, exec, s[6:7]
	v_mov_b32_e32 v37, 0
	ds_read_b32 v37, v37 offset:32
	s_waitcnt lgkmcnt(0)
	v_mul_f32_e32 v37, v116, v37
.LBB26_273:
	s_or_b64 exec, exec, s[4:5]
	v_cmp_lt_u32_e64 s[2:3], 7, v0
	ds_write_b32 v115, v36
	s_waitcnt lgkmcnt(0)
	; wave barrier
	s_and_saveexec_b64 s[4:5], s[2:3]
	s_cbranch_execz .LBB26_289
; %bb.274:
	s_andn2_b64 vcc, exec, s[58:59]
	s_cbranch_vccnz .LBB26_276
; %bb.275:
	v_cmp_eq_u32_e32 vcc, 1, v0
	v_cndmask_b32_e32 v116, v29, v30, vcc
	v_cmp_eq_u32_e32 vcc, 2, v0
	v_cndmask_b32_e32 v116, v116, v31, vcc
	;; [unrolled: 2-line block ×22, first 2 shown]
	v_cmp_eq_u32_e32 vcc, 23, v0
	ds_read_b32 v117, v115
	v_cndmask_b32_e32 v116, v116, v52, vcc
	v_cmp_eq_u32_e32 vcc, 24, v0
	v_cndmask_b32_e32 v116, v116, v53, vcc
	v_cmp_eq_u32_e32 vcc, 25, v0
	;; [unrolled: 2-line block ×3, first 2 shown]
	v_cndmask_b32_e32 v116, v116, v55, vcc
	s_waitcnt lgkmcnt(0)
	v_mul_f32_e32 v116, v116, v117
	s_cbranch_execz .LBB26_277
	s_branch .LBB26_278
.LBB26_276:
                                        ; implicit-def: $vgpr116
.LBB26_277:
	ds_read_b32 v116, v115
.LBB26_278:
	s_and_saveexec_b64 s[6:7], s[0:1]
	s_cbranch_execz .LBB26_288
; %bb.279:
	v_add_u32_e32 v117, -9, v0
	v_cmp_lt_u32_e32 vcc, 6, v117
	v_mov_b32_e32 v117, 8
	s_and_saveexec_b64 s[0:1], vcc
	s_cbranch_execz .LBB26_283
; %bb.280:
	v_and_b32_e32 v117, 24, v0
	v_sub_u32_e32 v118, 0, v117
	s_mov_b64 s[8:9], 15
	s_movk_i32 s12, 0x90
	s_mov_b64 s[10:11], 0
.LBB26_281:                             ; =>This Inner Loop Header: Depth=1
	s_add_i32 s13, s8, -7
	v_mov_b32_e32 v117, s12
	s_add_i32 s14, s8, -6
	s_set_gpr_idx_on s13, gpr_idx(SRC0)
	v_mov_b32_e32 v127, v29
	s_set_gpr_idx_off
	s_add_i32 s15, s8, -5
	ds_read_b128 v[119:122], v117
	ds_read_b128 v[123:126], v117 offset:16
	s_set_gpr_idx_on s14, gpr_idx(SRC0)
	v_mov_b32_e32 v117, v29
	s_set_gpr_idx_off
	s_add_i32 s16, s8, -4
	s_set_gpr_idx_on s15, gpr_idx(SRC0)
	v_mov_b32_e32 v128, v29
	s_set_gpr_idx_off
	s_add_i32 s17, s8, -3
	s_set_gpr_idx_on s16, gpr_idx(SRC0)
	v_mov_b32_e32 v129, v29
	s_set_gpr_idx_off
	s_add_i32 s18, s8, -2
	s_set_gpr_idx_on s17, gpr_idx(SRC0)
	v_mov_b32_e32 v130, v29
	s_set_gpr_idx_off
	s_add_i32 s19, s8, -1
	s_waitcnt lgkmcnt(1)
	v_fmac_f32_e32 v116, v127, v119
	s_set_gpr_idx_on s18, gpr_idx(SRC0)
	v_mov_b32_e32 v119, v29
	s_set_gpr_idx_off
	v_fmac_f32_e32 v116, v117, v120
	s_set_gpr_idx_on s19, gpr_idx(SRC0)
	v_mov_b32_e32 v120, v29
	s_set_gpr_idx_off
	;; [unrolled: 4-line block ×3, first 2 shown]
	v_fmac_f32_e32 v116, v129, v122
	s_add_u32 s8, s8, 8
	s_waitcnt lgkmcnt(0)
	v_fmac_f32_e32 v116, v130, v123
	v_add_u32_e32 v117, s8, v118
	v_fmac_f32_e32 v116, v119, v124
	s_addc_u32 s9, s9, 0
	s_add_i32 s12, s12, 32
	s_add_i32 s13, s8, -7
	v_cmp_eq_u32_e32 vcc, 7, v117
	v_fmac_f32_e32 v116, v120, v125
	v_mov_b32_e32 v117, s13
	s_or_b64 s[10:11], vcc, s[10:11]
	v_fmac_f32_e32 v116, v121, v126
	s_andn2_b64 exec, exec, s[10:11]
	s_cbranch_execnz .LBB26_281
; %bb.282:
	s_or_b64 exec, exec, s[10:11]
.LBB26_283:
	s_or_b64 exec, exec, s[0:1]
	v_and_b32_e32 v56, 7, v0
	v_cmp_ne_u32_e32 vcc, 0, v56
	s_and_saveexec_b64 s[8:9], vcc
	s_cbranch_execz .LBB26_287
; %bb.284:
	v_mov_b32_e32 v57, 0x70
	v_lshl_add_u32 v57, v117, 2, v57
	v_mov_b32_e32 v58, 0
	s_mov_b64 s[10:11], 0
.LBB26_285:                             ; =>This Inner Loop Header: Depth=1
	v_cmp_eq_u32_e32 vcc, 1, v117
	v_cndmask_b32_e32 v59, v29, v30, vcc
	v_add_u32_e32 v56, -1, v56
	v_cmp_eq_u32_e32 vcc, 2, v117
	v_cndmask_b32_e32 v59, v59, v31, vcc
	v_cmp_eq_u32_e32 vcc, 0, v56
	v_cmp_eq_u32_e64 s[0:1], 3, v117
	v_cndmask_b32_e64 v59, v59, v32, s[0:1]
	s_or_b64 s[10:11], vcc, s[10:11]
	v_cmp_eq_u32_e32 vcc, 4, v117
	v_cndmask_b32_e32 v59, v59, v33, vcc
	v_cmp_eq_u32_e32 vcc, 5, v117
	v_cndmask_b32_e32 v59, v59, v34, vcc
	;; [unrolled: 2-line block ×18, first 2 shown]
	v_cmp_eq_u32_e32 vcc, 22, v117
	ds_read_b32 v60, v57
	v_cndmask_b32_e32 v59, v59, v51, vcc
	v_cmp_eq_u32_e32 vcc, 23, v117
	v_cndmask_b32_e32 v59, v59, v52, vcc
	v_cmp_eq_u32_e32 vcc, 24, v117
	;; [unrolled: 2-line block ×4, first 2 shown]
	v_add_co_u32_e64 v117, s[0:1], 1, v117
	v_cndmask_b32_e32 v59, v59, v55, vcc
	v_add_u32_e32 v57, 4, v57
	v_addc_co_u32_e64 v58, s[0:1], 0, v58, s[0:1]
	s_waitcnt lgkmcnt(0)
	v_fmac_f32_e32 v116, v59, v60
	s_andn2_b64 exec, exec, s[10:11]
	s_cbranch_execnz .LBB26_285
; %bb.286:
	s_or_b64 exec, exec, s[10:11]
.LBB26_287:
	s_or_b64 exec, exec, s[8:9]
.LBB26_288:
	s_or_b64 exec, exec, s[6:7]
	v_mov_b32_e32 v36, 0
	ds_read_b32 v36, v36 offset:28
	s_waitcnt lgkmcnt(0)
	v_mul_f32_e32 v36, v116, v36
.LBB26_289:
	s_or_b64 exec, exec, s[4:5]
	v_cmp_lt_u32_e64 s[0:1], 6, v0
	ds_write_b32 v115, v35
	s_waitcnt lgkmcnt(0)
	; wave barrier
	s_and_saveexec_b64 s[4:5], s[0:1]
	s_cbranch_execz .LBB26_305
; %bb.290:
	s_andn2_b64 vcc, exec, s[58:59]
	s_cbranch_vccnz .LBB26_292
; %bb.291:
	v_cmp_eq_u32_e32 vcc, 1, v0
	v_cndmask_b32_e32 v116, v29, v30, vcc
	v_cmp_eq_u32_e32 vcc, 2, v0
	v_cndmask_b32_e32 v116, v116, v31, vcc
	;; [unrolled: 2-line block ×22, first 2 shown]
	v_cmp_eq_u32_e32 vcc, 23, v0
	ds_read_b32 v117, v115
	v_cndmask_b32_e32 v116, v116, v52, vcc
	v_cmp_eq_u32_e32 vcc, 24, v0
	v_cndmask_b32_e32 v116, v116, v53, vcc
	v_cmp_eq_u32_e32 vcc, 25, v0
	;; [unrolled: 2-line block ×3, first 2 shown]
	v_cndmask_b32_e32 v116, v116, v55, vcc
	s_waitcnt lgkmcnt(0)
	v_mul_f32_e32 v116, v116, v117
	s_cbranch_execz .LBB26_293
	s_branch .LBB26_294
.LBB26_292:
                                        ; implicit-def: $vgpr116
.LBB26_293:
	ds_read_b32 v116, v115
.LBB26_294:
	s_and_saveexec_b64 s[6:7], s[2:3]
	s_cbranch_execz .LBB26_304
; %bb.295:
	v_add_u32_e32 v117, -8, v0
	v_add_u32_e32 v118, -7, v0
	v_cmp_lt_u32_e32 vcc, 6, v117
	v_mov_b32_e32 v117, 7
	s_and_saveexec_b64 s[2:3], vcc
	s_cbranch_execz .LBB26_299
; %bb.296:
	v_and_b32_e32 v117, -8, v118
	v_sub_u32_e32 v119, 0, v117
	s_mov_b64 s[8:9], 14
	s_movk_i32 s12, 0x8c
	s_mov_b64 s[10:11], 0
.LBB26_297:                             ; =>This Inner Loop Header: Depth=1
	s_add_i32 s13, s8, -7
	v_mov_b32_e32 v117, s12
	s_add_i32 s14, s8, -6
	s_set_gpr_idx_on s13, gpr_idx(SRC0)
	v_mov_b32_e32 v126, v29
	s_set_gpr_idx_off
	ds_read2_b32 v[120:121], v117 offset1:1
	s_add_i32 s15, s8, -5
	s_set_gpr_idx_on s14, gpr_idx(SRC0)
	v_mov_b32_e32 v127, v29
	s_set_gpr_idx_off
	s_add_i32 s16, s8, -4
	s_set_gpr_idx_on s15, gpr_idx(SRC0)
	v_mov_b32_e32 v128, v29
	s_set_gpr_idx_off
	ds_read2_b32 v[122:123], v117 offset0:2 offset1:3
	s_add_i32 s17, s8, -3
	s_set_gpr_idx_on s16, gpr_idx(SRC0)
	v_mov_b32_e32 v129, v29
	s_set_gpr_idx_off
	s_add_i32 s18, s8, -2
	s_set_gpr_idx_on s17, gpr_idx(SRC0)
	v_mov_b32_e32 v130, v29
	s_set_gpr_idx_off
	ds_read2_b32 v[124:125], v117 offset0:4 offset1:5
	s_add_i32 s19, s8, -1
	s_waitcnt lgkmcnt(2)
	v_fmac_f32_e32 v116, v126, v120
	s_set_gpr_idx_on s18, gpr_idx(SRC0)
	v_mov_b32_e32 v126, v29
	s_set_gpr_idx_off
	v_fmac_f32_e32 v116, v127, v121
	s_set_gpr_idx_on s19, gpr_idx(SRC0)
	v_mov_b32_e32 v127, v29
	s_set_gpr_idx_off
	ds_read2_b32 v[120:121], v117 offset0:6 offset1:7
	s_waitcnt lgkmcnt(2)
	v_fmac_f32_e32 v116, v128, v122
	s_set_gpr_idx_on s8, gpr_idx(SRC0)
	v_mov_b32_e32 v122, v29
	s_set_gpr_idx_off
	v_fmac_f32_e32 v116, v129, v123
	s_add_u32 s8, s8, 8
	s_waitcnt lgkmcnt(1)
	v_fmac_f32_e32 v116, v130, v124
	v_add_u32_e32 v117, s8, v119
	v_fmac_f32_e32 v116, v126, v125
	s_addc_u32 s9, s9, 0
	s_add_i32 s12, s12, 32
	s_add_i32 s13, s8, -7
	v_cmp_eq_u32_e32 vcc, 14, v117
	s_waitcnt lgkmcnt(0)
	v_fmac_f32_e32 v116, v127, v120
	v_mov_b32_e32 v117, s13
	s_or_b64 s[10:11], vcc, s[10:11]
	v_fmac_f32_e32 v116, v122, v121
	s_andn2_b64 exec, exec, s[10:11]
	s_cbranch_execnz .LBB26_297
; %bb.298:
	s_or_b64 exec, exec, s[10:11]
.LBB26_299:
	s_or_b64 exec, exec, s[2:3]
	v_and_b32_e32 v56, 7, v118
	v_cmp_ne_u32_e32 vcc, 0, v56
	s_and_saveexec_b64 s[8:9], vcc
	s_cbranch_execz .LBB26_303
; %bb.300:
	v_mov_b32_e32 v57, 0x70
	v_lshl_add_u32 v57, v117, 2, v57
	v_mov_b32_e32 v58, 0
	s_mov_b64 s[10:11], 0
.LBB26_301:                             ; =>This Inner Loop Header: Depth=1
	v_cmp_eq_u32_e32 vcc, 1, v117
	v_cndmask_b32_e32 v59, v29, v30, vcc
	v_add_u32_e32 v56, -1, v56
	v_cmp_eq_u32_e32 vcc, 2, v117
	v_cndmask_b32_e32 v59, v59, v31, vcc
	v_cmp_eq_u32_e32 vcc, 0, v56
	v_cmp_eq_u32_e64 s[2:3], 3, v117
	v_cndmask_b32_e64 v59, v59, v32, s[2:3]
	s_or_b64 s[10:11], vcc, s[10:11]
	v_cmp_eq_u32_e32 vcc, 4, v117
	v_cndmask_b32_e32 v59, v59, v33, vcc
	v_cmp_eq_u32_e32 vcc, 5, v117
	v_cndmask_b32_e32 v59, v59, v34, vcc
	;; [unrolled: 2-line block ×18, first 2 shown]
	v_cmp_eq_u32_e32 vcc, 22, v117
	ds_read_b32 v60, v57
	v_cndmask_b32_e32 v59, v59, v51, vcc
	v_cmp_eq_u32_e32 vcc, 23, v117
	v_cndmask_b32_e32 v59, v59, v52, vcc
	v_cmp_eq_u32_e32 vcc, 24, v117
	;; [unrolled: 2-line block ×4, first 2 shown]
	v_add_co_u32_e64 v117, s[2:3], 1, v117
	v_cndmask_b32_e32 v59, v59, v55, vcc
	v_add_u32_e32 v57, 4, v57
	v_addc_co_u32_e64 v58, s[2:3], 0, v58, s[2:3]
	s_waitcnt lgkmcnt(0)
	v_fmac_f32_e32 v116, v59, v60
	s_andn2_b64 exec, exec, s[10:11]
	s_cbranch_execnz .LBB26_301
; %bb.302:
	s_or_b64 exec, exec, s[10:11]
.LBB26_303:
	s_or_b64 exec, exec, s[8:9]
.LBB26_304:
	s_or_b64 exec, exec, s[6:7]
	v_mov_b32_e32 v35, 0
	ds_read_b32 v35, v35 offset:24
	s_waitcnt lgkmcnt(0)
	v_mul_f32_e32 v35, v116, v35
.LBB26_305:
	s_or_b64 exec, exec, s[4:5]
	v_cmp_lt_u32_e64 s[2:3], 5, v0
	ds_write_b32 v115, v34
	s_waitcnt lgkmcnt(0)
	; wave barrier
	s_and_saveexec_b64 s[4:5], s[2:3]
	s_cbranch_execz .LBB26_321
; %bb.306:
	s_andn2_b64 vcc, exec, s[58:59]
	s_cbranch_vccnz .LBB26_308
; %bb.307:
	v_cmp_eq_u32_e32 vcc, 1, v0
	v_cndmask_b32_e32 v116, v29, v30, vcc
	v_cmp_eq_u32_e32 vcc, 2, v0
	v_cndmask_b32_e32 v116, v116, v31, vcc
	;; [unrolled: 2-line block ×22, first 2 shown]
	v_cmp_eq_u32_e32 vcc, 23, v0
	ds_read_b32 v117, v115
	v_cndmask_b32_e32 v116, v116, v52, vcc
	v_cmp_eq_u32_e32 vcc, 24, v0
	v_cndmask_b32_e32 v116, v116, v53, vcc
	v_cmp_eq_u32_e32 vcc, 25, v0
	v_cndmask_b32_e32 v116, v116, v54, vcc
	v_cmp_eq_u32_e32 vcc, 26, v0
	v_cndmask_b32_e32 v116, v116, v55, vcc
	s_waitcnt lgkmcnt(0)
	v_mul_f32_e32 v116, v116, v117
	s_cbranch_execz .LBB26_309
	s_branch .LBB26_310
.LBB26_308:
                                        ; implicit-def: $vgpr116
.LBB26_309:
	ds_read_b32 v116, v115
.LBB26_310:
	s_and_saveexec_b64 s[6:7], s[0:1]
	s_cbranch_execz .LBB26_320
; %bb.311:
	v_add_u32_e32 v119, -7, v0
	v_add_u32_e32 v118, -6, v0
	v_mov_b32_e32 v117, 6
	v_cmp_lt_u32_e32 vcc, 6, v119
	s_and_saveexec_b64 s[0:1], vcc
	s_cbranch_execz .LBB26_315
; %bb.312:
	v_and_b32_e32 v117, -8, v118
	v_sub_u32_e32 v119, 0, v117
	s_mov_b64 s[8:9], 13
	s_movk_i32 s12, 0x88
	s_mov_b64 s[10:11], 0
.LBB26_313:                             ; =>This Inner Loop Header: Depth=1
	s_add_i32 s13, s8, -7
	v_mov_b32_e32 v117, s12
	s_add_i32 s14, s8, -6
	s_set_gpr_idx_on s13, gpr_idx(SRC0)
	v_mov_b32_e32 v128, v29
	s_set_gpr_idx_off
	ds_read2_b64 v[120:123], v117 offset1:1
	s_add_i32 s15, s8, -5
	s_set_gpr_idx_on s14, gpr_idx(SRC0)
	v_mov_b32_e32 v129, v29
	s_set_gpr_idx_off
	s_add_i32 s16, s8, -4
	s_set_gpr_idx_on s15, gpr_idx(SRC0)
	v_mov_b32_e32 v130, v29
	s_set_gpr_idx_off
	;; [unrolled: 4-line block ×4, first 2 shown]
	ds_read2_b64 v[124:127], v117 offset0:2 offset1:3
	s_add_i32 s19, s8, -1
	s_waitcnt lgkmcnt(1)
	v_fmac_f32_e32 v116, v128, v120
	s_set_gpr_idx_on s18, gpr_idx(SRC0)
	v_mov_b32_e32 v120, v29
	s_set_gpr_idx_off
	v_fmac_f32_e32 v116, v129, v121
	s_set_gpr_idx_on s19, gpr_idx(SRC0)
	v_mov_b32_e32 v121, v29
	s_set_gpr_idx_off
	;; [unrolled: 4-line block ×3, first 2 shown]
	v_fmac_f32_e32 v116, v131, v123
	s_add_u32 s8, s8, 8
	s_waitcnt lgkmcnt(0)
	v_fmac_f32_e32 v116, v132, v124
	v_add_u32_e32 v117, s8, v119
	v_fmac_f32_e32 v116, v120, v125
	s_addc_u32 s9, s9, 0
	s_add_i32 s12, s12, 32
	s_add_i32 s13, s8, -7
	v_cmp_eq_u32_e32 vcc, 13, v117
	v_fmac_f32_e32 v116, v121, v126
	v_mov_b32_e32 v117, s13
	s_or_b64 s[10:11], vcc, s[10:11]
	v_fmac_f32_e32 v116, v122, v127
	s_andn2_b64 exec, exec, s[10:11]
	s_cbranch_execnz .LBB26_313
; %bb.314:
	s_or_b64 exec, exec, s[10:11]
.LBB26_315:
	s_or_b64 exec, exec, s[0:1]
	v_and_b32_e32 v56, 7, v118
	v_cmp_ne_u32_e32 vcc, 0, v56
	s_and_saveexec_b64 s[8:9], vcc
	s_cbranch_execz .LBB26_319
; %bb.316:
	v_mov_b32_e32 v57, 0x70
	v_lshl_add_u32 v57, v117, 2, v57
	v_mov_b32_e32 v58, 0
	s_mov_b64 s[10:11], 0
.LBB26_317:                             ; =>This Inner Loop Header: Depth=1
	v_cmp_eq_u32_e32 vcc, 1, v117
	v_cndmask_b32_e32 v59, v29, v30, vcc
	v_add_u32_e32 v56, -1, v56
	v_cmp_eq_u32_e32 vcc, 2, v117
	v_cndmask_b32_e32 v59, v59, v31, vcc
	v_cmp_eq_u32_e32 vcc, 0, v56
	v_cmp_eq_u32_e64 s[0:1], 3, v117
	v_cndmask_b32_e64 v59, v59, v32, s[0:1]
	s_or_b64 s[10:11], vcc, s[10:11]
	v_cmp_eq_u32_e32 vcc, 4, v117
	v_cndmask_b32_e32 v59, v59, v33, vcc
	v_cmp_eq_u32_e32 vcc, 5, v117
	v_cndmask_b32_e32 v59, v59, v34, vcc
	;; [unrolled: 2-line block ×18, first 2 shown]
	v_cmp_eq_u32_e32 vcc, 22, v117
	ds_read_b32 v60, v57
	v_cndmask_b32_e32 v59, v59, v51, vcc
	v_cmp_eq_u32_e32 vcc, 23, v117
	v_cndmask_b32_e32 v59, v59, v52, vcc
	v_cmp_eq_u32_e32 vcc, 24, v117
	;; [unrolled: 2-line block ×4, first 2 shown]
	v_add_co_u32_e64 v117, s[0:1], 1, v117
	v_cndmask_b32_e32 v59, v59, v55, vcc
	v_add_u32_e32 v57, 4, v57
	v_addc_co_u32_e64 v58, s[0:1], 0, v58, s[0:1]
	s_waitcnt lgkmcnt(0)
	v_fmac_f32_e32 v116, v59, v60
	s_andn2_b64 exec, exec, s[10:11]
	s_cbranch_execnz .LBB26_317
; %bb.318:
	s_or_b64 exec, exec, s[10:11]
.LBB26_319:
	s_or_b64 exec, exec, s[8:9]
.LBB26_320:
	s_or_b64 exec, exec, s[6:7]
	v_mov_b32_e32 v34, 0
	ds_read_b32 v34, v34 offset:20
	s_waitcnt lgkmcnt(0)
	v_mul_f32_e32 v34, v116, v34
.LBB26_321:
	s_or_b64 exec, exec, s[4:5]
	v_cmp_lt_u32_e64 s[0:1], 4, v0
	ds_write_b32 v115, v33
	s_waitcnt lgkmcnt(0)
	; wave barrier
	s_and_saveexec_b64 s[4:5], s[0:1]
	s_cbranch_execz .LBB26_337
; %bb.322:
	s_andn2_b64 vcc, exec, s[58:59]
	s_cbranch_vccnz .LBB26_324
; %bb.323:
	v_cmp_eq_u32_e32 vcc, 1, v0
	v_cndmask_b32_e32 v116, v29, v30, vcc
	v_cmp_eq_u32_e32 vcc, 2, v0
	v_cndmask_b32_e32 v116, v116, v31, vcc
	;; [unrolled: 2-line block ×22, first 2 shown]
	v_cmp_eq_u32_e32 vcc, 23, v0
	ds_read_b32 v117, v115
	v_cndmask_b32_e32 v116, v116, v52, vcc
	v_cmp_eq_u32_e32 vcc, 24, v0
	v_cndmask_b32_e32 v116, v116, v53, vcc
	v_cmp_eq_u32_e32 vcc, 25, v0
	;; [unrolled: 2-line block ×3, first 2 shown]
	v_cndmask_b32_e32 v116, v116, v55, vcc
	s_waitcnt lgkmcnt(0)
	v_mul_f32_e32 v116, v116, v117
	s_cbranch_execz .LBB26_325
	s_branch .LBB26_326
.LBB26_324:
                                        ; implicit-def: $vgpr116
.LBB26_325:
	ds_read_b32 v116, v115
.LBB26_326:
	s_and_saveexec_b64 s[6:7], s[2:3]
	s_cbranch_execz .LBB26_336
; %bb.327:
	v_add_u32_e32 v117, -6, v0
	v_add_u32_e32 v118, -5, v0
	v_cmp_lt_u32_e32 vcc, 6, v117
	v_mov_b32_e32 v117, 5
	s_and_saveexec_b64 s[2:3], vcc
	s_cbranch_execz .LBB26_331
; %bb.328:
	v_and_b32_e32 v117, -8, v118
	v_sub_u32_e32 v119, 0, v117
	s_mov_b64 s[8:9], 12
	s_movk_i32 s12, 0x84
	s_mov_b64 s[10:11], 0
.LBB26_329:                             ; =>This Inner Loop Header: Depth=1
	s_add_i32 s13, s8, -7
	v_mov_b32_e32 v117, s12
	s_add_i32 s14, s8, -6
	s_set_gpr_idx_on s13, gpr_idx(SRC0)
	v_mov_b32_e32 v126, v29
	s_set_gpr_idx_off
	ds_read2_b32 v[120:121], v117 offset1:1
	s_add_i32 s15, s8, -5
	s_set_gpr_idx_on s14, gpr_idx(SRC0)
	v_mov_b32_e32 v127, v29
	s_set_gpr_idx_off
	s_add_i32 s16, s8, -4
	s_set_gpr_idx_on s15, gpr_idx(SRC0)
	v_mov_b32_e32 v128, v29
	s_set_gpr_idx_off
	ds_read2_b32 v[122:123], v117 offset0:2 offset1:3
	s_add_i32 s17, s8, -3
	s_set_gpr_idx_on s16, gpr_idx(SRC0)
	v_mov_b32_e32 v129, v29
	s_set_gpr_idx_off
	s_add_i32 s18, s8, -2
	s_set_gpr_idx_on s17, gpr_idx(SRC0)
	v_mov_b32_e32 v130, v29
	s_set_gpr_idx_off
	ds_read2_b32 v[124:125], v117 offset0:4 offset1:5
	s_add_i32 s19, s8, -1
	s_waitcnt lgkmcnt(2)
	v_fmac_f32_e32 v116, v126, v120
	s_set_gpr_idx_on s18, gpr_idx(SRC0)
	v_mov_b32_e32 v126, v29
	s_set_gpr_idx_off
	v_fmac_f32_e32 v116, v127, v121
	s_set_gpr_idx_on s19, gpr_idx(SRC0)
	v_mov_b32_e32 v127, v29
	s_set_gpr_idx_off
	ds_read2_b32 v[120:121], v117 offset0:6 offset1:7
	s_waitcnt lgkmcnt(2)
	v_fmac_f32_e32 v116, v128, v122
	s_set_gpr_idx_on s8, gpr_idx(SRC0)
	v_mov_b32_e32 v122, v29
	s_set_gpr_idx_off
	v_fmac_f32_e32 v116, v129, v123
	s_add_u32 s8, s8, 8
	s_waitcnt lgkmcnt(1)
	v_fmac_f32_e32 v116, v130, v124
	v_add_u32_e32 v117, s8, v119
	v_fmac_f32_e32 v116, v126, v125
	s_addc_u32 s9, s9, 0
	s_add_i32 s12, s12, 32
	s_add_i32 s13, s8, -7
	v_cmp_eq_u32_e32 vcc, 12, v117
	s_waitcnt lgkmcnt(0)
	v_fmac_f32_e32 v116, v127, v120
	v_mov_b32_e32 v117, s13
	s_or_b64 s[10:11], vcc, s[10:11]
	v_fmac_f32_e32 v116, v122, v121
	s_andn2_b64 exec, exec, s[10:11]
	s_cbranch_execnz .LBB26_329
; %bb.330:
	s_or_b64 exec, exec, s[10:11]
.LBB26_331:
	s_or_b64 exec, exec, s[2:3]
	v_and_b32_e32 v56, 7, v118
	v_cmp_ne_u32_e32 vcc, 0, v56
	s_and_saveexec_b64 s[8:9], vcc
	s_cbranch_execz .LBB26_335
; %bb.332:
	v_mov_b32_e32 v57, 0x70
	v_lshl_add_u32 v57, v117, 2, v57
	v_mov_b32_e32 v58, 0
	s_mov_b64 s[10:11], 0
.LBB26_333:                             ; =>This Inner Loop Header: Depth=1
	v_cmp_eq_u32_e32 vcc, 1, v117
	v_cndmask_b32_e32 v59, v29, v30, vcc
	v_add_u32_e32 v56, -1, v56
	v_cmp_eq_u32_e32 vcc, 2, v117
	v_cndmask_b32_e32 v59, v59, v31, vcc
	v_cmp_eq_u32_e32 vcc, 0, v56
	v_cmp_eq_u32_e64 s[2:3], 3, v117
	v_cndmask_b32_e64 v59, v59, v32, s[2:3]
	s_or_b64 s[10:11], vcc, s[10:11]
	v_cmp_eq_u32_e32 vcc, 4, v117
	v_cndmask_b32_e32 v59, v59, v33, vcc
	v_cmp_eq_u32_e32 vcc, 5, v117
	v_cndmask_b32_e32 v59, v59, v34, vcc
	;; [unrolled: 2-line block ×18, first 2 shown]
	v_cmp_eq_u32_e32 vcc, 22, v117
	ds_read_b32 v60, v57
	v_cndmask_b32_e32 v59, v59, v51, vcc
	v_cmp_eq_u32_e32 vcc, 23, v117
	v_cndmask_b32_e32 v59, v59, v52, vcc
	v_cmp_eq_u32_e32 vcc, 24, v117
	;; [unrolled: 2-line block ×4, first 2 shown]
	v_add_co_u32_e64 v117, s[2:3], 1, v117
	v_cndmask_b32_e32 v59, v59, v55, vcc
	v_add_u32_e32 v57, 4, v57
	v_addc_co_u32_e64 v58, s[2:3], 0, v58, s[2:3]
	s_waitcnt lgkmcnt(0)
	v_fmac_f32_e32 v116, v59, v60
	s_andn2_b64 exec, exec, s[10:11]
	s_cbranch_execnz .LBB26_333
; %bb.334:
	s_or_b64 exec, exec, s[10:11]
.LBB26_335:
	s_or_b64 exec, exec, s[8:9]
.LBB26_336:
	s_or_b64 exec, exec, s[6:7]
	v_mov_b32_e32 v33, 0
	ds_read_b32 v33, v33 offset:16
	s_waitcnt lgkmcnt(0)
	v_mul_f32_e32 v33, v116, v33
.LBB26_337:
	s_or_b64 exec, exec, s[4:5]
	v_cmp_lt_u32_e64 s[2:3], 3, v0
	ds_write_b32 v115, v32
	s_waitcnt lgkmcnt(0)
	; wave barrier
	s_and_saveexec_b64 s[4:5], s[2:3]
	s_cbranch_execz .LBB26_353
; %bb.338:
	s_andn2_b64 vcc, exec, s[58:59]
	s_cbranch_vccnz .LBB26_340
; %bb.339:
	v_cmp_eq_u32_e32 vcc, 1, v0
	v_cndmask_b32_e32 v116, v29, v30, vcc
	v_cmp_eq_u32_e32 vcc, 2, v0
	v_cndmask_b32_e32 v116, v116, v31, vcc
	v_cmp_eq_u32_e32 vcc, 3, v0
	v_cndmask_b32_e32 v116, v116, v32, vcc
	v_cmp_eq_u32_e32 vcc, 4, v0
	v_cndmask_b32_e32 v116, v116, v33, vcc
	v_cmp_eq_u32_e32 vcc, 5, v0
	v_cndmask_b32_e32 v116, v116, v34, vcc
	v_cmp_eq_u32_e32 vcc, 6, v0
	v_cndmask_b32_e32 v116, v116, v35, vcc
	v_cmp_eq_u32_e32 vcc, 7, v0
	v_cndmask_b32_e32 v116, v116, v36, vcc
	v_cmp_eq_u32_e32 vcc, 8, v0
	v_cndmask_b32_e32 v116, v116, v37, vcc
	v_cmp_eq_u32_e32 vcc, 9, v0
	v_cndmask_b32_e32 v116, v116, v38, vcc
	v_cmp_eq_u32_e32 vcc, 10, v0
	v_cndmask_b32_e32 v116, v116, v39, vcc
	v_cmp_eq_u32_e32 vcc, 11, v0
	v_cndmask_b32_e32 v116, v116, v40, vcc
	v_cmp_eq_u32_e32 vcc, 12, v0
	v_cndmask_b32_e32 v116, v116, v41, vcc
	v_cmp_eq_u32_e32 vcc, 13, v0
	v_cndmask_b32_e32 v116, v116, v42, vcc
	v_cmp_eq_u32_e32 vcc, 14, v0
	v_cndmask_b32_e32 v116, v116, v43, vcc
	v_cmp_eq_u32_e32 vcc, 15, v0
	v_cndmask_b32_e32 v116, v116, v44, vcc
	v_cmp_eq_u32_e32 vcc, 16, v0
	v_cndmask_b32_e32 v116, v116, v45, vcc
	v_cmp_eq_u32_e32 vcc, 17, v0
	v_cndmask_b32_e32 v116, v116, v46, vcc
	v_cmp_eq_u32_e32 vcc, 18, v0
	v_cndmask_b32_e32 v116, v116, v47, vcc
	v_cmp_eq_u32_e32 vcc, 19, v0
	v_cndmask_b32_e32 v116, v116, v48, vcc
	v_cmp_eq_u32_e32 vcc, 20, v0
	v_cndmask_b32_e32 v116, v116, v49, vcc
	v_cmp_eq_u32_e32 vcc, 21, v0
	v_cndmask_b32_e32 v116, v116, v50, vcc
	v_cmp_eq_u32_e32 vcc, 22, v0
	v_cndmask_b32_e32 v116, v116, v51, vcc
	v_cmp_eq_u32_e32 vcc, 23, v0
	ds_read_b32 v117, v115
	v_cndmask_b32_e32 v116, v116, v52, vcc
	v_cmp_eq_u32_e32 vcc, 24, v0
	v_cndmask_b32_e32 v116, v116, v53, vcc
	v_cmp_eq_u32_e32 vcc, 25, v0
	;; [unrolled: 2-line block ×3, first 2 shown]
	v_cndmask_b32_e32 v116, v116, v55, vcc
	s_waitcnt lgkmcnt(0)
	v_mul_f32_e32 v116, v116, v117
	s_cbranch_execz .LBB26_341
	s_branch .LBB26_342
.LBB26_340:
                                        ; implicit-def: $vgpr116
.LBB26_341:
	ds_read_b32 v116, v115
.LBB26_342:
	s_and_saveexec_b64 s[6:7], s[0:1]
	s_cbranch_execz .LBB26_352
; %bb.343:
	v_add_u32_e32 v117, -5, v0
	v_add_u32_e32 v118, -4, v0
	v_cmp_lt_u32_e32 vcc, 6, v117
	v_mov_b32_e32 v117, 4
	s_and_saveexec_b64 s[0:1], vcc
	s_cbranch_execz .LBB26_347
; %bb.344:
	v_and_b32_e32 v117, -8, v118
	v_sub_u32_e32 v119, 0, v117
	s_mov_b64 s[8:9], 5
	s_movk_i32 s12, 0x80
	s_mov_b64 s[10:11], 0
.LBB26_345:                             ; =>This Inner Loop Header: Depth=1
	s_add_i32 s13, s8, -1
	v_mov_b32_e32 v117, s12
	s_set_gpr_idx_on s13, gpr_idx(SRC0)
	v_mov_b32_e32 v128, v29
	s_set_gpr_idx_off
	s_add_i32 s14, s8, 1
	ds_read_b128 v[120:123], v117
	ds_read_b128 v[124:127], v117 offset:16
	s_set_gpr_idx_on s8, gpr_idx(SRC0)
	v_mov_b32_e32 v129, v29
	s_set_gpr_idx_off
	s_add_i32 s15, s8, 2
	s_set_gpr_idx_on s14, gpr_idx(SRC0)
	v_mov_b32_e32 v130, v29
	s_set_gpr_idx_off
	s_add_i32 s16, s8, 3
	;; [unrolled: 4-line block ×4, first 2 shown]
	s_waitcnt lgkmcnt(1)
	v_fmac_f32_e32 v116, v128, v120
	s_set_gpr_idx_on s17, gpr_idx(SRC0)
	v_mov_b32_e32 v120, v29
	s_set_gpr_idx_off
	s_add_i32 s19, s8, 6
	v_fmac_f32_e32 v116, v129, v121
	s_set_gpr_idx_on s18, gpr_idx(SRC0)
	v_mov_b32_e32 v121, v29
	s_set_gpr_idx_off
	v_fmac_f32_e32 v116, v130, v122
	s_set_gpr_idx_on s19, gpr_idx(SRC0)
	v_mov_b32_e32 v122, v29
	s_set_gpr_idx_off
	v_fmac_f32_e32 v116, v131, v123
	s_add_u32 s8, s8, 8
	s_waitcnt lgkmcnt(0)
	v_fmac_f32_e32 v116, v132, v124
	v_add_u32_e32 v117, s8, v119
	v_fmac_f32_e32 v116, v120, v125
	s_addc_u32 s9, s9, 0
	s_add_i32 s12, s12, 32
	s_add_i32 s13, s8, -1
	v_cmp_eq_u32_e32 vcc, 5, v117
	v_fmac_f32_e32 v116, v121, v126
	v_mov_b32_e32 v117, s13
	s_or_b64 s[10:11], vcc, s[10:11]
	v_fmac_f32_e32 v116, v122, v127
	s_andn2_b64 exec, exec, s[10:11]
	s_cbranch_execnz .LBB26_345
; %bb.346:
	s_or_b64 exec, exec, s[10:11]
.LBB26_347:
	s_or_b64 exec, exec, s[0:1]
	v_and_b32_e32 v56, 7, v118
	v_cmp_ne_u32_e32 vcc, 0, v56
	s_and_saveexec_b64 s[8:9], vcc
	s_cbranch_execz .LBB26_351
; %bb.348:
	v_mov_b32_e32 v57, 0x70
	v_lshl_add_u32 v57, v117, 2, v57
	v_mov_b32_e32 v58, 0
	s_mov_b64 s[10:11], 0
.LBB26_349:                             ; =>This Inner Loop Header: Depth=1
	v_cmp_eq_u32_e32 vcc, 1, v117
	v_cndmask_b32_e32 v59, v29, v30, vcc
	v_add_u32_e32 v56, -1, v56
	v_cmp_eq_u32_e32 vcc, 2, v117
	v_cndmask_b32_e32 v59, v59, v31, vcc
	v_cmp_eq_u32_e32 vcc, 0, v56
	v_cmp_eq_u32_e64 s[0:1], 3, v117
	v_cndmask_b32_e64 v59, v59, v32, s[0:1]
	s_or_b64 s[10:11], vcc, s[10:11]
	v_cmp_eq_u32_e32 vcc, 4, v117
	v_cndmask_b32_e32 v59, v59, v33, vcc
	v_cmp_eq_u32_e32 vcc, 5, v117
	v_cndmask_b32_e32 v59, v59, v34, vcc
	;; [unrolled: 2-line block ×18, first 2 shown]
	v_cmp_eq_u32_e32 vcc, 22, v117
	ds_read_b32 v60, v57
	v_cndmask_b32_e32 v59, v59, v51, vcc
	v_cmp_eq_u32_e32 vcc, 23, v117
	v_cndmask_b32_e32 v59, v59, v52, vcc
	v_cmp_eq_u32_e32 vcc, 24, v117
	;; [unrolled: 2-line block ×4, first 2 shown]
	v_add_co_u32_e64 v117, s[0:1], 1, v117
	v_cndmask_b32_e32 v59, v59, v55, vcc
	v_add_u32_e32 v57, 4, v57
	v_addc_co_u32_e64 v58, s[0:1], 0, v58, s[0:1]
	s_waitcnt lgkmcnt(0)
	v_fmac_f32_e32 v116, v59, v60
	s_andn2_b64 exec, exec, s[10:11]
	s_cbranch_execnz .LBB26_349
; %bb.350:
	s_or_b64 exec, exec, s[10:11]
.LBB26_351:
	s_or_b64 exec, exec, s[8:9]
.LBB26_352:
	s_or_b64 exec, exec, s[6:7]
	v_mov_b32_e32 v32, 0
	ds_read_b32 v32, v32 offset:12
	s_waitcnt lgkmcnt(0)
	v_mul_f32_e32 v32, v116, v32
.LBB26_353:
	s_or_b64 exec, exec, s[4:5]
	v_cmp_lt_u32_e64 s[0:1], 2, v0
	ds_write_b32 v115, v31
	s_waitcnt lgkmcnt(0)
	; wave barrier
	s_and_saveexec_b64 s[4:5], s[0:1]
	s_cbranch_execz .LBB26_369
; %bb.354:
	s_andn2_b64 vcc, exec, s[58:59]
	s_cbranch_vccnz .LBB26_356
; %bb.355:
	v_cmp_eq_u32_e32 vcc, 1, v0
	v_cndmask_b32_e32 v116, v29, v30, vcc
	v_cmp_eq_u32_e32 vcc, 2, v0
	v_cndmask_b32_e32 v116, v116, v31, vcc
	;; [unrolled: 2-line block ×22, first 2 shown]
	v_cmp_eq_u32_e32 vcc, 23, v0
	ds_read_b32 v117, v115
	v_cndmask_b32_e32 v116, v116, v52, vcc
	v_cmp_eq_u32_e32 vcc, 24, v0
	v_cndmask_b32_e32 v116, v116, v53, vcc
	v_cmp_eq_u32_e32 vcc, 25, v0
	;; [unrolled: 2-line block ×3, first 2 shown]
	v_cndmask_b32_e32 v116, v116, v55, vcc
	s_waitcnt lgkmcnt(0)
	v_mul_f32_e32 v116, v116, v117
	s_cbranch_execz .LBB26_357
	s_branch .LBB26_358
.LBB26_356:
                                        ; implicit-def: $vgpr116
.LBB26_357:
	ds_read_b32 v116, v115
.LBB26_358:
	s_and_saveexec_b64 s[6:7], s[2:3]
	s_cbranch_execz .LBB26_368
; %bb.359:
	v_add_u32_e32 v117, -4, v0
	v_add_u32_e32 v118, -3, v0
	v_cmp_lt_u32_e32 vcc, 6, v117
	v_mov_b32_e32 v117, 3
	s_and_saveexec_b64 s[2:3], vcc
	s_cbranch_execz .LBB26_363
; %bb.360:
	v_and_b32_e32 v117, -8, v118
	v_sub_u32_e32 v119, 0, v117
	s_mov_b64 s[8:9], 10
	s_movk_i32 s12, 0x7c
	s_mov_b64 s[10:11], 0
.LBB26_361:                             ; =>This Inner Loop Header: Depth=1
	s_add_i32 s13, s8, -7
	v_mov_b32_e32 v117, s12
	s_add_i32 s14, s8, -6
	s_set_gpr_idx_on s13, gpr_idx(SRC0)
	v_mov_b32_e32 v126, v29
	s_set_gpr_idx_off
	ds_read2_b32 v[120:121], v117 offset1:1
	s_add_i32 s15, s8, -5
	s_set_gpr_idx_on s14, gpr_idx(SRC0)
	v_mov_b32_e32 v127, v29
	s_set_gpr_idx_off
	s_add_i32 s16, s8, -4
	s_set_gpr_idx_on s15, gpr_idx(SRC0)
	v_mov_b32_e32 v128, v29
	s_set_gpr_idx_off
	ds_read2_b32 v[122:123], v117 offset0:2 offset1:3
	s_add_i32 s17, s8, -3
	s_set_gpr_idx_on s16, gpr_idx(SRC0)
	v_mov_b32_e32 v129, v29
	s_set_gpr_idx_off
	s_add_i32 s18, s8, -2
	s_set_gpr_idx_on s17, gpr_idx(SRC0)
	v_mov_b32_e32 v130, v29
	s_set_gpr_idx_off
	ds_read2_b32 v[124:125], v117 offset0:4 offset1:5
	s_add_i32 s19, s8, -1
	s_waitcnt lgkmcnt(2)
	v_fmac_f32_e32 v116, v126, v120
	s_set_gpr_idx_on s18, gpr_idx(SRC0)
	v_mov_b32_e32 v126, v29
	s_set_gpr_idx_off
	v_fmac_f32_e32 v116, v127, v121
	s_set_gpr_idx_on s19, gpr_idx(SRC0)
	v_mov_b32_e32 v127, v29
	s_set_gpr_idx_off
	ds_read2_b32 v[120:121], v117 offset0:6 offset1:7
	s_waitcnt lgkmcnt(2)
	v_fmac_f32_e32 v116, v128, v122
	s_set_gpr_idx_on s8, gpr_idx(SRC0)
	v_mov_b32_e32 v122, v29
	s_set_gpr_idx_off
	v_fmac_f32_e32 v116, v129, v123
	s_add_u32 s8, s8, 8
	s_waitcnt lgkmcnt(1)
	v_fmac_f32_e32 v116, v130, v124
	v_add_u32_e32 v117, s8, v119
	v_fmac_f32_e32 v116, v126, v125
	s_addc_u32 s9, s9, 0
	s_add_i32 s12, s12, 32
	s_add_i32 s13, s8, -7
	v_cmp_eq_u32_e32 vcc, 10, v117
	s_waitcnt lgkmcnt(0)
	v_fmac_f32_e32 v116, v127, v120
	v_mov_b32_e32 v117, s13
	s_or_b64 s[10:11], vcc, s[10:11]
	v_fmac_f32_e32 v116, v122, v121
	s_andn2_b64 exec, exec, s[10:11]
	s_cbranch_execnz .LBB26_361
; %bb.362:
	s_or_b64 exec, exec, s[10:11]
.LBB26_363:
	s_or_b64 exec, exec, s[2:3]
	v_and_b32_e32 v56, 7, v118
	v_cmp_ne_u32_e32 vcc, 0, v56
	s_and_saveexec_b64 s[8:9], vcc
	s_cbranch_execz .LBB26_367
; %bb.364:
	v_mov_b32_e32 v57, 0x70
	v_lshl_add_u32 v57, v117, 2, v57
	v_mov_b32_e32 v58, 0
	s_mov_b64 s[10:11], 0
.LBB26_365:                             ; =>This Inner Loop Header: Depth=1
	v_cmp_eq_u32_e32 vcc, 1, v117
	v_cndmask_b32_e32 v59, v29, v30, vcc
	v_add_u32_e32 v56, -1, v56
	v_cmp_eq_u32_e32 vcc, 2, v117
	v_cndmask_b32_e32 v59, v59, v31, vcc
	v_cmp_eq_u32_e32 vcc, 0, v56
	v_cmp_eq_u32_e64 s[2:3], 3, v117
	v_cndmask_b32_e64 v59, v59, v32, s[2:3]
	s_or_b64 s[10:11], vcc, s[10:11]
	v_cmp_eq_u32_e32 vcc, 4, v117
	v_cndmask_b32_e32 v59, v59, v33, vcc
	v_cmp_eq_u32_e32 vcc, 5, v117
	v_cndmask_b32_e32 v59, v59, v34, vcc
	v_cmp_eq_u32_e32 vcc, 6, v117
	v_cndmask_b32_e32 v59, v59, v35, vcc
	v_cmp_eq_u32_e32 vcc, 7, v117
	v_cndmask_b32_e32 v59, v59, v36, vcc
	v_cmp_eq_u32_e32 vcc, 8, v117
	v_cndmask_b32_e32 v59, v59, v37, vcc
	v_cmp_eq_u32_e32 vcc, 9, v117
	v_cndmask_b32_e32 v59, v59, v38, vcc
	v_cmp_eq_u32_e32 vcc, 10, v117
	v_cndmask_b32_e32 v59, v59, v39, vcc
	v_cmp_eq_u32_e32 vcc, 11, v117
	v_cndmask_b32_e32 v59, v59, v40, vcc
	v_cmp_eq_u32_e32 vcc, 12, v117
	v_cndmask_b32_e32 v59, v59, v41, vcc
	v_cmp_eq_u32_e32 vcc, 13, v117
	v_cndmask_b32_e32 v59, v59, v42, vcc
	v_cmp_eq_u32_e32 vcc, 14, v117
	v_cndmask_b32_e32 v59, v59, v43, vcc
	v_cmp_eq_u32_e32 vcc, 15, v117
	v_cndmask_b32_e32 v59, v59, v44, vcc
	v_cmp_eq_u32_e32 vcc, 16, v117
	v_cndmask_b32_e32 v59, v59, v45, vcc
	v_cmp_eq_u32_e32 vcc, 17, v117
	v_cndmask_b32_e32 v59, v59, v46, vcc
	v_cmp_eq_u32_e32 vcc, 18, v117
	v_cndmask_b32_e32 v59, v59, v47, vcc
	v_cmp_eq_u32_e32 vcc, 19, v117
	v_cndmask_b32_e32 v59, v59, v48, vcc
	v_cmp_eq_u32_e32 vcc, 20, v117
	v_cndmask_b32_e32 v59, v59, v49, vcc
	v_cmp_eq_u32_e32 vcc, 21, v117
	v_cndmask_b32_e32 v59, v59, v50, vcc
	v_cmp_eq_u32_e32 vcc, 22, v117
	ds_read_b32 v60, v57
	v_cndmask_b32_e32 v59, v59, v51, vcc
	v_cmp_eq_u32_e32 vcc, 23, v117
	v_cndmask_b32_e32 v59, v59, v52, vcc
	v_cmp_eq_u32_e32 vcc, 24, v117
	;; [unrolled: 2-line block ×4, first 2 shown]
	v_add_co_u32_e64 v117, s[2:3], 1, v117
	v_cndmask_b32_e32 v59, v59, v55, vcc
	v_add_u32_e32 v57, 4, v57
	v_addc_co_u32_e64 v58, s[2:3], 0, v58, s[2:3]
	s_waitcnt lgkmcnt(0)
	v_fmac_f32_e32 v116, v59, v60
	s_andn2_b64 exec, exec, s[10:11]
	s_cbranch_execnz .LBB26_365
; %bb.366:
	s_or_b64 exec, exec, s[10:11]
.LBB26_367:
	s_or_b64 exec, exec, s[8:9]
.LBB26_368:
	s_or_b64 exec, exec, s[6:7]
	v_mov_b32_e32 v31, 0
	ds_read_b32 v31, v31 offset:8
	s_waitcnt lgkmcnt(0)
	v_mul_f32_e32 v31, v116, v31
.LBB26_369:
	s_or_b64 exec, exec, s[4:5]
	v_cmp_lt_u32_e64 s[2:3], 1, v0
	ds_write_b32 v115, v30
	s_waitcnt lgkmcnt(0)
	; wave barrier
	s_and_saveexec_b64 s[4:5], s[2:3]
	s_cbranch_execz .LBB26_385
; %bb.370:
	s_andn2_b64 vcc, exec, s[58:59]
	s_cbranch_vccnz .LBB26_372
; %bb.371:
	v_cmp_eq_u32_e32 vcc, 1, v0
	v_cndmask_b32_e32 v116, v29, v30, vcc
	v_cmp_eq_u32_e32 vcc, 2, v0
	v_cndmask_b32_e32 v116, v116, v31, vcc
	;; [unrolled: 2-line block ×22, first 2 shown]
	v_cmp_eq_u32_e32 vcc, 23, v0
	ds_read_b32 v117, v115
	v_cndmask_b32_e32 v116, v116, v52, vcc
	v_cmp_eq_u32_e32 vcc, 24, v0
	v_cndmask_b32_e32 v116, v116, v53, vcc
	v_cmp_eq_u32_e32 vcc, 25, v0
	;; [unrolled: 2-line block ×3, first 2 shown]
	v_cndmask_b32_e32 v116, v116, v55, vcc
	s_waitcnt lgkmcnt(0)
	v_mul_f32_e32 v116, v116, v117
	s_cbranch_execz .LBB26_373
	s_branch .LBB26_374
.LBB26_372:
                                        ; implicit-def: $vgpr116
.LBB26_373:
	ds_read_b32 v116, v115
.LBB26_374:
	s_and_saveexec_b64 s[6:7], s[0:1]
	s_cbranch_execz .LBB26_384
; %bb.375:
	v_add_u32_e32 v117, -3, v0
	v_add_u32_e32 v118, -2, v0
	v_cmp_lt_u32_e32 vcc, 6, v117
	v_mov_b32_e32 v117, 2
	s_and_saveexec_b64 s[0:1], vcc
	s_cbranch_execz .LBB26_379
; %bb.376:
	v_and_b32_e32 v117, -8, v118
	v_sub_u32_e32 v119, 0, v117
	s_mov_b64 s[8:9], 9
	s_movk_i32 s12, 0x78
	s_mov_b64 s[10:11], 0
.LBB26_377:                             ; =>This Inner Loop Header: Depth=1
	s_add_i32 s13, s8, -7
	v_mov_b32_e32 v117, s12
	s_add_i32 s14, s8, -6
	s_set_gpr_idx_on s13, gpr_idx(SRC0)
	v_mov_b32_e32 v128, v29
	s_set_gpr_idx_off
	ds_read2_b64 v[120:123], v117 offset1:1
	s_add_i32 s15, s8, -5
	s_set_gpr_idx_on s14, gpr_idx(SRC0)
	v_mov_b32_e32 v129, v29
	s_set_gpr_idx_off
	s_add_i32 s16, s8, -4
	s_set_gpr_idx_on s15, gpr_idx(SRC0)
	v_mov_b32_e32 v130, v29
	s_set_gpr_idx_off
	;; [unrolled: 4-line block ×4, first 2 shown]
	ds_read2_b64 v[124:127], v117 offset0:2 offset1:3
	s_add_i32 s19, s8, -1
	s_waitcnt lgkmcnt(1)
	v_fmac_f32_e32 v116, v128, v120
	s_set_gpr_idx_on s18, gpr_idx(SRC0)
	v_mov_b32_e32 v120, v29
	s_set_gpr_idx_off
	v_fmac_f32_e32 v116, v129, v121
	s_set_gpr_idx_on s19, gpr_idx(SRC0)
	v_mov_b32_e32 v121, v29
	s_set_gpr_idx_off
	;; [unrolled: 4-line block ×3, first 2 shown]
	v_fmac_f32_e32 v116, v131, v123
	s_add_u32 s8, s8, 8
	s_waitcnt lgkmcnt(0)
	v_fmac_f32_e32 v116, v132, v124
	v_add_u32_e32 v117, s8, v119
	v_fmac_f32_e32 v116, v120, v125
	s_addc_u32 s9, s9, 0
	s_add_i32 s12, s12, 32
	s_add_i32 s13, s8, -7
	v_cmp_eq_u32_e32 vcc, 9, v117
	v_fmac_f32_e32 v116, v121, v126
	v_mov_b32_e32 v117, s13
	s_or_b64 s[10:11], vcc, s[10:11]
	v_fmac_f32_e32 v116, v122, v127
	s_andn2_b64 exec, exec, s[10:11]
	s_cbranch_execnz .LBB26_377
; %bb.378:
	s_or_b64 exec, exec, s[10:11]
.LBB26_379:
	s_or_b64 exec, exec, s[0:1]
	v_and_b32_e32 v56, 7, v118
	v_cmp_ne_u32_e32 vcc, 0, v56
	s_and_saveexec_b64 s[8:9], vcc
	s_cbranch_execz .LBB26_383
; %bb.380:
	v_mov_b32_e32 v57, 0x70
	v_lshl_add_u32 v57, v117, 2, v57
	v_mov_b32_e32 v58, 0
	s_mov_b64 s[10:11], 0
.LBB26_381:                             ; =>This Inner Loop Header: Depth=1
	v_cmp_eq_u32_e32 vcc, 1, v117
	v_cndmask_b32_e32 v59, v29, v30, vcc
	v_add_u32_e32 v56, -1, v56
	v_cmp_eq_u32_e32 vcc, 2, v117
	v_cndmask_b32_e32 v59, v59, v31, vcc
	v_cmp_eq_u32_e32 vcc, 0, v56
	v_cmp_eq_u32_e64 s[0:1], 3, v117
	v_cndmask_b32_e64 v59, v59, v32, s[0:1]
	s_or_b64 s[10:11], vcc, s[10:11]
	v_cmp_eq_u32_e32 vcc, 4, v117
	v_cndmask_b32_e32 v59, v59, v33, vcc
	v_cmp_eq_u32_e32 vcc, 5, v117
	v_cndmask_b32_e32 v59, v59, v34, vcc
	;; [unrolled: 2-line block ×18, first 2 shown]
	v_cmp_eq_u32_e32 vcc, 22, v117
	ds_read_b32 v60, v57
	v_cndmask_b32_e32 v59, v59, v51, vcc
	v_cmp_eq_u32_e32 vcc, 23, v117
	v_cndmask_b32_e32 v59, v59, v52, vcc
	v_cmp_eq_u32_e32 vcc, 24, v117
	;; [unrolled: 2-line block ×4, first 2 shown]
	v_add_co_u32_e64 v117, s[0:1], 1, v117
	v_cndmask_b32_e32 v59, v59, v55, vcc
	v_add_u32_e32 v57, 4, v57
	v_addc_co_u32_e64 v58, s[0:1], 0, v58, s[0:1]
	s_waitcnt lgkmcnt(0)
	v_fmac_f32_e32 v116, v59, v60
	s_andn2_b64 exec, exec, s[10:11]
	s_cbranch_execnz .LBB26_381
; %bb.382:
	s_or_b64 exec, exec, s[10:11]
.LBB26_383:
	s_or_b64 exec, exec, s[8:9]
.LBB26_384:
	s_or_b64 exec, exec, s[6:7]
	v_mov_b32_e32 v30, 0
	ds_read_b32 v30, v30 offset:4
	s_waitcnt lgkmcnt(0)
	v_mul_f32_e32 v30, v116, v30
.LBB26_385:
	s_or_b64 exec, exec, s[4:5]
	v_cmp_ne_u32_e32 vcc, 0, v0
	ds_write_b32 v115, v29
	s_waitcnt lgkmcnt(0)
	; wave barrier
	s_and_saveexec_b64 s[4:5], vcc
	s_cbranch_execz .LBB26_401
; %bb.386:
	s_andn2_b64 vcc, exec, s[58:59]
	s_cbranch_vccnz .LBB26_388
; %bb.387:
	v_cmp_eq_u32_e32 vcc, 1, v0
	v_cndmask_b32_e32 v116, v29, v30, vcc
	v_cmp_eq_u32_e32 vcc, 2, v0
	v_cndmask_b32_e32 v116, v116, v31, vcc
	;; [unrolled: 2-line block ×22, first 2 shown]
	v_cmp_eq_u32_e32 vcc, 23, v0
	ds_read_b32 v117, v115
	v_cndmask_b32_e32 v116, v116, v52, vcc
	v_cmp_eq_u32_e32 vcc, 24, v0
	v_cndmask_b32_e32 v116, v116, v53, vcc
	v_cmp_eq_u32_e32 vcc, 25, v0
	v_cndmask_b32_e32 v116, v116, v54, vcc
	v_cmp_eq_u32_e32 vcc, 26, v0
	v_cndmask_b32_e32 v116, v116, v55, vcc
	s_waitcnt lgkmcnt(0)
	v_mul_f32_e32 v116, v116, v117
	s_cbranch_execz .LBB26_389
	s_branch .LBB26_390
.LBB26_388:
                                        ; implicit-def: $vgpr116
.LBB26_389:
	ds_read_b32 v116, v115
.LBB26_390:
	s_and_saveexec_b64 s[6:7], s[2:3]
	s_cbranch_execz .LBB26_400
; %bb.391:
	v_add_u32_e32 v117, -2, v0
	v_add_u32_e32 v118, -1, v0
	v_cmp_lt_u32_e32 vcc, 6, v117
	v_mov_b32_e32 v117, 1
	s_and_saveexec_b64 s[0:1], vcc
	s_cbranch_execz .LBB26_395
; %bb.392:
	v_and_b32_e32 v117, -8, v118
	v_sub_u32_e32 v119, 0, v117
	s_mov_b64 s[2:3], 8
	s_movk_i32 s10, 0x74
	s_mov_b64 s[8:9], 0
.LBB26_393:                             ; =>This Inner Loop Header: Depth=1
	s_add_i32 s11, s2, -7
	v_mov_b32_e32 v117, s10
	s_add_i32 s12, s2, -6
	s_set_gpr_idx_on s11, gpr_idx(SRC0)
	v_mov_b32_e32 v126, v29
	s_set_gpr_idx_off
	ds_read2_b32 v[120:121], v117 offset1:1
	s_add_i32 s13, s2, -5
	s_set_gpr_idx_on s12, gpr_idx(SRC0)
	v_mov_b32_e32 v127, v29
	s_set_gpr_idx_off
	s_add_i32 s14, s2, -4
	s_set_gpr_idx_on s13, gpr_idx(SRC0)
	v_mov_b32_e32 v128, v29
	s_set_gpr_idx_off
	ds_read2_b32 v[122:123], v117 offset0:2 offset1:3
	s_add_i32 s15, s2, -3
	s_set_gpr_idx_on s14, gpr_idx(SRC0)
	v_mov_b32_e32 v129, v29
	s_set_gpr_idx_off
	s_add_i32 s16, s2, -2
	s_set_gpr_idx_on s15, gpr_idx(SRC0)
	v_mov_b32_e32 v130, v29
	s_set_gpr_idx_off
	ds_read2_b32 v[124:125], v117 offset0:4 offset1:5
	s_add_i32 s17, s2, -1
	s_waitcnt lgkmcnt(2)
	v_fmac_f32_e32 v116, v126, v120
	s_set_gpr_idx_on s16, gpr_idx(SRC0)
	v_mov_b32_e32 v126, v29
	s_set_gpr_idx_off
	v_fmac_f32_e32 v116, v127, v121
	s_set_gpr_idx_on s17, gpr_idx(SRC0)
	v_mov_b32_e32 v127, v29
	s_set_gpr_idx_off
	ds_read2_b32 v[120:121], v117 offset0:6 offset1:7
	s_waitcnt lgkmcnt(2)
	v_fmac_f32_e32 v116, v128, v122
	s_set_gpr_idx_on s2, gpr_idx(SRC0)
	v_mov_b32_e32 v122, v29
	s_set_gpr_idx_off
	v_fmac_f32_e32 v116, v129, v123
	s_add_u32 s2, s2, 8
	s_waitcnt lgkmcnt(1)
	v_fmac_f32_e32 v116, v130, v124
	v_add_u32_e32 v117, s2, v119
	v_fmac_f32_e32 v116, v126, v125
	s_addc_u32 s3, s3, 0
	s_add_i32 s10, s10, 32
	s_add_i32 s11, s2, -7
	v_cmp_eq_u32_e32 vcc, 8, v117
	s_waitcnt lgkmcnt(0)
	v_fmac_f32_e32 v116, v127, v120
	v_mov_b32_e32 v117, s11
	s_or_b64 s[8:9], vcc, s[8:9]
	v_fmac_f32_e32 v116, v122, v121
	s_andn2_b64 exec, exec, s[8:9]
	s_cbranch_execnz .LBB26_393
; %bb.394:
	s_or_b64 exec, exec, s[8:9]
.LBB26_395:
	s_or_b64 exec, exec, s[0:1]
	v_and_b32_e32 v56, 7, v118
	v_cmp_ne_u32_e32 vcc, 0, v56
	s_and_saveexec_b64 s[2:3], vcc
	s_cbranch_execz .LBB26_399
; %bb.396:
	v_mov_b32_e32 v57, 0x70
	v_lshl_add_u32 v57, v117, 2, v57
	v_mov_b32_e32 v58, 0
	s_mov_b64 s[8:9], 0
.LBB26_397:                             ; =>This Inner Loop Header: Depth=1
	v_cmp_eq_u32_e32 vcc, 1, v117
	v_cndmask_b32_e32 v59, v29, v30, vcc
	v_add_u32_e32 v56, -1, v56
	v_cmp_eq_u32_e32 vcc, 2, v117
	v_cndmask_b32_e32 v59, v59, v31, vcc
	v_cmp_eq_u32_e32 vcc, 0, v56
	v_cmp_eq_u32_e64 s[0:1], 3, v117
	v_cndmask_b32_e64 v59, v59, v32, s[0:1]
	s_or_b64 s[8:9], vcc, s[8:9]
	v_cmp_eq_u32_e32 vcc, 4, v117
	v_cndmask_b32_e32 v59, v59, v33, vcc
	v_cmp_eq_u32_e32 vcc, 5, v117
	v_cndmask_b32_e32 v59, v59, v34, vcc
	;; [unrolled: 2-line block ×18, first 2 shown]
	v_cmp_eq_u32_e32 vcc, 22, v117
	ds_read_b32 v60, v57
	v_cndmask_b32_e32 v59, v59, v51, vcc
	v_cmp_eq_u32_e32 vcc, 23, v117
	v_cndmask_b32_e32 v59, v59, v52, vcc
	v_cmp_eq_u32_e32 vcc, 24, v117
	;; [unrolled: 2-line block ×4, first 2 shown]
	v_add_co_u32_e64 v117, s[0:1], 1, v117
	v_cndmask_b32_e32 v59, v59, v55, vcc
	v_add_u32_e32 v57, 4, v57
	v_addc_co_u32_e64 v58, s[0:1], 0, v58, s[0:1]
	s_waitcnt lgkmcnt(0)
	v_fmac_f32_e32 v116, v59, v60
	s_andn2_b64 exec, exec, s[8:9]
	s_cbranch_execnz .LBB26_397
; %bb.398:
	s_or_b64 exec, exec, s[8:9]
.LBB26_399:
	s_or_b64 exec, exec, s[2:3]
.LBB26_400:
	s_or_b64 exec, exec, s[6:7]
	v_mov_b32_e32 v29, 0
	ds_read_b32 v29, v29
	s_waitcnt lgkmcnt(0)
	v_mul_f32_e32 v29, v116, v29
.LBB26_401:
	s_or_b64 exec, exec, s[4:5]
	s_branch .LBB26_665
.LBB26_402:
	v_cmp_eq_u32_e64 s[2:3], 0, v0
	s_waitcnt vmcnt(26)
	ds_write_b32 v115, v3
	s_waitcnt lgkmcnt(0)
	; wave barrier
	s_and_saveexec_b64 s[0:1], s[2:3]
	s_cbranch_execz .LBB26_408
; %bb.403:
	s_and_b64 vcc, exec, s[58:59]
	s_cbranch_vccz .LBB26_405
; %bb.404:
	v_cmp_eq_u32_e32 vcc, 1, v0
	s_waitcnt vmcnt(2)
	v_cndmask_b32_e32 v3, v2, v3, vcc
	v_cmp_eq_u32_e32 vcc, 2, v0
	v_cndmask_b32_e32 v3, v3, v4, vcc
	v_cmp_eq_u32_e32 vcc, 3, v0
	;; [unrolled: 2-line block ×22, first 2 shown]
	ds_read_b32 v29, v115
	v_cndmask_b32_e32 v3, v3, v25, vcc
	v_cmp_eq_u32_e32 vcc, 24, v0
	v_cndmask_b32_e32 v3, v3, v26, vcc
	v_cmp_eq_u32_e32 vcc, 25, v0
	s_waitcnt vmcnt(1)
	v_cndmask_b32_e32 v3, v3, v27, vcc
	v_cmp_eq_u32_e32 vcc, 26, v0
	s_waitcnt vmcnt(0)
	v_cndmask_b32_e32 v3, v3, v28, vcc
	s_waitcnt lgkmcnt(0)
	v_mul_f32_e32 v3, v3, v29
	s_cbranch_execz .LBB26_406
	s_branch .LBB26_407
.LBB26_405:
                                        ; implicit-def: $vgpr3
.LBB26_406:
	ds_read_b32 v3, v115
.LBB26_407:
	v_mov_b32_e32 v29, 0
	ds_read_b32 v29, v29 offset:4
	s_waitcnt lgkmcnt(0)
	v_mul_f32_e32 v3, v3, v29
.LBB26_408:
	s_or_b64 exec, exec, s[0:1]
	v_cndmask_b32_e64 v29, 0, 1, s[58:59]
	v_cmp_gt_u32_e32 vcc, 2, v0
	v_cmp_ne_u32_e64 s[0:1], 1, v29
	s_waitcnt vmcnt(25)
	ds_write_b32 v115, v4
	s_waitcnt lgkmcnt(0)
	; wave barrier
	s_and_saveexec_b64 s[4:5], vcc
	s_cbranch_execz .LBB26_414
; %bb.409:
	s_and_b64 vcc, exec, s[0:1]
	s_cbranch_vccnz .LBB26_411
; %bb.410:
	v_cmp_eq_u32_e32 vcc, 1, v0
	s_waitcnt vmcnt(2)
	v_cndmask_b32_e32 v29, v2, v3, vcc
	v_cmp_eq_u32_e32 vcc, 2, v0
	v_cndmask_b32_e32 v4, v29, v4, vcc
	v_cmp_eq_u32_e32 vcc, 3, v0
	;; [unrolled: 2-line block ×22, first 2 shown]
	ds_read_b32 v29, v115
	v_cndmask_b32_e32 v4, v4, v25, vcc
	v_cmp_eq_u32_e32 vcc, 24, v0
	v_cndmask_b32_e32 v4, v4, v26, vcc
	v_cmp_eq_u32_e32 vcc, 25, v0
	s_waitcnt vmcnt(1)
	v_cndmask_b32_e32 v4, v4, v27, vcc
	v_cmp_eq_u32_e32 vcc, 26, v0
	s_waitcnt vmcnt(0)
	v_cndmask_b32_e32 v4, v4, v28, vcc
	s_waitcnt lgkmcnt(0)
	v_mul_f32_e32 v4, v4, v29
	s_cbranch_execz .LBB26_412
	s_branch .LBB26_413
.LBB26_411:
                                        ; implicit-def: $vgpr4
.LBB26_412:
	ds_read_b32 v4, v115
.LBB26_413:
	v_mov_b32_e32 v29, 0
	ds_read2_b32 v[29:30], v29 offset0:2 offset1:29
	s_waitcnt lgkmcnt(0)
	v_fma_f32 v30, v3, v30, v4
	v_cndmask_b32_e64 v4, v4, v30, s[2:3]
	v_mul_f32_e32 v4, v4, v29
.LBB26_414:
	s_or_b64 exec, exec, s[4:5]
	v_add_u32_e32 v31, 1, v0
	v_cmp_gt_u32_e64 s[4:5], 3, v0
	s_waitcnt vmcnt(24)
	ds_write_b32 v115, v5
	s_waitcnt lgkmcnt(0)
	; wave barrier
	s_and_saveexec_b64 s[6:7], s[4:5]
	s_cbranch_execz .LBB26_422
; %bb.415:
	s_and_b64 vcc, exec, s[0:1]
	s_cbranch_vccnz .LBB26_417
; %bb.416:
	v_cmp_eq_u32_e32 vcc, 1, v0
	s_waitcnt vmcnt(2)
	v_cndmask_b32_e32 v29, v2, v3, vcc
	v_cmp_eq_u32_e32 vcc, 2, v0
	v_cndmask_b32_e32 v29, v29, v4, vcc
	v_cmp_eq_u32_e32 vcc, 3, v0
	;; [unrolled: 2-line block ×22, first 2 shown]
	ds_read_b32 v30, v115
	v_cndmask_b32_e32 v29, v29, v25, vcc
	v_cmp_eq_u32_e32 vcc, 24, v0
	v_cndmask_b32_e32 v29, v29, v26, vcc
	v_cmp_eq_u32_e32 vcc, 25, v0
	s_waitcnt vmcnt(1)
	v_cndmask_b32_e32 v29, v29, v27, vcc
	v_cmp_eq_u32_e32 vcc, 26, v0
	s_waitcnt vmcnt(0)
	v_cndmask_b32_e32 v29, v29, v28, vcc
	s_waitcnt lgkmcnt(0)
	v_mul_f32_e32 v29, v29, v30
	s_cbranch_execz .LBB26_418
	s_branch .LBB26_419
.LBB26_417:
                                        ; implicit-def: $vgpr29
.LBB26_418:
	ds_read_b32 v29, v115
.LBB26_419:
	v_cmp_ne_u32_e32 vcc, 2, v0
	s_and_saveexec_b64 s[8:9], vcc
	s_cbranch_execz .LBB26_421
; %bb.420:
	v_cmp_eq_u32_e32 vcc, 1, v31
	s_waitcnt vmcnt(2)
	v_cndmask_b32_e32 v30, v2, v3, vcc
	v_cmp_eq_u32_e32 vcc, 2, v31
	v_cndmask_b32_e32 v30, v30, v4, vcc
	v_cmp_eq_u32_e32 vcc, 3, v31
	;; [unrolled: 2-line block ×22, first 2 shown]
	v_mov_b32_e32 v30, 0
	v_cndmask_b32_e32 v5, v5, v25, vcc
	v_cmp_eq_u32_e32 vcc, 24, v31
	ds_read_b32 v32, v115 offset:4
	ds_read_b32 v30, v30 offset:120
	v_cndmask_b32_e32 v5, v5, v26, vcc
	v_cmp_eq_u32_e32 vcc, 25, v31
	s_waitcnt vmcnt(1)
	v_cndmask_b32_e32 v5, v5, v27, vcc
	v_cmp_eq_u32_e32 vcc, 26, v31
	s_waitcnt vmcnt(0)
	v_cndmask_b32_e32 v5, v5, v28, vcc
	s_waitcnt lgkmcnt(1)
	v_fmac_f32_e32 v29, v5, v32
	s_waitcnt lgkmcnt(0)
	v_fma_f32 v5, v4, v30, v29
	v_cndmask_b32_e64 v29, v29, v5, s[2:3]
.LBB26_421:
	s_or_b64 exec, exec, s[8:9]
	v_mov_b32_e32 v5, 0
	ds_read_b32 v5, v5 offset:12
	s_waitcnt lgkmcnt(0)
	v_mul_f32_e32 v5, v29, v5
.LBB26_422:
	s_or_b64 exec, exec, s[6:7]
	v_cmp_gt_u32_e32 vcc, 4, v0
	s_waitcnt vmcnt(23)
	ds_write_b32 v115, v6
	s_waitcnt lgkmcnt(0)
	; wave barrier
	s_and_saveexec_b64 s[8:9], vcc
	s_cbranch_execz .LBB26_432
; %bb.423:
	s_and_b64 vcc, exec, s[0:1]
	s_cbranch_vccnz .LBB26_425
; %bb.424:
	v_cmp_eq_u32_e32 vcc, 1, v0
	s_waitcnt vmcnt(2)
	v_cndmask_b32_e32 v29, v2, v3, vcc
	v_cmp_eq_u32_e32 vcc, 2, v0
	v_cndmask_b32_e32 v29, v29, v4, vcc
	v_cmp_eq_u32_e32 vcc, 3, v0
	;; [unrolled: 2-line block ×22, first 2 shown]
	ds_read_b32 v30, v115
	v_cndmask_b32_e32 v29, v29, v25, vcc
	v_cmp_eq_u32_e32 vcc, 24, v0
	v_cndmask_b32_e32 v29, v29, v26, vcc
	v_cmp_eq_u32_e32 vcc, 25, v0
	s_waitcnt vmcnt(1)
	v_cndmask_b32_e32 v29, v29, v27, vcc
	v_cmp_eq_u32_e32 vcc, 26, v0
	s_waitcnt vmcnt(0)
	v_cndmask_b32_e32 v29, v29, v28, vcc
	s_waitcnt lgkmcnt(0)
	v_mul_f32_e32 v32, v29, v30
	s_cbranch_execz .LBB26_426
	s_branch .LBB26_427
.LBB26_425:
                                        ; implicit-def: $vgpr32
.LBB26_426:
	ds_read_b32 v32, v115
.LBB26_427:
	v_cmp_ne_u32_e32 vcc, 3, v0
	s_and_saveexec_b64 s[10:11], vcc
	s_cbranch_execz .LBB26_431
; %bb.428:
	v_mov_b32_e32 v29, 0x74
	v_lshl_add_u32 v33, v0, 2, v29
	v_mov_b32_e32 v30, v1
	s_mov_b64 s[12:13], 0
	v_mov_b32_e32 v29, v0
.LBB26_429:                             ; =>This Inner Loop Header: Depth=1
	v_add_co_u32_e32 v29, vcc, 1, v29
	v_addc_co_u32_e32 v30, vcc, 0, v30, vcc
	v_cmp_eq_u32_e32 vcc, 1, v29
	s_waitcnt vmcnt(2)
	v_cndmask_b32_e32 v35, v2, v3, vcc
	v_cmp_lt_u32_e32 vcc, 2, v29
	v_cmp_eq_u32_e64 s[6:7], 2, v29
	v_cndmask_b32_e64 v35, v35, v4, s[6:7]
	s_or_b64 s[12:13], vcc, s[12:13]
	v_cmp_eq_u32_e32 vcc, 3, v29
	v_cndmask_b32_e32 v35, v35, v5, vcc
	v_cmp_eq_u32_e32 vcc, 4, v29
	v_cndmask_b32_e32 v35, v35, v6, vcc
	;; [unrolled: 2-line block ×19, first 2 shown]
	v_cmp_eq_u32_e32 vcc, 22, v29
	ds_read_b32 v34, v33
	v_cndmask_b32_e32 v35, v35, v24, vcc
	v_cmp_eq_u32_e32 vcc, 23, v29
	v_cndmask_b32_e32 v35, v35, v25, vcc
	v_cmp_eq_u32_e32 vcc, 24, v29
	;; [unrolled: 2-line block ×3, first 2 shown]
	s_waitcnt vmcnt(1)
	v_cndmask_b32_e32 v35, v35, v27, vcc
	v_cmp_eq_u32_e32 vcc, 26, v29
	s_waitcnt vmcnt(0)
	v_cndmask_b32_e32 v35, v35, v28, vcc
	v_add_u32_e32 v33, 4, v33
	s_waitcnt lgkmcnt(0)
	v_fmac_f32_e32 v32, v35, v34
	s_andn2_b64 exec, exec, s[12:13]
	s_cbranch_execnz .LBB26_429
; %bb.430:
	s_or_b64 exec, exec, s[12:13]
.LBB26_431:
	s_or_b64 exec, exec, s[10:11]
	v_mov_b32_e32 v6, 0
	ds_read_b32 v6, v6 offset:16
	s_waitcnt lgkmcnt(0)
	v_mul_f32_e32 v6, v32, v6
.LBB26_432:
	s_or_b64 exec, exec, s[8:9]
	v_cmp_gt_u32_e64 s[6:7], 5, v0
	s_waitcnt vmcnt(22)
	ds_write_b32 v115, v7
	s_waitcnt lgkmcnt(0)
	; wave barrier
	s_and_saveexec_b64 s[10:11], s[6:7]
	s_cbranch_execz .LBB26_442
; %bb.433:
	s_and_b64 vcc, exec, s[0:1]
	s_cbranch_vccnz .LBB26_435
; %bb.434:
	v_cmp_eq_u32_e32 vcc, 1, v0
	s_waitcnt vmcnt(2)
	v_cndmask_b32_e32 v29, v2, v3, vcc
	v_cmp_eq_u32_e32 vcc, 2, v0
	v_cndmask_b32_e32 v29, v29, v4, vcc
	v_cmp_eq_u32_e32 vcc, 3, v0
	v_cndmask_b32_e32 v29, v29, v5, vcc
	v_cmp_eq_u32_e32 vcc, 4, v0
	v_cndmask_b32_e32 v29, v29, v6, vcc
	v_cmp_eq_u32_e32 vcc, 5, v0
	v_cndmask_b32_e32 v29, v29, v7, vcc
	v_cmp_eq_u32_e32 vcc, 6, v0
	v_cndmask_b32_e32 v29, v29, v8, vcc
	v_cmp_eq_u32_e32 vcc, 7, v0
	v_cndmask_b32_e32 v29, v29, v9, vcc
	v_cmp_eq_u32_e32 vcc, 8, v0
	v_cndmask_b32_e32 v29, v29, v10, vcc
	v_cmp_eq_u32_e32 vcc, 9, v0
	v_cndmask_b32_e32 v29, v29, v11, vcc
	v_cmp_eq_u32_e32 vcc, 10, v0
	v_cndmask_b32_e32 v29, v29, v12, vcc
	v_cmp_eq_u32_e32 vcc, 11, v0
	v_cndmask_b32_e32 v29, v29, v13, vcc
	v_cmp_eq_u32_e32 vcc, 12, v0
	v_cndmask_b32_e32 v29, v29, v14, vcc
	v_cmp_eq_u32_e32 vcc, 13, v0
	v_cndmask_b32_e32 v29, v29, v15, vcc
	v_cmp_eq_u32_e32 vcc, 14, v0
	v_cndmask_b32_e32 v29, v29, v16, vcc
	v_cmp_eq_u32_e32 vcc, 15, v0
	v_cndmask_b32_e32 v29, v29, v17, vcc
	v_cmp_eq_u32_e32 vcc, 16, v0
	v_cndmask_b32_e32 v29, v29, v18, vcc
	v_cmp_eq_u32_e32 vcc, 17, v0
	v_cndmask_b32_e32 v29, v29, v19, vcc
	v_cmp_eq_u32_e32 vcc, 18, v0
	v_cndmask_b32_e32 v29, v29, v20, vcc
	v_cmp_eq_u32_e32 vcc, 19, v0
	v_cndmask_b32_e32 v29, v29, v21, vcc
	v_cmp_eq_u32_e32 vcc, 20, v0
	v_cndmask_b32_e32 v29, v29, v22, vcc
	v_cmp_eq_u32_e32 vcc, 21, v0
	v_cndmask_b32_e32 v29, v29, v23, vcc
	v_cmp_eq_u32_e32 vcc, 22, v0
	v_cndmask_b32_e32 v29, v29, v24, vcc
	v_cmp_eq_u32_e32 vcc, 23, v0
	ds_read_b32 v30, v115
	v_cndmask_b32_e32 v29, v29, v25, vcc
	v_cmp_eq_u32_e32 vcc, 24, v0
	v_cndmask_b32_e32 v29, v29, v26, vcc
	v_cmp_eq_u32_e32 vcc, 25, v0
	s_waitcnt vmcnt(1)
	v_cndmask_b32_e32 v29, v29, v27, vcc
	v_cmp_eq_u32_e32 vcc, 26, v0
	s_waitcnt vmcnt(0)
	v_cndmask_b32_e32 v29, v29, v28, vcc
	s_waitcnt lgkmcnt(0)
	v_mul_f32_e32 v32, v29, v30
	s_cbranch_execz .LBB26_436
	s_branch .LBB26_437
.LBB26_435:
                                        ; implicit-def: $vgpr32
.LBB26_436:
	ds_read_b32 v32, v115
.LBB26_437:
	v_cmp_ne_u32_e32 vcc, 4, v0
	s_and_saveexec_b64 s[12:13], vcc
	s_cbranch_execz .LBB26_441
; %bb.438:
	v_mov_b32_e32 v29, 0x74
	v_lshl_add_u32 v33, v0, 2, v29
	v_mov_b32_e32 v30, v1
	s_mov_b64 s[14:15], 0
	v_mov_b32_e32 v29, v0
.LBB26_439:                             ; =>This Inner Loop Header: Depth=1
	v_add_co_u32_e32 v29, vcc, 1, v29
	v_addc_co_u32_e32 v30, vcc, 0, v30, vcc
	v_cmp_eq_u32_e32 vcc, 1, v29
	s_waitcnt vmcnt(2)
	v_cndmask_b32_e32 v35, v2, v3, vcc
	v_cmp_lt_u32_e32 vcc, 3, v29
	v_cmp_eq_u32_e64 s[8:9], 2, v29
	v_cndmask_b32_e64 v35, v35, v4, s[8:9]
	s_or_b64 s[14:15], vcc, s[14:15]
	v_cmp_eq_u32_e32 vcc, 3, v29
	v_cndmask_b32_e32 v35, v35, v5, vcc
	v_cmp_eq_u32_e32 vcc, 4, v29
	v_cndmask_b32_e32 v35, v35, v6, vcc
	;; [unrolled: 2-line block ×19, first 2 shown]
	v_cmp_eq_u32_e32 vcc, 22, v29
	ds_read_b32 v34, v33
	v_cndmask_b32_e32 v35, v35, v24, vcc
	v_cmp_eq_u32_e32 vcc, 23, v29
	v_cndmask_b32_e32 v35, v35, v25, vcc
	v_cmp_eq_u32_e32 vcc, 24, v29
	v_cndmask_b32_e32 v35, v35, v26, vcc
	v_cmp_eq_u32_e32 vcc, 25, v29
	s_waitcnt vmcnt(1)
	v_cndmask_b32_e32 v35, v35, v27, vcc
	v_cmp_eq_u32_e32 vcc, 26, v29
	s_waitcnt vmcnt(0)
	v_cndmask_b32_e32 v35, v35, v28, vcc
	v_add_u32_e32 v33, 4, v33
	s_waitcnt lgkmcnt(0)
	v_fmac_f32_e32 v32, v35, v34
	s_andn2_b64 exec, exec, s[14:15]
	s_cbranch_execnz .LBB26_439
; %bb.440:
	s_or_b64 exec, exec, s[14:15]
.LBB26_441:
	s_or_b64 exec, exec, s[12:13]
	v_mov_b32_e32 v7, 0
	ds_read_b32 v7, v7 offset:20
	s_waitcnt lgkmcnt(0)
	v_mul_f32_e32 v7, v32, v7
.LBB26_442:
	s_or_b64 exec, exec, s[10:11]
	v_cmp_gt_u32_e32 vcc, 6, v0
	s_waitcnt vmcnt(21)
	ds_write_b32 v115, v8
	s_waitcnt lgkmcnt(0)
	; wave barrier
	s_and_saveexec_b64 s[10:11], vcc
	s_cbranch_execz .LBB26_452
; %bb.443:
	s_and_b64 vcc, exec, s[0:1]
	s_cbranch_vccnz .LBB26_445
; %bb.444:
	v_cmp_eq_u32_e32 vcc, 1, v0
	s_waitcnt vmcnt(2)
	v_cndmask_b32_e32 v29, v2, v3, vcc
	v_cmp_eq_u32_e32 vcc, 2, v0
	v_cndmask_b32_e32 v29, v29, v4, vcc
	v_cmp_eq_u32_e32 vcc, 3, v0
	;; [unrolled: 2-line block ×22, first 2 shown]
	ds_read_b32 v30, v115
	v_cndmask_b32_e32 v29, v29, v25, vcc
	v_cmp_eq_u32_e32 vcc, 24, v0
	v_cndmask_b32_e32 v29, v29, v26, vcc
	v_cmp_eq_u32_e32 vcc, 25, v0
	s_waitcnt vmcnt(1)
	v_cndmask_b32_e32 v29, v29, v27, vcc
	v_cmp_eq_u32_e32 vcc, 26, v0
	s_waitcnt vmcnt(0)
	v_cndmask_b32_e32 v29, v29, v28, vcc
	s_waitcnt lgkmcnt(0)
	v_mul_f32_e32 v32, v29, v30
	s_cbranch_execz .LBB26_446
	s_branch .LBB26_447
.LBB26_445:
                                        ; implicit-def: $vgpr32
.LBB26_446:
	ds_read_b32 v32, v115
.LBB26_447:
	v_cmp_ne_u32_e32 vcc, 5, v0
	s_and_saveexec_b64 s[12:13], vcc
	s_cbranch_execz .LBB26_451
; %bb.448:
	v_mov_b32_e32 v29, 0x74
	v_lshl_add_u32 v33, v0, 2, v29
	v_mov_b32_e32 v30, v1
	s_mov_b64 s[14:15], 0
	v_mov_b32_e32 v29, v0
.LBB26_449:                             ; =>This Inner Loop Header: Depth=1
	v_add_co_u32_e32 v29, vcc, 1, v29
	v_addc_co_u32_e32 v30, vcc, 0, v30, vcc
	v_cmp_eq_u32_e32 vcc, 1, v29
	s_waitcnt vmcnt(2)
	v_cndmask_b32_e32 v35, v2, v3, vcc
	v_cmp_lt_u32_e32 vcc, 4, v29
	v_cmp_eq_u32_e64 s[8:9], 2, v29
	v_cndmask_b32_e64 v35, v35, v4, s[8:9]
	s_or_b64 s[14:15], vcc, s[14:15]
	v_cmp_eq_u32_e32 vcc, 3, v29
	v_cndmask_b32_e32 v35, v35, v5, vcc
	v_cmp_eq_u32_e32 vcc, 4, v29
	v_cndmask_b32_e32 v35, v35, v6, vcc
	;; [unrolled: 2-line block ×19, first 2 shown]
	v_cmp_eq_u32_e32 vcc, 22, v29
	ds_read_b32 v34, v33
	v_cndmask_b32_e32 v35, v35, v24, vcc
	v_cmp_eq_u32_e32 vcc, 23, v29
	v_cndmask_b32_e32 v35, v35, v25, vcc
	v_cmp_eq_u32_e32 vcc, 24, v29
	;; [unrolled: 2-line block ×3, first 2 shown]
	s_waitcnt vmcnt(1)
	v_cndmask_b32_e32 v35, v35, v27, vcc
	v_cmp_eq_u32_e32 vcc, 26, v29
	s_waitcnt vmcnt(0)
	v_cndmask_b32_e32 v35, v35, v28, vcc
	v_add_u32_e32 v33, 4, v33
	s_waitcnt lgkmcnt(0)
	v_fmac_f32_e32 v32, v35, v34
	s_andn2_b64 exec, exec, s[14:15]
	s_cbranch_execnz .LBB26_449
; %bb.450:
	s_or_b64 exec, exec, s[14:15]
.LBB26_451:
	s_or_b64 exec, exec, s[12:13]
	v_mov_b32_e32 v8, 0
	ds_read_b32 v8, v8 offset:24
	s_waitcnt lgkmcnt(0)
	v_mul_f32_e32 v8, v32, v8
.LBB26_452:
	s_or_b64 exec, exec, s[10:11]
	v_cmp_gt_u32_e64 s[8:9], 7, v0
	s_waitcnt vmcnt(20)
	ds_write_b32 v115, v9
	s_waitcnt lgkmcnt(0)
	; wave barrier
	s_and_saveexec_b64 s[12:13], s[8:9]
	s_cbranch_execz .LBB26_462
; %bb.453:
	s_and_b64 vcc, exec, s[0:1]
	s_cbranch_vccnz .LBB26_455
; %bb.454:
	v_cmp_eq_u32_e32 vcc, 1, v0
	s_waitcnt vmcnt(2)
	v_cndmask_b32_e32 v29, v2, v3, vcc
	v_cmp_eq_u32_e32 vcc, 2, v0
	v_cndmask_b32_e32 v29, v29, v4, vcc
	v_cmp_eq_u32_e32 vcc, 3, v0
	;; [unrolled: 2-line block ×22, first 2 shown]
	ds_read_b32 v30, v115
	v_cndmask_b32_e32 v29, v29, v25, vcc
	v_cmp_eq_u32_e32 vcc, 24, v0
	v_cndmask_b32_e32 v29, v29, v26, vcc
	v_cmp_eq_u32_e32 vcc, 25, v0
	s_waitcnt vmcnt(1)
	v_cndmask_b32_e32 v29, v29, v27, vcc
	v_cmp_eq_u32_e32 vcc, 26, v0
	s_waitcnt vmcnt(0)
	v_cndmask_b32_e32 v29, v29, v28, vcc
	s_waitcnt lgkmcnt(0)
	v_mul_f32_e32 v32, v29, v30
	s_cbranch_execz .LBB26_456
	s_branch .LBB26_457
.LBB26_455:
                                        ; implicit-def: $vgpr32
.LBB26_456:
	ds_read_b32 v32, v115
.LBB26_457:
	v_cmp_ne_u32_e32 vcc, 6, v0
	s_and_saveexec_b64 s[14:15], vcc
	s_cbranch_execz .LBB26_461
; %bb.458:
	v_mov_b32_e32 v29, 0x74
	v_lshl_add_u32 v33, v0, 2, v29
	v_mov_b32_e32 v30, v1
	s_mov_b64 s[16:17], 0
	v_mov_b32_e32 v29, v0
.LBB26_459:                             ; =>This Inner Loop Header: Depth=1
	v_add_co_u32_e32 v29, vcc, 1, v29
	v_addc_co_u32_e32 v30, vcc, 0, v30, vcc
	v_cmp_eq_u32_e32 vcc, 1, v29
	s_waitcnt vmcnt(2)
	v_cndmask_b32_e32 v35, v2, v3, vcc
	v_cmp_lt_u32_e32 vcc, 5, v29
	v_cmp_eq_u32_e64 s[10:11], 2, v29
	v_cndmask_b32_e64 v35, v35, v4, s[10:11]
	s_or_b64 s[16:17], vcc, s[16:17]
	v_cmp_eq_u32_e32 vcc, 3, v29
	v_cndmask_b32_e32 v35, v35, v5, vcc
	v_cmp_eq_u32_e32 vcc, 4, v29
	v_cndmask_b32_e32 v35, v35, v6, vcc
	;; [unrolled: 2-line block ×19, first 2 shown]
	v_cmp_eq_u32_e32 vcc, 22, v29
	ds_read_b32 v34, v33
	v_cndmask_b32_e32 v35, v35, v24, vcc
	v_cmp_eq_u32_e32 vcc, 23, v29
	v_cndmask_b32_e32 v35, v35, v25, vcc
	v_cmp_eq_u32_e32 vcc, 24, v29
	;; [unrolled: 2-line block ×3, first 2 shown]
	s_waitcnt vmcnt(1)
	v_cndmask_b32_e32 v35, v35, v27, vcc
	v_cmp_eq_u32_e32 vcc, 26, v29
	s_waitcnt vmcnt(0)
	v_cndmask_b32_e32 v35, v35, v28, vcc
	v_add_u32_e32 v33, 4, v33
	s_waitcnt lgkmcnt(0)
	v_fmac_f32_e32 v32, v35, v34
	s_andn2_b64 exec, exec, s[16:17]
	s_cbranch_execnz .LBB26_459
; %bb.460:
	s_or_b64 exec, exec, s[16:17]
.LBB26_461:
	s_or_b64 exec, exec, s[14:15]
	v_mov_b32_e32 v9, 0
	ds_read_b32 v9, v9 offset:28
	s_waitcnt lgkmcnt(0)
	v_mul_f32_e32 v9, v32, v9
.LBB26_462:
	s_or_b64 exec, exec, s[12:13]
	v_cmp_gt_u32_e32 vcc, 8, v0
	s_waitcnt vmcnt(19)
	ds_write_b32 v115, v10
	s_waitcnt lgkmcnt(0)
	; wave barrier
	s_and_saveexec_b64 s[12:13], vcc
	s_cbranch_execz .LBB26_472
; %bb.463:
	s_and_b64 vcc, exec, s[0:1]
	s_cbranch_vccnz .LBB26_465
; %bb.464:
	v_cmp_eq_u32_e32 vcc, 1, v0
	s_waitcnt vmcnt(2)
	v_cndmask_b32_e32 v29, v2, v3, vcc
	v_cmp_eq_u32_e32 vcc, 2, v0
	v_cndmask_b32_e32 v29, v29, v4, vcc
	v_cmp_eq_u32_e32 vcc, 3, v0
	;; [unrolled: 2-line block ×22, first 2 shown]
	ds_read_b32 v30, v115
	v_cndmask_b32_e32 v29, v29, v25, vcc
	v_cmp_eq_u32_e32 vcc, 24, v0
	v_cndmask_b32_e32 v29, v29, v26, vcc
	v_cmp_eq_u32_e32 vcc, 25, v0
	s_waitcnt vmcnt(1)
	v_cndmask_b32_e32 v29, v29, v27, vcc
	v_cmp_eq_u32_e32 vcc, 26, v0
	s_waitcnt vmcnt(0)
	v_cndmask_b32_e32 v29, v29, v28, vcc
	s_waitcnt lgkmcnt(0)
	v_mul_f32_e32 v32, v29, v30
	s_cbranch_execz .LBB26_466
	s_branch .LBB26_467
.LBB26_465:
                                        ; implicit-def: $vgpr32
.LBB26_466:
	ds_read_b32 v32, v115
.LBB26_467:
	v_cmp_ne_u32_e32 vcc, 7, v0
	s_and_saveexec_b64 s[14:15], vcc
	s_cbranch_execz .LBB26_471
; %bb.468:
	v_mov_b32_e32 v29, 0x74
	v_lshl_add_u32 v33, v0, 2, v29
	v_mov_b32_e32 v30, v1
	s_mov_b64 s[16:17], 0
	v_mov_b32_e32 v29, v0
.LBB26_469:                             ; =>This Inner Loop Header: Depth=1
	v_add_co_u32_e32 v29, vcc, 1, v29
	v_addc_co_u32_e32 v30, vcc, 0, v30, vcc
	v_cmp_eq_u32_e32 vcc, 1, v29
	s_waitcnt vmcnt(2)
	v_cndmask_b32_e32 v35, v2, v3, vcc
	v_cmp_lt_u32_e32 vcc, 6, v29
	v_cmp_eq_u32_e64 s[10:11], 2, v29
	v_cndmask_b32_e64 v35, v35, v4, s[10:11]
	s_or_b64 s[16:17], vcc, s[16:17]
	v_cmp_eq_u32_e32 vcc, 3, v29
	v_cndmask_b32_e32 v35, v35, v5, vcc
	v_cmp_eq_u32_e32 vcc, 4, v29
	v_cndmask_b32_e32 v35, v35, v6, vcc
	;; [unrolled: 2-line block ×19, first 2 shown]
	v_cmp_eq_u32_e32 vcc, 22, v29
	ds_read_b32 v34, v33
	v_cndmask_b32_e32 v35, v35, v24, vcc
	v_cmp_eq_u32_e32 vcc, 23, v29
	v_cndmask_b32_e32 v35, v35, v25, vcc
	v_cmp_eq_u32_e32 vcc, 24, v29
	;; [unrolled: 2-line block ×3, first 2 shown]
	s_waitcnt vmcnt(1)
	v_cndmask_b32_e32 v35, v35, v27, vcc
	v_cmp_eq_u32_e32 vcc, 26, v29
	s_waitcnt vmcnt(0)
	v_cndmask_b32_e32 v35, v35, v28, vcc
	v_add_u32_e32 v33, 4, v33
	s_waitcnt lgkmcnt(0)
	v_fmac_f32_e32 v32, v35, v34
	s_andn2_b64 exec, exec, s[16:17]
	s_cbranch_execnz .LBB26_469
; %bb.470:
	s_or_b64 exec, exec, s[16:17]
.LBB26_471:
	s_or_b64 exec, exec, s[14:15]
	v_mov_b32_e32 v10, 0
	ds_read_b32 v10, v10 offset:32
	s_waitcnt lgkmcnt(0)
	v_mul_f32_e32 v10, v32, v10
.LBB26_472:
	s_or_b64 exec, exec, s[12:13]
	v_cmp_gt_u32_e32 vcc, 9, v0
	s_waitcnt vmcnt(18)
	ds_write_b32 v115, v11
	s_waitcnt lgkmcnt(0)
	; wave barrier
	s_and_saveexec_b64 s[10:11], vcc
	s_cbranch_execz .LBB26_494
; %bb.473:
	s_and_b64 vcc, exec, s[0:1]
	s_cbranch_vccnz .LBB26_475
; %bb.474:
	v_cmp_eq_u32_e32 vcc, 1, v0
	s_waitcnt vmcnt(2)
	v_cndmask_b32_e32 v29, v2, v3, vcc
	v_cmp_eq_u32_e32 vcc, 2, v0
	v_cndmask_b32_e32 v29, v29, v4, vcc
	v_cmp_eq_u32_e32 vcc, 3, v0
	;; [unrolled: 2-line block ×22, first 2 shown]
	ds_read_b32 v30, v115
	v_cndmask_b32_e32 v29, v29, v25, vcc
	v_cmp_eq_u32_e32 vcc, 24, v0
	v_cndmask_b32_e32 v29, v29, v26, vcc
	v_cmp_eq_u32_e32 vcc, 25, v0
	s_waitcnt vmcnt(1)
	v_cndmask_b32_e32 v29, v29, v27, vcc
	v_cmp_eq_u32_e32 vcc, 26, v0
	s_waitcnt vmcnt(0)
	v_cndmask_b32_e32 v29, v29, v28, vcc
	s_waitcnt lgkmcnt(0)
	v_mul_f32_e32 v29, v29, v30
	s_cbranch_execz .LBB26_476
	s_branch .LBB26_477
.LBB26_475:
                                        ; implicit-def: $vgpr29
.LBB26_476:
	ds_read_b32 v29, v115
.LBB26_477:
	v_cmp_ne_u32_e32 vcc, 8, v0
	s_and_saveexec_b64 s[12:13], vcc
	s_cbranch_execz .LBB26_493
; %bb.478:
	v_cmp_eq_u32_e32 vcc, 1, v31
	s_waitcnt vmcnt(2)
	v_cndmask_b32_e32 v30, v2, v3, vcc
	v_cmp_eq_u32_e32 vcc, 2, v31
	v_cndmask_b32_e32 v30, v30, v4, vcc
	v_cmp_eq_u32_e32 vcc, 3, v31
	;; [unrolled: 2-line block ×22, first 2 shown]
	ds_read_b32 v32, v115 offset:4
	v_cndmask_b32_e32 v30, v30, v25, vcc
	v_cmp_eq_u32_e32 vcc, 24, v31
	v_cndmask_b32_e32 v30, v30, v26, vcc
	v_cmp_eq_u32_e32 vcc, 25, v31
	s_waitcnt vmcnt(1)
	v_cndmask_b32_e32 v30, v30, v27, vcc
	v_cmp_eq_u32_e32 vcc, 26, v31
	s_waitcnt vmcnt(0)
	v_cndmask_b32_e32 v30, v30, v28, vcc
	s_waitcnt lgkmcnt(0)
	v_fmac_f32_e32 v29, v30, v32
	s_and_saveexec_b64 s[14:15], s[8:9]
	s_cbranch_execz .LBB26_492
; %bb.479:
	v_add_u32_e32 v30, 2, v0
	v_cmp_eq_u32_e32 vcc, 1, v30
	v_cndmask_b32_e32 v31, v2, v3, vcc
	v_cmp_eq_u32_e32 vcc, 2, v30
	v_cndmask_b32_e32 v31, v31, v4, vcc
	;; [unrolled: 2-line block ×22, first 2 shown]
	v_cmp_eq_u32_e32 vcc, 23, v30
	ds_read_b32 v32, v115 offset:8
	v_cndmask_b32_e32 v31, v31, v25, vcc
	v_cmp_eq_u32_e32 vcc, 24, v30
	v_cndmask_b32_e32 v31, v31, v26, vcc
	v_cmp_eq_u32_e32 vcc, 25, v30
	;; [unrolled: 2-line block ×3, first 2 shown]
	v_cndmask_b32_e32 v30, v31, v28, vcc
	s_waitcnt lgkmcnt(0)
	v_fmac_f32_e32 v29, v30, v32
	v_cmp_ne_u32_e32 vcc, 6, v0
	s_and_saveexec_b64 s[8:9], vcc
	s_cbranch_execz .LBB26_491
; %bb.480:
	v_add_u32_e32 v30, 3, v0
	v_cmp_eq_u32_e32 vcc, 1, v30
	v_cndmask_b32_e32 v31, v2, v3, vcc
	v_cmp_eq_u32_e32 vcc, 2, v30
	v_cndmask_b32_e32 v31, v31, v4, vcc
	;; [unrolled: 2-line block ×22, first 2 shown]
	v_cmp_eq_u32_e32 vcc, 23, v30
	ds_read_b32 v32, v115 offset:12
	v_cndmask_b32_e32 v31, v31, v25, vcc
	v_cmp_eq_u32_e32 vcc, 24, v30
	v_cndmask_b32_e32 v31, v31, v26, vcc
	v_cmp_eq_u32_e32 vcc, 25, v30
	;; [unrolled: 2-line block ×3, first 2 shown]
	v_cndmask_b32_e32 v30, v31, v28, vcc
	s_waitcnt lgkmcnt(0)
	v_fmac_f32_e32 v29, v30, v32
	s_and_saveexec_b64 s[16:17], s[6:7]
	s_cbranch_execz .LBB26_490
; %bb.481:
	v_add_u32_e32 v30, 4, v0
	v_cmp_eq_u32_e32 vcc, 1, v30
	v_cndmask_b32_e32 v31, v2, v3, vcc
	v_cmp_eq_u32_e32 vcc, 2, v30
	v_cndmask_b32_e32 v31, v31, v4, vcc
	;; [unrolled: 2-line block ×22, first 2 shown]
	v_cmp_eq_u32_e32 vcc, 23, v30
	ds_read_b32 v32, v115 offset:16
	v_cndmask_b32_e32 v31, v31, v25, vcc
	v_cmp_eq_u32_e32 vcc, 24, v30
	v_cndmask_b32_e32 v31, v31, v26, vcc
	v_cmp_eq_u32_e32 vcc, 25, v30
	;; [unrolled: 2-line block ×3, first 2 shown]
	v_cndmask_b32_e32 v30, v31, v28, vcc
	s_waitcnt lgkmcnt(0)
	v_fmac_f32_e32 v29, v30, v32
	v_cmp_ne_u32_e32 vcc, 4, v0
	s_and_saveexec_b64 s[6:7], vcc
	s_cbranch_execz .LBB26_489
; %bb.482:
	v_add_u32_e32 v30, 5, v0
	v_cmp_eq_u32_e32 vcc, 1, v30
	v_cndmask_b32_e32 v31, v2, v3, vcc
	v_cmp_eq_u32_e32 vcc, 2, v30
	v_cndmask_b32_e32 v31, v31, v4, vcc
	;; [unrolled: 2-line block ×22, first 2 shown]
	v_cmp_eq_u32_e32 vcc, 23, v30
	ds_read_b32 v32, v115 offset:20
	v_cndmask_b32_e32 v31, v31, v25, vcc
	v_cmp_eq_u32_e32 vcc, 24, v30
	v_cndmask_b32_e32 v31, v31, v26, vcc
	v_cmp_eq_u32_e32 vcc, 25, v30
	v_cndmask_b32_e32 v31, v31, v27, vcc
	v_cmp_eq_u32_e32 vcc, 26, v30
	v_cndmask_b32_e32 v30, v31, v28, vcc
	s_waitcnt lgkmcnt(0)
	v_fmac_f32_e32 v29, v30, v32
	s_and_saveexec_b64 s[18:19], s[4:5]
	s_cbranch_execz .LBB26_488
; %bb.483:
	v_add_u32_e32 v30, 6, v0
	v_cmp_eq_u32_e32 vcc, 1, v30
	v_cndmask_b32_e32 v31, v2, v3, vcc
	v_cmp_eq_u32_e32 vcc, 2, v30
	v_cndmask_b32_e32 v31, v31, v4, vcc
	v_cmp_eq_u32_e32 vcc, 3, v30
	v_cndmask_b32_e32 v31, v31, v5, vcc
	v_cmp_eq_u32_e32 vcc, 4, v30
	v_cndmask_b32_e32 v31, v31, v6, vcc
	v_cmp_eq_u32_e32 vcc, 5, v30
	v_cndmask_b32_e32 v31, v31, v7, vcc
	v_cmp_eq_u32_e32 vcc, 6, v30
	v_cndmask_b32_e32 v31, v31, v8, vcc
	v_cmp_eq_u32_e32 vcc, 7, v30
	v_cndmask_b32_e32 v31, v31, v9, vcc
	v_cmp_eq_u32_e32 vcc, 8, v30
	v_cndmask_b32_e32 v31, v31, v10, vcc
	v_cmp_eq_u32_e32 vcc, 9, v30
	v_cndmask_b32_e32 v31, v31, v11, vcc
	v_cmp_eq_u32_e32 vcc, 10, v30
	v_cndmask_b32_e32 v31, v31, v12, vcc
	v_cmp_eq_u32_e32 vcc, 11, v30
	v_cndmask_b32_e32 v31, v31, v13, vcc
	v_cmp_eq_u32_e32 vcc, 12, v30
	v_cndmask_b32_e32 v31, v31, v14, vcc
	v_cmp_eq_u32_e32 vcc, 13, v30
	v_cndmask_b32_e32 v31, v31, v15, vcc
	v_cmp_eq_u32_e32 vcc, 14, v30
	v_cndmask_b32_e32 v31, v31, v16, vcc
	v_cmp_eq_u32_e32 vcc, 15, v30
	v_cndmask_b32_e32 v31, v31, v17, vcc
	v_cmp_eq_u32_e32 vcc, 16, v30
	v_cndmask_b32_e32 v31, v31, v18, vcc
	v_cmp_eq_u32_e32 vcc, 17, v30
	v_cndmask_b32_e32 v31, v31, v19, vcc
	v_cmp_eq_u32_e32 vcc, 18, v30
	v_cndmask_b32_e32 v31, v31, v20, vcc
	v_cmp_eq_u32_e32 vcc, 19, v30
	v_cndmask_b32_e32 v31, v31, v21, vcc
	v_cmp_eq_u32_e32 vcc, 20, v30
	v_cndmask_b32_e32 v31, v31, v22, vcc
	v_cmp_eq_u32_e32 vcc, 21, v30
	v_cndmask_b32_e32 v31, v31, v23, vcc
	v_cmp_eq_u32_e32 vcc, 22, v30
	v_cndmask_b32_e32 v31, v31, v24, vcc
	v_cmp_eq_u32_e32 vcc, 23, v30
	ds_read_b32 v32, v115 offset:24
	v_cndmask_b32_e32 v31, v31, v25, vcc
	v_cmp_eq_u32_e32 vcc, 24, v30
	v_cndmask_b32_e32 v31, v31, v26, vcc
	v_cmp_eq_u32_e32 vcc, 25, v30
	;; [unrolled: 2-line block ×3, first 2 shown]
	v_cndmask_b32_e32 v30, v31, v28, vcc
	s_waitcnt lgkmcnt(0)
	v_fmac_f32_e32 v29, v30, v32
	v_cmp_ne_u32_e32 vcc, 2, v0
	s_and_saveexec_b64 s[4:5], vcc
	s_cbranch_execz .LBB26_487
; %bb.484:
	v_add_u32_e32 v30, 7, v0
	v_cmp_eq_u32_e32 vcc, 1, v30
	v_cndmask_b32_e32 v31, v2, v3, vcc
	v_cmp_eq_u32_e32 vcc, 2, v30
	v_cndmask_b32_e32 v31, v31, v4, vcc
	;; [unrolled: 2-line block ×22, first 2 shown]
	v_cmp_eq_u32_e32 vcc, 23, v30
	ds_read_b32 v31, v115 offset:28
	v_cndmask_b32_e32 v11, v11, v25, vcc
	v_cmp_eq_u32_e32 vcc, 24, v30
	v_cndmask_b32_e32 v11, v11, v26, vcc
	v_cmp_eq_u32_e32 vcc, 25, v30
	;; [unrolled: 2-line block ×3, first 2 shown]
	v_cndmask_b32_e32 v11, v11, v28, vcc
	s_waitcnt lgkmcnt(0)
	v_fmac_f32_e32 v29, v11, v31
	s_and_saveexec_b64 s[20:21], s[2:3]
	s_cbranch_execz .LBB26_486
; %bb.485:
	ds_read_b32 v11, v115 offset:32
	s_waitcnt lgkmcnt(0)
	v_fmac_f32_e32 v29, v10, v11
.LBB26_486:
	s_or_b64 exec, exec, s[20:21]
.LBB26_487:
	s_or_b64 exec, exec, s[4:5]
.LBB26_488:
	s_or_b64 exec, exec, s[18:19]
.LBB26_489:
	s_or_b64 exec, exec, s[6:7]
.LBB26_490:
	s_or_b64 exec, exec, s[16:17]
.LBB26_491:
	s_or_b64 exec, exec, s[8:9]
.LBB26_492:
	s_or_b64 exec, exec, s[14:15]
.LBB26_493:
	s_or_b64 exec, exec, s[12:13]
	v_mov_b32_e32 v11, 0
	ds_read_b32 v11, v11 offset:36
	s_waitcnt lgkmcnt(0)
	v_mul_f32_e32 v11, v29, v11
.LBB26_494:
	s_or_b64 exec, exec, s[10:11]
	v_cmp_gt_u32_e32 vcc, 10, v0
	s_waitcnt vmcnt(17)
	ds_write_b32 v115, v12
	s_waitcnt lgkmcnt(0)
	; wave barrier
	s_and_saveexec_b64 s[4:5], vcc
	s_cbranch_execz .LBB26_504
; %bb.495:
	s_and_b64 vcc, exec, s[0:1]
	s_cbranch_vccnz .LBB26_497
; %bb.496:
	v_cmp_eq_u32_e32 vcc, 1, v0
	s_waitcnt vmcnt(2)
	v_cndmask_b32_e32 v29, v2, v3, vcc
	v_cmp_eq_u32_e32 vcc, 2, v0
	v_cndmask_b32_e32 v29, v29, v4, vcc
	v_cmp_eq_u32_e32 vcc, 3, v0
	;; [unrolled: 2-line block ×22, first 2 shown]
	ds_read_b32 v30, v115
	v_cndmask_b32_e32 v29, v29, v25, vcc
	v_cmp_eq_u32_e32 vcc, 24, v0
	v_cndmask_b32_e32 v29, v29, v26, vcc
	v_cmp_eq_u32_e32 vcc, 25, v0
	s_waitcnt vmcnt(1)
	v_cndmask_b32_e32 v29, v29, v27, vcc
	v_cmp_eq_u32_e32 vcc, 26, v0
	s_waitcnt vmcnt(0)
	v_cndmask_b32_e32 v29, v29, v28, vcc
	s_waitcnt lgkmcnt(0)
	v_mul_f32_e32 v31, v29, v30
	s_cbranch_execz .LBB26_498
	s_branch .LBB26_499
.LBB26_497:
                                        ; implicit-def: $vgpr31
.LBB26_498:
	ds_read_b32 v31, v115
.LBB26_499:
	v_cmp_ne_u32_e32 vcc, 9, v0
	s_and_saveexec_b64 s[6:7], vcc
	s_cbranch_execz .LBB26_503
; %bb.500:
	v_mov_b32_e32 v29, 0x74
	v_lshl_add_u32 v32, v0, 2, v29
	v_mov_b32_e32 v30, v1
	s_mov_b64 s[8:9], 0
	v_mov_b32_e32 v29, v0
.LBB26_501:                             ; =>This Inner Loop Header: Depth=1
	v_add_co_u32_e32 v29, vcc, 1, v29
	v_addc_co_u32_e32 v30, vcc, 0, v30, vcc
	v_cmp_eq_u32_e32 vcc, 1, v29
	s_waitcnt vmcnt(2)
	v_cndmask_b32_e32 v34, v2, v3, vcc
	v_cmp_lt_u32_e32 vcc, 8, v29
	v_cmp_eq_u32_e64 s[2:3], 2, v29
	v_cndmask_b32_e64 v34, v34, v4, s[2:3]
	s_or_b64 s[8:9], vcc, s[8:9]
	v_cmp_eq_u32_e32 vcc, 3, v29
	v_cndmask_b32_e32 v34, v34, v5, vcc
	v_cmp_eq_u32_e32 vcc, 4, v29
	v_cndmask_b32_e32 v34, v34, v6, vcc
	;; [unrolled: 2-line block ×19, first 2 shown]
	v_cmp_eq_u32_e32 vcc, 22, v29
	ds_read_b32 v33, v32
	v_cndmask_b32_e32 v34, v34, v24, vcc
	v_cmp_eq_u32_e32 vcc, 23, v29
	v_cndmask_b32_e32 v34, v34, v25, vcc
	v_cmp_eq_u32_e32 vcc, 24, v29
	;; [unrolled: 2-line block ×3, first 2 shown]
	s_waitcnt vmcnt(1)
	v_cndmask_b32_e32 v34, v34, v27, vcc
	v_cmp_eq_u32_e32 vcc, 26, v29
	s_waitcnt vmcnt(0)
	v_cndmask_b32_e32 v34, v34, v28, vcc
	v_add_u32_e32 v32, 4, v32
	s_waitcnt lgkmcnt(0)
	v_fmac_f32_e32 v31, v34, v33
	s_andn2_b64 exec, exec, s[8:9]
	s_cbranch_execnz .LBB26_501
; %bb.502:
	s_or_b64 exec, exec, s[8:9]
.LBB26_503:
	s_or_b64 exec, exec, s[6:7]
	v_mov_b32_e32 v12, 0
	ds_read_b32 v12, v12 offset:40
	s_waitcnt lgkmcnt(0)
	v_mul_f32_e32 v12, v31, v12
.LBB26_504:
	s_or_b64 exec, exec, s[4:5]
	v_cmp_gt_u32_e32 vcc, 11, v0
	s_waitcnt vmcnt(16)
	ds_write_b32 v115, v13
	s_waitcnt lgkmcnt(0)
	; wave barrier
	s_and_saveexec_b64 s[4:5], vcc
	s_cbranch_execz .LBB26_514
; %bb.505:
	s_and_b64 vcc, exec, s[0:1]
	s_cbranch_vccnz .LBB26_507
; %bb.506:
	v_cmp_eq_u32_e32 vcc, 1, v0
	s_waitcnt vmcnt(2)
	v_cndmask_b32_e32 v29, v2, v3, vcc
	v_cmp_eq_u32_e32 vcc, 2, v0
	v_cndmask_b32_e32 v29, v29, v4, vcc
	v_cmp_eq_u32_e32 vcc, 3, v0
	;; [unrolled: 2-line block ×22, first 2 shown]
	ds_read_b32 v30, v115
	v_cndmask_b32_e32 v29, v29, v25, vcc
	v_cmp_eq_u32_e32 vcc, 24, v0
	v_cndmask_b32_e32 v29, v29, v26, vcc
	v_cmp_eq_u32_e32 vcc, 25, v0
	s_waitcnt vmcnt(1)
	v_cndmask_b32_e32 v29, v29, v27, vcc
	v_cmp_eq_u32_e32 vcc, 26, v0
	s_waitcnt vmcnt(0)
	v_cndmask_b32_e32 v29, v29, v28, vcc
	s_waitcnt lgkmcnt(0)
	v_mul_f32_e32 v31, v29, v30
	s_cbranch_execz .LBB26_508
	s_branch .LBB26_509
.LBB26_507:
                                        ; implicit-def: $vgpr31
.LBB26_508:
	ds_read_b32 v31, v115
.LBB26_509:
	v_cmp_ne_u32_e32 vcc, 10, v0
	s_and_saveexec_b64 s[6:7], vcc
	s_cbranch_execz .LBB26_513
; %bb.510:
	v_mov_b32_e32 v29, 0x74
	v_lshl_add_u32 v32, v0, 2, v29
	v_mov_b32_e32 v30, v1
	s_mov_b64 s[8:9], 0
	v_mov_b32_e32 v29, v0
.LBB26_511:                             ; =>This Inner Loop Header: Depth=1
	v_add_co_u32_e32 v29, vcc, 1, v29
	v_addc_co_u32_e32 v30, vcc, 0, v30, vcc
	v_cmp_eq_u32_e32 vcc, 1, v29
	s_waitcnt vmcnt(2)
	v_cndmask_b32_e32 v34, v2, v3, vcc
	v_cmp_lt_u32_e32 vcc, 9, v29
	v_cmp_eq_u32_e64 s[2:3], 2, v29
	v_cndmask_b32_e64 v34, v34, v4, s[2:3]
	s_or_b64 s[8:9], vcc, s[8:9]
	v_cmp_eq_u32_e32 vcc, 3, v29
	v_cndmask_b32_e32 v34, v34, v5, vcc
	v_cmp_eq_u32_e32 vcc, 4, v29
	v_cndmask_b32_e32 v34, v34, v6, vcc
	;; [unrolled: 2-line block ×19, first 2 shown]
	v_cmp_eq_u32_e32 vcc, 22, v29
	ds_read_b32 v33, v32
	v_cndmask_b32_e32 v34, v34, v24, vcc
	v_cmp_eq_u32_e32 vcc, 23, v29
	v_cndmask_b32_e32 v34, v34, v25, vcc
	v_cmp_eq_u32_e32 vcc, 24, v29
	;; [unrolled: 2-line block ×3, first 2 shown]
	s_waitcnt vmcnt(1)
	v_cndmask_b32_e32 v34, v34, v27, vcc
	v_cmp_eq_u32_e32 vcc, 26, v29
	s_waitcnt vmcnt(0)
	v_cndmask_b32_e32 v34, v34, v28, vcc
	v_add_u32_e32 v32, 4, v32
	s_waitcnt lgkmcnt(0)
	v_fmac_f32_e32 v31, v34, v33
	s_andn2_b64 exec, exec, s[8:9]
	s_cbranch_execnz .LBB26_511
; %bb.512:
	s_or_b64 exec, exec, s[8:9]
.LBB26_513:
	s_or_b64 exec, exec, s[6:7]
	v_mov_b32_e32 v13, 0
	ds_read_b32 v13, v13 offset:44
	s_waitcnt lgkmcnt(0)
	v_mul_f32_e32 v13, v31, v13
.LBB26_514:
	s_or_b64 exec, exec, s[4:5]
	v_cmp_gt_u32_e32 vcc, 12, v0
	s_waitcnt vmcnt(15)
	ds_write_b32 v115, v14
	s_waitcnt lgkmcnt(0)
	; wave barrier
	s_and_saveexec_b64 s[4:5], vcc
	s_cbranch_execz .LBB26_524
; %bb.515:
	s_and_b64 vcc, exec, s[0:1]
	s_cbranch_vccnz .LBB26_517
; %bb.516:
	v_cmp_eq_u32_e32 vcc, 1, v0
	s_waitcnt vmcnt(2)
	v_cndmask_b32_e32 v29, v2, v3, vcc
	v_cmp_eq_u32_e32 vcc, 2, v0
	v_cndmask_b32_e32 v29, v29, v4, vcc
	v_cmp_eq_u32_e32 vcc, 3, v0
	;; [unrolled: 2-line block ×22, first 2 shown]
	ds_read_b32 v30, v115
	v_cndmask_b32_e32 v29, v29, v25, vcc
	v_cmp_eq_u32_e32 vcc, 24, v0
	v_cndmask_b32_e32 v29, v29, v26, vcc
	v_cmp_eq_u32_e32 vcc, 25, v0
	s_waitcnt vmcnt(1)
	v_cndmask_b32_e32 v29, v29, v27, vcc
	v_cmp_eq_u32_e32 vcc, 26, v0
	s_waitcnt vmcnt(0)
	v_cndmask_b32_e32 v29, v29, v28, vcc
	s_waitcnt lgkmcnt(0)
	v_mul_f32_e32 v31, v29, v30
	s_cbranch_execz .LBB26_518
	s_branch .LBB26_519
.LBB26_517:
                                        ; implicit-def: $vgpr31
.LBB26_518:
	ds_read_b32 v31, v115
.LBB26_519:
	v_cmp_ne_u32_e32 vcc, 11, v0
	s_and_saveexec_b64 s[6:7], vcc
	s_cbranch_execz .LBB26_523
; %bb.520:
	v_mov_b32_e32 v29, 0x74
	v_lshl_add_u32 v32, v0, 2, v29
	v_mov_b32_e32 v30, v1
	s_mov_b64 s[8:9], 0
	v_mov_b32_e32 v29, v0
.LBB26_521:                             ; =>This Inner Loop Header: Depth=1
	v_add_co_u32_e32 v29, vcc, 1, v29
	v_addc_co_u32_e32 v30, vcc, 0, v30, vcc
	v_cmp_eq_u32_e32 vcc, 1, v29
	s_waitcnt vmcnt(2)
	v_cndmask_b32_e32 v34, v2, v3, vcc
	v_cmp_lt_u32_e32 vcc, 10, v29
	v_cmp_eq_u32_e64 s[2:3], 2, v29
	v_cndmask_b32_e64 v34, v34, v4, s[2:3]
	s_or_b64 s[8:9], vcc, s[8:9]
	v_cmp_eq_u32_e32 vcc, 3, v29
	v_cndmask_b32_e32 v34, v34, v5, vcc
	v_cmp_eq_u32_e32 vcc, 4, v29
	v_cndmask_b32_e32 v34, v34, v6, vcc
	;; [unrolled: 2-line block ×19, first 2 shown]
	v_cmp_eq_u32_e32 vcc, 22, v29
	ds_read_b32 v33, v32
	v_cndmask_b32_e32 v34, v34, v24, vcc
	v_cmp_eq_u32_e32 vcc, 23, v29
	v_cndmask_b32_e32 v34, v34, v25, vcc
	v_cmp_eq_u32_e32 vcc, 24, v29
	;; [unrolled: 2-line block ×3, first 2 shown]
	s_waitcnt vmcnt(1)
	v_cndmask_b32_e32 v34, v34, v27, vcc
	v_cmp_eq_u32_e32 vcc, 26, v29
	s_waitcnt vmcnt(0)
	v_cndmask_b32_e32 v34, v34, v28, vcc
	v_add_u32_e32 v32, 4, v32
	s_waitcnt lgkmcnt(0)
	v_fmac_f32_e32 v31, v34, v33
	s_andn2_b64 exec, exec, s[8:9]
	s_cbranch_execnz .LBB26_521
; %bb.522:
	s_or_b64 exec, exec, s[8:9]
.LBB26_523:
	s_or_b64 exec, exec, s[6:7]
	v_mov_b32_e32 v14, 0
	ds_read_b32 v14, v14 offset:48
	s_waitcnt lgkmcnt(0)
	v_mul_f32_e32 v14, v31, v14
.LBB26_524:
	s_or_b64 exec, exec, s[4:5]
	v_cmp_gt_u32_e32 vcc, 13, v0
	s_waitcnt vmcnt(14)
	ds_write_b32 v115, v15
	s_waitcnt lgkmcnt(0)
	; wave barrier
	s_and_saveexec_b64 s[4:5], vcc
	s_cbranch_execz .LBB26_534
; %bb.525:
	s_and_b64 vcc, exec, s[0:1]
	s_cbranch_vccnz .LBB26_527
; %bb.526:
	v_cmp_eq_u32_e32 vcc, 1, v0
	s_waitcnt vmcnt(2)
	v_cndmask_b32_e32 v29, v2, v3, vcc
	v_cmp_eq_u32_e32 vcc, 2, v0
	v_cndmask_b32_e32 v29, v29, v4, vcc
	v_cmp_eq_u32_e32 vcc, 3, v0
	;; [unrolled: 2-line block ×22, first 2 shown]
	ds_read_b32 v30, v115
	v_cndmask_b32_e32 v29, v29, v25, vcc
	v_cmp_eq_u32_e32 vcc, 24, v0
	v_cndmask_b32_e32 v29, v29, v26, vcc
	v_cmp_eq_u32_e32 vcc, 25, v0
	s_waitcnt vmcnt(1)
	v_cndmask_b32_e32 v29, v29, v27, vcc
	v_cmp_eq_u32_e32 vcc, 26, v0
	s_waitcnt vmcnt(0)
	v_cndmask_b32_e32 v29, v29, v28, vcc
	s_waitcnt lgkmcnt(0)
	v_mul_f32_e32 v31, v29, v30
	s_cbranch_execz .LBB26_528
	s_branch .LBB26_529
.LBB26_527:
                                        ; implicit-def: $vgpr31
.LBB26_528:
	ds_read_b32 v31, v115
.LBB26_529:
	v_cmp_ne_u32_e32 vcc, 12, v0
	s_and_saveexec_b64 s[6:7], vcc
	s_cbranch_execz .LBB26_533
; %bb.530:
	v_mov_b32_e32 v29, 0x74
	v_lshl_add_u32 v32, v0, 2, v29
	v_mov_b32_e32 v30, v1
	s_mov_b64 s[8:9], 0
	v_mov_b32_e32 v29, v0
.LBB26_531:                             ; =>This Inner Loop Header: Depth=1
	v_add_co_u32_e32 v29, vcc, 1, v29
	v_addc_co_u32_e32 v30, vcc, 0, v30, vcc
	v_cmp_eq_u32_e32 vcc, 1, v29
	s_waitcnt vmcnt(2)
	v_cndmask_b32_e32 v34, v2, v3, vcc
	v_cmp_lt_u32_e32 vcc, 11, v29
	v_cmp_eq_u32_e64 s[2:3], 2, v29
	v_cndmask_b32_e64 v34, v34, v4, s[2:3]
	s_or_b64 s[8:9], vcc, s[8:9]
	v_cmp_eq_u32_e32 vcc, 3, v29
	v_cndmask_b32_e32 v34, v34, v5, vcc
	v_cmp_eq_u32_e32 vcc, 4, v29
	v_cndmask_b32_e32 v34, v34, v6, vcc
	;; [unrolled: 2-line block ×19, first 2 shown]
	v_cmp_eq_u32_e32 vcc, 22, v29
	ds_read_b32 v33, v32
	v_cndmask_b32_e32 v34, v34, v24, vcc
	v_cmp_eq_u32_e32 vcc, 23, v29
	v_cndmask_b32_e32 v34, v34, v25, vcc
	v_cmp_eq_u32_e32 vcc, 24, v29
	;; [unrolled: 2-line block ×3, first 2 shown]
	s_waitcnt vmcnt(1)
	v_cndmask_b32_e32 v34, v34, v27, vcc
	v_cmp_eq_u32_e32 vcc, 26, v29
	s_waitcnt vmcnt(0)
	v_cndmask_b32_e32 v34, v34, v28, vcc
	v_add_u32_e32 v32, 4, v32
	s_waitcnt lgkmcnt(0)
	v_fmac_f32_e32 v31, v34, v33
	s_andn2_b64 exec, exec, s[8:9]
	s_cbranch_execnz .LBB26_531
; %bb.532:
	s_or_b64 exec, exec, s[8:9]
.LBB26_533:
	s_or_b64 exec, exec, s[6:7]
	v_mov_b32_e32 v15, 0
	ds_read_b32 v15, v15 offset:52
	s_waitcnt lgkmcnt(0)
	v_mul_f32_e32 v15, v31, v15
.LBB26_534:
	s_or_b64 exec, exec, s[4:5]
	v_cmp_gt_u32_e32 vcc, 14, v0
	s_waitcnt vmcnt(13)
	ds_write_b32 v115, v16
	s_waitcnt lgkmcnt(0)
	; wave barrier
	s_and_saveexec_b64 s[4:5], vcc
	s_cbranch_execz .LBB26_544
; %bb.535:
	s_and_b64 vcc, exec, s[0:1]
	s_cbranch_vccnz .LBB26_537
; %bb.536:
	v_cmp_eq_u32_e32 vcc, 1, v0
	s_waitcnt vmcnt(2)
	v_cndmask_b32_e32 v29, v2, v3, vcc
	v_cmp_eq_u32_e32 vcc, 2, v0
	v_cndmask_b32_e32 v29, v29, v4, vcc
	v_cmp_eq_u32_e32 vcc, 3, v0
	v_cndmask_b32_e32 v29, v29, v5, vcc
	v_cmp_eq_u32_e32 vcc, 4, v0
	v_cndmask_b32_e32 v29, v29, v6, vcc
	v_cmp_eq_u32_e32 vcc, 5, v0
	v_cndmask_b32_e32 v29, v29, v7, vcc
	v_cmp_eq_u32_e32 vcc, 6, v0
	v_cndmask_b32_e32 v29, v29, v8, vcc
	v_cmp_eq_u32_e32 vcc, 7, v0
	v_cndmask_b32_e32 v29, v29, v9, vcc
	v_cmp_eq_u32_e32 vcc, 8, v0
	v_cndmask_b32_e32 v29, v29, v10, vcc
	v_cmp_eq_u32_e32 vcc, 9, v0
	v_cndmask_b32_e32 v29, v29, v11, vcc
	v_cmp_eq_u32_e32 vcc, 10, v0
	v_cndmask_b32_e32 v29, v29, v12, vcc
	v_cmp_eq_u32_e32 vcc, 11, v0
	v_cndmask_b32_e32 v29, v29, v13, vcc
	v_cmp_eq_u32_e32 vcc, 12, v0
	v_cndmask_b32_e32 v29, v29, v14, vcc
	v_cmp_eq_u32_e32 vcc, 13, v0
	v_cndmask_b32_e32 v29, v29, v15, vcc
	v_cmp_eq_u32_e32 vcc, 14, v0
	v_cndmask_b32_e32 v29, v29, v16, vcc
	v_cmp_eq_u32_e32 vcc, 15, v0
	v_cndmask_b32_e32 v29, v29, v17, vcc
	v_cmp_eq_u32_e32 vcc, 16, v0
	v_cndmask_b32_e32 v29, v29, v18, vcc
	v_cmp_eq_u32_e32 vcc, 17, v0
	v_cndmask_b32_e32 v29, v29, v19, vcc
	v_cmp_eq_u32_e32 vcc, 18, v0
	v_cndmask_b32_e32 v29, v29, v20, vcc
	v_cmp_eq_u32_e32 vcc, 19, v0
	v_cndmask_b32_e32 v29, v29, v21, vcc
	v_cmp_eq_u32_e32 vcc, 20, v0
	v_cndmask_b32_e32 v29, v29, v22, vcc
	v_cmp_eq_u32_e32 vcc, 21, v0
	v_cndmask_b32_e32 v29, v29, v23, vcc
	v_cmp_eq_u32_e32 vcc, 22, v0
	v_cndmask_b32_e32 v29, v29, v24, vcc
	v_cmp_eq_u32_e32 vcc, 23, v0
	ds_read_b32 v30, v115
	v_cndmask_b32_e32 v29, v29, v25, vcc
	v_cmp_eq_u32_e32 vcc, 24, v0
	v_cndmask_b32_e32 v29, v29, v26, vcc
	v_cmp_eq_u32_e32 vcc, 25, v0
	s_waitcnt vmcnt(1)
	v_cndmask_b32_e32 v29, v29, v27, vcc
	v_cmp_eq_u32_e32 vcc, 26, v0
	s_waitcnt vmcnt(0)
	v_cndmask_b32_e32 v29, v29, v28, vcc
	s_waitcnt lgkmcnt(0)
	v_mul_f32_e32 v31, v29, v30
	s_cbranch_execz .LBB26_538
	s_branch .LBB26_539
.LBB26_537:
                                        ; implicit-def: $vgpr31
.LBB26_538:
	ds_read_b32 v31, v115
.LBB26_539:
	v_cmp_ne_u32_e32 vcc, 13, v0
	s_and_saveexec_b64 s[6:7], vcc
	s_cbranch_execz .LBB26_543
; %bb.540:
	v_mov_b32_e32 v29, 0x74
	v_lshl_add_u32 v32, v0, 2, v29
	v_mov_b32_e32 v30, v1
	s_mov_b64 s[8:9], 0
	v_mov_b32_e32 v29, v0
.LBB26_541:                             ; =>This Inner Loop Header: Depth=1
	v_add_co_u32_e32 v29, vcc, 1, v29
	v_addc_co_u32_e32 v30, vcc, 0, v30, vcc
	v_cmp_eq_u32_e32 vcc, 1, v29
	s_waitcnt vmcnt(2)
	v_cndmask_b32_e32 v34, v2, v3, vcc
	v_cmp_lt_u32_e32 vcc, 12, v29
	v_cmp_eq_u32_e64 s[2:3], 2, v29
	v_cndmask_b32_e64 v34, v34, v4, s[2:3]
	s_or_b64 s[8:9], vcc, s[8:9]
	v_cmp_eq_u32_e32 vcc, 3, v29
	v_cndmask_b32_e32 v34, v34, v5, vcc
	v_cmp_eq_u32_e32 vcc, 4, v29
	v_cndmask_b32_e32 v34, v34, v6, vcc
	;; [unrolled: 2-line block ×19, first 2 shown]
	v_cmp_eq_u32_e32 vcc, 22, v29
	ds_read_b32 v33, v32
	v_cndmask_b32_e32 v34, v34, v24, vcc
	v_cmp_eq_u32_e32 vcc, 23, v29
	v_cndmask_b32_e32 v34, v34, v25, vcc
	v_cmp_eq_u32_e32 vcc, 24, v29
	;; [unrolled: 2-line block ×3, first 2 shown]
	s_waitcnt vmcnt(1)
	v_cndmask_b32_e32 v34, v34, v27, vcc
	v_cmp_eq_u32_e32 vcc, 26, v29
	s_waitcnt vmcnt(0)
	v_cndmask_b32_e32 v34, v34, v28, vcc
	v_add_u32_e32 v32, 4, v32
	s_waitcnt lgkmcnt(0)
	v_fmac_f32_e32 v31, v34, v33
	s_andn2_b64 exec, exec, s[8:9]
	s_cbranch_execnz .LBB26_541
; %bb.542:
	s_or_b64 exec, exec, s[8:9]
.LBB26_543:
	s_or_b64 exec, exec, s[6:7]
	v_mov_b32_e32 v16, 0
	ds_read_b32 v16, v16 offset:56
	s_waitcnt lgkmcnt(0)
	v_mul_f32_e32 v16, v31, v16
.LBB26_544:
	s_or_b64 exec, exec, s[4:5]
	v_cmp_gt_u32_e32 vcc, 15, v0
	s_waitcnt vmcnt(12)
	ds_write_b32 v115, v17
	s_waitcnt lgkmcnt(0)
	; wave barrier
	s_and_saveexec_b64 s[4:5], vcc
	s_cbranch_execz .LBB26_554
; %bb.545:
	s_and_b64 vcc, exec, s[0:1]
	s_cbranch_vccnz .LBB26_547
; %bb.546:
	v_cmp_eq_u32_e32 vcc, 1, v0
	s_waitcnt vmcnt(2)
	v_cndmask_b32_e32 v29, v2, v3, vcc
	v_cmp_eq_u32_e32 vcc, 2, v0
	v_cndmask_b32_e32 v29, v29, v4, vcc
	v_cmp_eq_u32_e32 vcc, 3, v0
	;; [unrolled: 2-line block ×22, first 2 shown]
	ds_read_b32 v30, v115
	v_cndmask_b32_e32 v29, v29, v25, vcc
	v_cmp_eq_u32_e32 vcc, 24, v0
	v_cndmask_b32_e32 v29, v29, v26, vcc
	v_cmp_eq_u32_e32 vcc, 25, v0
	s_waitcnt vmcnt(1)
	v_cndmask_b32_e32 v29, v29, v27, vcc
	v_cmp_eq_u32_e32 vcc, 26, v0
	s_waitcnt vmcnt(0)
	v_cndmask_b32_e32 v29, v29, v28, vcc
	s_waitcnt lgkmcnt(0)
	v_mul_f32_e32 v31, v29, v30
	s_cbranch_execz .LBB26_548
	s_branch .LBB26_549
.LBB26_547:
                                        ; implicit-def: $vgpr31
.LBB26_548:
	ds_read_b32 v31, v115
.LBB26_549:
	v_cmp_ne_u32_e32 vcc, 14, v0
	s_and_saveexec_b64 s[6:7], vcc
	s_cbranch_execz .LBB26_553
; %bb.550:
	v_mov_b32_e32 v29, 0x74
	v_lshl_add_u32 v32, v0, 2, v29
	v_mov_b32_e32 v30, v1
	s_mov_b64 s[8:9], 0
	v_mov_b32_e32 v29, v0
.LBB26_551:                             ; =>This Inner Loop Header: Depth=1
	v_add_co_u32_e32 v29, vcc, 1, v29
	v_addc_co_u32_e32 v30, vcc, 0, v30, vcc
	v_cmp_eq_u32_e32 vcc, 1, v29
	s_waitcnt vmcnt(2)
	v_cndmask_b32_e32 v34, v2, v3, vcc
	v_cmp_lt_u32_e32 vcc, 13, v29
	v_cmp_eq_u32_e64 s[2:3], 2, v29
	v_cndmask_b32_e64 v34, v34, v4, s[2:3]
	s_or_b64 s[8:9], vcc, s[8:9]
	v_cmp_eq_u32_e32 vcc, 3, v29
	v_cndmask_b32_e32 v34, v34, v5, vcc
	v_cmp_eq_u32_e32 vcc, 4, v29
	v_cndmask_b32_e32 v34, v34, v6, vcc
	;; [unrolled: 2-line block ×19, first 2 shown]
	v_cmp_eq_u32_e32 vcc, 22, v29
	ds_read_b32 v33, v32
	v_cndmask_b32_e32 v34, v34, v24, vcc
	v_cmp_eq_u32_e32 vcc, 23, v29
	v_cndmask_b32_e32 v34, v34, v25, vcc
	v_cmp_eq_u32_e32 vcc, 24, v29
	;; [unrolled: 2-line block ×3, first 2 shown]
	s_waitcnt vmcnt(1)
	v_cndmask_b32_e32 v34, v34, v27, vcc
	v_cmp_eq_u32_e32 vcc, 26, v29
	s_waitcnt vmcnt(0)
	v_cndmask_b32_e32 v34, v34, v28, vcc
	v_add_u32_e32 v32, 4, v32
	s_waitcnt lgkmcnt(0)
	v_fmac_f32_e32 v31, v34, v33
	s_andn2_b64 exec, exec, s[8:9]
	s_cbranch_execnz .LBB26_551
; %bb.552:
	s_or_b64 exec, exec, s[8:9]
.LBB26_553:
	s_or_b64 exec, exec, s[6:7]
	v_mov_b32_e32 v17, 0
	ds_read_b32 v17, v17 offset:60
	s_waitcnt lgkmcnt(0)
	v_mul_f32_e32 v17, v31, v17
.LBB26_554:
	s_or_b64 exec, exec, s[4:5]
	v_cmp_gt_u32_e32 vcc, 16, v0
	s_waitcnt vmcnt(11)
	ds_write_b32 v115, v18
	s_waitcnt lgkmcnt(0)
	; wave barrier
	s_and_saveexec_b64 s[4:5], vcc
	s_cbranch_execz .LBB26_564
; %bb.555:
	s_and_b64 vcc, exec, s[0:1]
	s_cbranch_vccnz .LBB26_557
; %bb.556:
	v_cmp_eq_u32_e32 vcc, 1, v0
	s_waitcnt vmcnt(2)
	v_cndmask_b32_e32 v29, v2, v3, vcc
	v_cmp_eq_u32_e32 vcc, 2, v0
	v_cndmask_b32_e32 v29, v29, v4, vcc
	v_cmp_eq_u32_e32 vcc, 3, v0
	;; [unrolled: 2-line block ×22, first 2 shown]
	ds_read_b32 v30, v115
	v_cndmask_b32_e32 v29, v29, v25, vcc
	v_cmp_eq_u32_e32 vcc, 24, v0
	v_cndmask_b32_e32 v29, v29, v26, vcc
	v_cmp_eq_u32_e32 vcc, 25, v0
	s_waitcnt vmcnt(1)
	v_cndmask_b32_e32 v29, v29, v27, vcc
	v_cmp_eq_u32_e32 vcc, 26, v0
	s_waitcnt vmcnt(0)
	v_cndmask_b32_e32 v29, v29, v28, vcc
	s_waitcnt lgkmcnt(0)
	v_mul_f32_e32 v31, v29, v30
	s_cbranch_execz .LBB26_558
	s_branch .LBB26_559
.LBB26_557:
                                        ; implicit-def: $vgpr31
.LBB26_558:
	ds_read_b32 v31, v115
.LBB26_559:
	v_cmp_ne_u32_e32 vcc, 15, v0
	s_and_saveexec_b64 s[6:7], vcc
	s_cbranch_execz .LBB26_563
; %bb.560:
	v_mov_b32_e32 v29, 0x74
	v_lshl_add_u32 v32, v0, 2, v29
	v_mov_b32_e32 v30, v1
	s_mov_b64 s[8:9], 0
	v_mov_b32_e32 v29, v0
.LBB26_561:                             ; =>This Inner Loop Header: Depth=1
	v_add_co_u32_e32 v29, vcc, 1, v29
	v_addc_co_u32_e32 v30, vcc, 0, v30, vcc
	v_cmp_eq_u32_e32 vcc, 1, v29
	s_waitcnt vmcnt(2)
	v_cndmask_b32_e32 v34, v2, v3, vcc
	v_cmp_lt_u32_e32 vcc, 14, v29
	v_cmp_eq_u32_e64 s[2:3], 2, v29
	v_cndmask_b32_e64 v34, v34, v4, s[2:3]
	s_or_b64 s[8:9], vcc, s[8:9]
	v_cmp_eq_u32_e32 vcc, 3, v29
	v_cndmask_b32_e32 v34, v34, v5, vcc
	v_cmp_eq_u32_e32 vcc, 4, v29
	v_cndmask_b32_e32 v34, v34, v6, vcc
	;; [unrolled: 2-line block ×19, first 2 shown]
	v_cmp_eq_u32_e32 vcc, 22, v29
	ds_read_b32 v33, v32
	v_cndmask_b32_e32 v34, v34, v24, vcc
	v_cmp_eq_u32_e32 vcc, 23, v29
	v_cndmask_b32_e32 v34, v34, v25, vcc
	v_cmp_eq_u32_e32 vcc, 24, v29
	;; [unrolled: 2-line block ×3, first 2 shown]
	s_waitcnt vmcnt(1)
	v_cndmask_b32_e32 v34, v34, v27, vcc
	v_cmp_eq_u32_e32 vcc, 26, v29
	s_waitcnt vmcnt(0)
	v_cndmask_b32_e32 v34, v34, v28, vcc
	v_add_u32_e32 v32, 4, v32
	s_waitcnt lgkmcnt(0)
	v_fmac_f32_e32 v31, v34, v33
	s_andn2_b64 exec, exec, s[8:9]
	s_cbranch_execnz .LBB26_561
; %bb.562:
	s_or_b64 exec, exec, s[8:9]
.LBB26_563:
	s_or_b64 exec, exec, s[6:7]
	v_mov_b32_e32 v18, 0
	ds_read_b32 v18, v18 offset:64
	s_waitcnt lgkmcnt(0)
	v_mul_f32_e32 v18, v31, v18
.LBB26_564:
	s_or_b64 exec, exec, s[4:5]
	v_cmp_gt_u32_e32 vcc, 17, v0
	s_waitcnt vmcnt(10)
	ds_write_b32 v115, v19
	s_waitcnt lgkmcnt(0)
	; wave barrier
	s_and_saveexec_b64 s[4:5], vcc
	s_cbranch_execz .LBB26_574
; %bb.565:
	s_and_b64 vcc, exec, s[0:1]
	s_cbranch_vccnz .LBB26_567
; %bb.566:
	v_cmp_eq_u32_e32 vcc, 1, v0
	s_waitcnt vmcnt(2)
	v_cndmask_b32_e32 v29, v2, v3, vcc
	v_cmp_eq_u32_e32 vcc, 2, v0
	v_cndmask_b32_e32 v29, v29, v4, vcc
	v_cmp_eq_u32_e32 vcc, 3, v0
	;; [unrolled: 2-line block ×22, first 2 shown]
	ds_read_b32 v30, v115
	v_cndmask_b32_e32 v29, v29, v25, vcc
	v_cmp_eq_u32_e32 vcc, 24, v0
	v_cndmask_b32_e32 v29, v29, v26, vcc
	v_cmp_eq_u32_e32 vcc, 25, v0
	s_waitcnt vmcnt(1)
	v_cndmask_b32_e32 v29, v29, v27, vcc
	v_cmp_eq_u32_e32 vcc, 26, v0
	s_waitcnt vmcnt(0)
	v_cndmask_b32_e32 v29, v29, v28, vcc
	s_waitcnt lgkmcnt(0)
	v_mul_f32_e32 v31, v29, v30
	s_cbranch_execz .LBB26_568
	s_branch .LBB26_569
.LBB26_567:
                                        ; implicit-def: $vgpr31
.LBB26_568:
	ds_read_b32 v31, v115
.LBB26_569:
	v_cmp_ne_u32_e32 vcc, 16, v0
	s_and_saveexec_b64 s[6:7], vcc
	s_cbranch_execz .LBB26_573
; %bb.570:
	v_mov_b32_e32 v29, 0x74
	v_lshl_add_u32 v32, v0, 2, v29
	v_mov_b32_e32 v30, v1
	s_mov_b64 s[8:9], 0
	v_mov_b32_e32 v29, v0
.LBB26_571:                             ; =>This Inner Loop Header: Depth=1
	v_add_co_u32_e32 v29, vcc, 1, v29
	v_addc_co_u32_e32 v30, vcc, 0, v30, vcc
	v_cmp_eq_u32_e32 vcc, 1, v29
	s_waitcnt vmcnt(2)
	v_cndmask_b32_e32 v34, v2, v3, vcc
	v_cmp_lt_u32_e32 vcc, 15, v29
	v_cmp_eq_u32_e64 s[2:3], 2, v29
	v_cndmask_b32_e64 v34, v34, v4, s[2:3]
	s_or_b64 s[8:9], vcc, s[8:9]
	v_cmp_eq_u32_e32 vcc, 3, v29
	v_cndmask_b32_e32 v34, v34, v5, vcc
	v_cmp_eq_u32_e32 vcc, 4, v29
	v_cndmask_b32_e32 v34, v34, v6, vcc
	;; [unrolled: 2-line block ×19, first 2 shown]
	v_cmp_eq_u32_e32 vcc, 22, v29
	ds_read_b32 v33, v32
	v_cndmask_b32_e32 v34, v34, v24, vcc
	v_cmp_eq_u32_e32 vcc, 23, v29
	v_cndmask_b32_e32 v34, v34, v25, vcc
	v_cmp_eq_u32_e32 vcc, 24, v29
	;; [unrolled: 2-line block ×3, first 2 shown]
	s_waitcnt vmcnt(1)
	v_cndmask_b32_e32 v34, v34, v27, vcc
	v_cmp_eq_u32_e32 vcc, 26, v29
	s_waitcnt vmcnt(0)
	v_cndmask_b32_e32 v34, v34, v28, vcc
	v_add_u32_e32 v32, 4, v32
	s_waitcnt lgkmcnt(0)
	v_fmac_f32_e32 v31, v34, v33
	s_andn2_b64 exec, exec, s[8:9]
	s_cbranch_execnz .LBB26_571
; %bb.572:
	s_or_b64 exec, exec, s[8:9]
.LBB26_573:
	s_or_b64 exec, exec, s[6:7]
	v_mov_b32_e32 v19, 0
	ds_read_b32 v19, v19 offset:68
	s_waitcnt lgkmcnt(0)
	v_mul_f32_e32 v19, v31, v19
.LBB26_574:
	s_or_b64 exec, exec, s[4:5]
	v_cmp_gt_u32_e32 vcc, 18, v0
	s_waitcnt vmcnt(9)
	ds_write_b32 v115, v20
	s_waitcnt lgkmcnt(0)
	; wave barrier
	s_and_saveexec_b64 s[4:5], vcc
	s_cbranch_execz .LBB26_584
; %bb.575:
	s_and_b64 vcc, exec, s[0:1]
	s_cbranch_vccnz .LBB26_577
; %bb.576:
	v_cmp_eq_u32_e32 vcc, 1, v0
	s_waitcnt vmcnt(2)
	v_cndmask_b32_e32 v29, v2, v3, vcc
	v_cmp_eq_u32_e32 vcc, 2, v0
	v_cndmask_b32_e32 v29, v29, v4, vcc
	v_cmp_eq_u32_e32 vcc, 3, v0
	;; [unrolled: 2-line block ×22, first 2 shown]
	ds_read_b32 v30, v115
	v_cndmask_b32_e32 v29, v29, v25, vcc
	v_cmp_eq_u32_e32 vcc, 24, v0
	v_cndmask_b32_e32 v29, v29, v26, vcc
	v_cmp_eq_u32_e32 vcc, 25, v0
	s_waitcnt vmcnt(1)
	v_cndmask_b32_e32 v29, v29, v27, vcc
	v_cmp_eq_u32_e32 vcc, 26, v0
	s_waitcnt vmcnt(0)
	v_cndmask_b32_e32 v29, v29, v28, vcc
	s_waitcnt lgkmcnt(0)
	v_mul_f32_e32 v31, v29, v30
	s_cbranch_execz .LBB26_578
	s_branch .LBB26_579
.LBB26_577:
                                        ; implicit-def: $vgpr31
.LBB26_578:
	ds_read_b32 v31, v115
.LBB26_579:
	v_cmp_ne_u32_e32 vcc, 17, v0
	s_and_saveexec_b64 s[6:7], vcc
	s_cbranch_execz .LBB26_583
; %bb.580:
	v_mov_b32_e32 v29, 0x74
	v_lshl_add_u32 v32, v0, 2, v29
	v_mov_b32_e32 v30, v1
	s_mov_b64 s[8:9], 0
	v_mov_b32_e32 v29, v0
.LBB26_581:                             ; =>This Inner Loop Header: Depth=1
	v_add_co_u32_e32 v29, vcc, 1, v29
	v_addc_co_u32_e32 v30, vcc, 0, v30, vcc
	v_cmp_eq_u32_e32 vcc, 1, v29
	s_waitcnt vmcnt(2)
	v_cndmask_b32_e32 v34, v2, v3, vcc
	v_cmp_lt_u32_e32 vcc, 16, v29
	v_cmp_eq_u32_e64 s[2:3], 2, v29
	v_cndmask_b32_e64 v34, v34, v4, s[2:3]
	s_or_b64 s[8:9], vcc, s[8:9]
	v_cmp_eq_u32_e32 vcc, 3, v29
	v_cndmask_b32_e32 v34, v34, v5, vcc
	v_cmp_eq_u32_e32 vcc, 4, v29
	v_cndmask_b32_e32 v34, v34, v6, vcc
	;; [unrolled: 2-line block ×19, first 2 shown]
	v_cmp_eq_u32_e32 vcc, 22, v29
	ds_read_b32 v33, v32
	v_cndmask_b32_e32 v34, v34, v24, vcc
	v_cmp_eq_u32_e32 vcc, 23, v29
	v_cndmask_b32_e32 v34, v34, v25, vcc
	v_cmp_eq_u32_e32 vcc, 24, v29
	;; [unrolled: 2-line block ×3, first 2 shown]
	s_waitcnt vmcnt(1)
	v_cndmask_b32_e32 v34, v34, v27, vcc
	v_cmp_eq_u32_e32 vcc, 26, v29
	s_waitcnt vmcnt(0)
	v_cndmask_b32_e32 v34, v34, v28, vcc
	v_add_u32_e32 v32, 4, v32
	s_waitcnt lgkmcnt(0)
	v_fmac_f32_e32 v31, v34, v33
	s_andn2_b64 exec, exec, s[8:9]
	s_cbranch_execnz .LBB26_581
; %bb.582:
	s_or_b64 exec, exec, s[8:9]
.LBB26_583:
	s_or_b64 exec, exec, s[6:7]
	v_mov_b32_e32 v20, 0
	ds_read_b32 v20, v20 offset:72
	s_waitcnt lgkmcnt(0)
	v_mul_f32_e32 v20, v31, v20
.LBB26_584:
	s_or_b64 exec, exec, s[4:5]
	v_cmp_gt_u32_e32 vcc, 19, v0
	s_waitcnt vmcnt(8)
	ds_write_b32 v115, v21
	s_waitcnt lgkmcnt(0)
	; wave barrier
	s_and_saveexec_b64 s[4:5], vcc
	s_cbranch_execz .LBB26_594
; %bb.585:
	s_and_b64 vcc, exec, s[0:1]
	s_cbranch_vccnz .LBB26_587
; %bb.586:
	v_cmp_eq_u32_e32 vcc, 1, v0
	s_waitcnt vmcnt(2)
	v_cndmask_b32_e32 v29, v2, v3, vcc
	v_cmp_eq_u32_e32 vcc, 2, v0
	v_cndmask_b32_e32 v29, v29, v4, vcc
	v_cmp_eq_u32_e32 vcc, 3, v0
	;; [unrolled: 2-line block ×22, first 2 shown]
	ds_read_b32 v30, v115
	v_cndmask_b32_e32 v29, v29, v25, vcc
	v_cmp_eq_u32_e32 vcc, 24, v0
	v_cndmask_b32_e32 v29, v29, v26, vcc
	v_cmp_eq_u32_e32 vcc, 25, v0
	s_waitcnt vmcnt(1)
	v_cndmask_b32_e32 v29, v29, v27, vcc
	v_cmp_eq_u32_e32 vcc, 26, v0
	s_waitcnt vmcnt(0)
	v_cndmask_b32_e32 v29, v29, v28, vcc
	s_waitcnt lgkmcnt(0)
	v_mul_f32_e32 v31, v29, v30
	s_cbranch_execz .LBB26_588
	s_branch .LBB26_589
.LBB26_587:
                                        ; implicit-def: $vgpr31
.LBB26_588:
	ds_read_b32 v31, v115
.LBB26_589:
	v_cmp_ne_u32_e32 vcc, 18, v0
	s_and_saveexec_b64 s[6:7], vcc
	s_cbranch_execz .LBB26_593
; %bb.590:
	v_mov_b32_e32 v29, 0x74
	v_lshl_add_u32 v32, v0, 2, v29
	v_mov_b32_e32 v30, v1
	s_mov_b64 s[8:9], 0
	v_mov_b32_e32 v29, v0
.LBB26_591:                             ; =>This Inner Loop Header: Depth=1
	v_add_co_u32_e32 v29, vcc, 1, v29
	v_addc_co_u32_e32 v30, vcc, 0, v30, vcc
	v_cmp_eq_u32_e32 vcc, 1, v29
	s_waitcnt vmcnt(2)
	v_cndmask_b32_e32 v34, v2, v3, vcc
	v_cmp_lt_u32_e32 vcc, 17, v29
	v_cmp_eq_u32_e64 s[2:3], 2, v29
	v_cndmask_b32_e64 v34, v34, v4, s[2:3]
	s_or_b64 s[8:9], vcc, s[8:9]
	v_cmp_eq_u32_e32 vcc, 3, v29
	v_cndmask_b32_e32 v34, v34, v5, vcc
	v_cmp_eq_u32_e32 vcc, 4, v29
	v_cndmask_b32_e32 v34, v34, v6, vcc
	;; [unrolled: 2-line block ×19, first 2 shown]
	v_cmp_eq_u32_e32 vcc, 22, v29
	ds_read_b32 v33, v32
	v_cndmask_b32_e32 v34, v34, v24, vcc
	v_cmp_eq_u32_e32 vcc, 23, v29
	v_cndmask_b32_e32 v34, v34, v25, vcc
	v_cmp_eq_u32_e32 vcc, 24, v29
	;; [unrolled: 2-line block ×3, first 2 shown]
	s_waitcnt vmcnt(1)
	v_cndmask_b32_e32 v34, v34, v27, vcc
	v_cmp_eq_u32_e32 vcc, 26, v29
	s_waitcnt vmcnt(0)
	v_cndmask_b32_e32 v34, v34, v28, vcc
	v_add_u32_e32 v32, 4, v32
	s_waitcnt lgkmcnt(0)
	v_fmac_f32_e32 v31, v34, v33
	s_andn2_b64 exec, exec, s[8:9]
	s_cbranch_execnz .LBB26_591
; %bb.592:
	s_or_b64 exec, exec, s[8:9]
.LBB26_593:
	s_or_b64 exec, exec, s[6:7]
	v_mov_b32_e32 v21, 0
	ds_read_b32 v21, v21 offset:76
	s_waitcnt lgkmcnt(0)
	v_mul_f32_e32 v21, v31, v21
.LBB26_594:
	s_or_b64 exec, exec, s[4:5]
	v_cmp_gt_u32_e32 vcc, 20, v0
	s_waitcnt vmcnt(7)
	ds_write_b32 v115, v22
	s_waitcnt lgkmcnt(0)
	; wave barrier
	s_and_saveexec_b64 s[4:5], vcc
	s_cbranch_execz .LBB26_604
; %bb.595:
	s_and_b64 vcc, exec, s[0:1]
	s_cbranch_vccnz .LBB26_597
; %bb.596:
	v_cmp_eq_u32_e32 vcc, 1, v0
	s_waitcnt vmcnt(2)
	v_cndmask_b32_e32 v29, v2, v3, vcc
	v_cmp_eq_u32_e32 vcc, 2, v0
	v_cndmask_b32_e32 v29, v29, v4, vcc
	v_cmp_eq_u32_e32 vcc, 3, v0
	;; [unrolled: 2-line block ×22, first 2 shown]
	ds_read_b32 v30, v115
	v_cndmask_b32_e32 v29, v29, v25, vcc
	v_cmp_eq_u32_e32 vcc, 24, v0
	v_cndmask_b32_e32 v29, v29, v26, vcc
	v_cmp_eq_u32_e32 vcc, 25, v0
	s_waitcnt vmcnt(1)
	v_cndmask_b32_e32 v29, v29, v27, vcc
	v_cmp_eq_u32_e32 vcc, 26, v0
	s_waitcnt vmcnt(0)
	v_cndmask_b32_e32 v29, v29, v28, vcc
	s_waitcnt lgkmcnt(0)
	v_mul_f32_e32 v31, v29, v30
	s_cbranch_execz .LBB26_598
	s_branch .LBB26_599
.LBB26_597:
                                        ; implicit-def: $vgpr31
.LBB26_598:
	ds_read_b32 v31, v115
.LBB26_599:
	v_cmp_ne_u32_e32 vcc, 19, v0
	s_and_saveexec_b64 s[6:7], vcc
	s_cbranch_execz .LBB26_603
; %bb.600:
	v_mov_b32_e32 v29, 0x74
	v_lshl_add_u32 v32, v0, 2, v29
	v_mov_b32_e32 v30, v1
	s_mov_b64 s[8:9], 0
	v_mov_b32_e32 v29, v0
.LBB26_601:                             ; =>This Inner Loop Header: Depth=1
	v_add_co_u32_e32 v29, vcc, 1, v29
	v_addc_co_u32_e32 v30, vcc, 0, v30, vcc
	v_cmp_eq_u32_e32 vcc, 1, v29
	s_waitcnt vmcnt(2)
	v_cndmask_b32_e32 v34, v2, v3, vcc
	v_cmp_lt_u32_e32 vcc, 18, v29
	v_cmp_eq_u32_e64 s[2:3], 2, v29
	v_cndmask_b32_e64 v34, v34, v4, s[2:3]
	s_or_b64 s[8:9], vcc, s[8:9]
	v_cmp_eq_u32_e32 vcc, 3, v29
	v_cndmask_b32_e32 v34, v34, v5, vcc
	v_cmp_eq_u32_e32 vcc, 4, v29
	v_cndmask_b32_e32 v34, v34, v6, vcc
	;; [unrolled: 2-line block ×19, first 2 shown]
	v_cmp_eq_u32_e32 vcc, 22, v29
	ds_read_b32 v33, v32
	v_cndmask_b32_e32 v34, v34, v24, vcc
	v_cmp_eq_u32_e32 vcc, 23, v29
	v_cndmask_b32_e32 v34, v34, v25, vcc
	v_cmp_eq_u32_e32 vcc, 24, v29
	;; [unrolled: 2-line block ×3, first 2 shown]
	s_waitcnt vmcnt(1)
	v_cndmask_b32_e32 v34, v34, v27, vcc
	v_cmp_eq_u32_e32 vcc, 26, v29
	s_waitcnt vmcnt(0)
	v_cndmask_b32_e32 v34, v34, v28, vcc
	v_add_u32_e32 v32, 4, v32
	s_waitcnt lgkmcnt(0)
	v_fmac_f32_e32 v31, v34, v33
	s_andn2_b64 exec, exec, s[8:9]
	s_cbranch_execnz .LBB26_601
; %bb.602:
	s_or_b64 exec, exec, s[8:9]
.LBB26_603:
	s_or_b64 exec, exec, s[6:7]
	v_mov_b32_e32 v22, 0
	ds_read_b32 v22, v22 offset:80
	s_waitcnt lgkmcnt(0)
	v_mul_f32_e32 v22, v31, v22
.LBB26_604:
	s_or_b64 exec, exec, s[4:5]
	v_cmp_gt_u32_e32 vcc, 21, v0
	s_waitcnt vmcnt(6)
	ds_write_b32 v115, v23
	s_waitcnt lgkmcnt(0)
	; wave barrier
	s_and_saveexec_b64 s[4:5], vcc
	s_cbranch_execz .LBB26_614
; %bb.605:
	s_and_b64 vcc, exec, s[0:1]
	s_cbranch_vccnz .LBB26_607
; %bb.606:
	v_cmp_eq_u32_e32 vcc, 1, v0
	s_waitcnt vmcnt(2)
	v_cndmask_b32_e32 v29, v2, v3, vcc
	v_cmp_eq_u32_e32 vcc, 2, v0
	v_cndmask_b32_e32 v29, v29, v4, vcc
	v_cmp_eq_u32_e32 vcc, 3, v0
	;; [unrolled: 2-line block ×22, first 2 shown]
	ds_read_b32 v30, v115
	v_cndmask_b32_e32 v29, v29, v25, vcc
	v_cmp_eq_u32_e32 vcc, 24, v0
	v_cndmask_b32_e32 v29, v29, v26, vcc
	v_cmp_eq_u32_e32 vcc, 25, v0
	s_waitcnt vmcnt(1)
	v_cndmask_b32_e32 v29, v29, v27, vcc
	v_cmp_eq_u32_e32 vcc, 26, v0
	s_waitcnt vmcnt(0)
	v_cndmask_b32_e32 v29, v29, v28, vcc
	s_waitcnt lgkmcnt(0)
	v_mul_f32_e32 v31, v29, v30
	s_cbranch_execz .LBB26_608
	s_branch .LBB26_609
.LBB26_607:
                                        ; implicit-def: $vgpr31
.LBB26_608:
	ds_read_b32 v31, v115
.LBB26_609:
	v_cmp_ne_u32_e32 vcc, 20, v0
	s_and_saveexec_b64 s[6:7], vcc
	s_cbranch_execz .LBB26_613
; %bb.610:
	v_mov_b32_e32 v29, 0x74
	v_lshl_add_u32 v32, v0, 2, v29
	v_mov_b32_e32 v30, v1
	s_mov_b64 s[8:9], 0
	v_mov_b32_e32 v29, v0
.LBB26_611:                             ; =>This Inner Loop Header: Depth=1
	v_add_co_u32_e32 v29, vcc, 1, v29
	v_addc_co_u32_e32 v30, vcc, 0, v30, vcc
	v_cmp_eq_u32_e32 vcc, 1, v29
	s_waitcnt vmcnt(2)
	v_cndmask_b32_e32 v34, v2, v3, vcc
	v_cmp_lt_u32_e32 vcc, 19, v29
	v_cmp_eq_u32_e64 s[2:3], 2, v29
	v_cndmask_b32_e64 v34, v34, v4, s[2:3]
	s_or_b64 s[8:9], vcc, s[8:9]
	v_cmp_eq_u32_e32 vcc, 3, v29
	v_cndmask_b32_e32 v34, v34, v5, vcc
	v_cmp_eq_u32_e32 vcc, 4, v29
	v_cndmask_b32_e32 v34, v34, v6, vcc
	;; [unrolled: 2-line block ×19, first 2 shown]
	v_cmp_eq_u32_e32 vcc, 22, v29
	ds_read_b32 v33, v32
	v_cndmask_b32_e32 v34, v34, v24, vcc
	v_cmp_eq_u32_e32 vcc, 23, v29
	v_cndmask_b32_e32 v34, v34, v25, vcc
	v_cmp_eq_u32_e32 vcc, 24, v29
	;; [unrolled: 2-line block ×3, first 2 shown]
	s_waitcnt vmcnt(1)
	v_cndmask_b32_e32 v34, v34, v27, vcc
	v_cmp_eq_u32_e32 vcc, 26, v29
	s_waitcnt vmcnt(0)
	v_cndmask_b32_e32 v34, v34, v28, vcc
	v_add_u32_e32 v32, 4, v32
	s_waitcnt lgkmcnt(0)
	v_fmac_f32_e32 v31, v34, v33
	s_andn2_b64 exec, exec, s[8:9]
	s_cbranch_execnz .LBB26_611
; %bb.612:
	s_or_b64 exec, exec, s[8:9]
.LBB26_613:
	s_or_b64 exec, exec, s[6:7]
	v_mov_b32_e32 v23, 0
	ds_read_b32 v23, v23 offset:84
	s_waitcnt lgkmcnt(0)
	v_mul_f32_e32 v23, v31, v23
.LBB26_614:
	s_or_b64 exec, exec, s[4:5]
	v_cmp_gt_u32_e32 vcc, 22, v0
	s_waitcnt vmcnt(5)
	ds_write_b32 v115, v24
	s_waitcnt lgkmcnt(0)
	; wave barrier
	s_and_saveexec_b64 s[4:5], vcc
	s_cbranch_execz .LBB26_624
; %bb.615:
	s_and_b64 vcc, exec, s[0:1]
	s_cbranch_vccnz .LBB26_617
; %bb.616:
	v_cmp_eq_u32_e32 vcc, 1, v0
	s_waitcnt vmcnt(2)
	v_cndmask_b32_e32 v29, v2, v3, vcc
	v_cmp_eq_u32_e32 vcc, 2, v0
	v_cndmask_b32_e32 v29, v29, v4, vcc
	v_cmp_eq_u32_e32 vcc, 3, v0
	;; [unrolled: 2-line block ×22, first 2 shown]
	ds_read_b32 v30, v115
	v_cndmask_b32_e32 v29, v29, v25, vcc
	v_cmp_eq_u32_e32 vcc, 24, v0
	v_cndmask_b32_e32 v29, v29, v26, vcc
	v_cmp_eq_u32_e32 vcc, 25, v0
	s_waitcnt vmcnt(1)
	v_cndmask_b32_e32 v29, v29, v27, vcc
	v_cmp_eq_u32_e32 vcc, 26, v0
	s_waitcnt vmcnt(0)
	v_cndmask_b32_e32 v29, v29, v28, vcc
	s_waitcnt lgkmcnt(0)
	v_mul_f32_e32 v31, v29, v30
	s_cbranch_execz .LBB26_618
	s_branch .LBB26_619
.LBB26_617:
                                        ; implicit-def: $vgpr31
.LBB26_618:
	ds_read_b32 v31, v115
.LBB26_619:
	v_cmp_ne_u32_e32 vcc, 21, v0
	s_and_saveexec_b64 s[6:7], vcc
	s_cbranch_execz .LBB26_623
; %bb.620:
	v_mov_b32_e32 v29, 0x74
	v_lshl_add_u32 v32, v0, 2, v29
	v_mov_b32_e32 v30, v1
	s_mov_b64 s[8:9], 0
	v_mov_b32_e32 v29, v0
.LBB26_621:                             ; =>This Inner Loop Header: Depth=1
	v_add_co_u32_e32 v29, vcc, 1, v29
	v_addc_co_u32_e32 v30, vcc, 0, v30, vcc
	v_cmp_eq_u32_e32 vcc, 1, v29
	s_waitcnt vmcnt(2)
	v_cndmask_b32_e32 v34, v2, v3, vcc
	v_cmp_lt_u32_e32 vcc, 20, v29
	v_cmp_eq_u32_e64 s[2:3], 2, v29
	v_cndmask_b32_e64 v34, v34, v4, s[2:3]
	s_or_b64 s[8:9], vcc, s[8:9]
	v_cmp_eq_u32_e32 vcc, 3, v29
	v_cndmask_b32_e32 v34, v34, v5, vcc
	v_cmp_eq_u32_e32 vcc, 4, v29
	v_cndmask_b32_e32 v34, v34, v6, vcc
	;; [unrolled: 2-line block ×19, first 2 shown]
	v_cmp_eq_u32_e32 vcc, 22, v29
	ds_read_b32 v33, v32
	v_cndmask_b32_e32 v34, v34, v24, vcc
	v_cmp_eq_u32_e32 vcc, 23, v29
	v_cndmask_b32_e32 v34, v34, v25, vcc
	v_cmp_eq_u32_e32 vcc, 24, v29
	;; [unrolled: 2-line block ×3, first 2 shown]
	s_waitcnt vmcnt(1)
	v_cndmask_b32_e32 v34, v34, v27, vcc
	v_cmp_eq_u32_e32 vcc, 26, v29
	s_waitcnt vmcnt(0)
	v_cndmask_b32_e32 v34, v34, v28, vcc
	v_add_u32_e32 v32, 4, v32
	s_waitcnt lgkmcnt(0)
	v_fmac_f32_e32 v31, v34, v33
	s_andn2_b64 exec, exec, s[8:9]
	s_cbranch_execnz .LBB26_621
; %bb.622:
	s_or_b64 exec, exec, s[8:9]
.LBB26_623:
	s_or_b64 exec, exec, s[6:7]
	v_mov_b32_e32 v24, 0
	ds_read_b32 v24, v24 offset:88
	s_waitcnt lgkmcnt(0)
	v_mul_f32_e32 v24, v31, v24
.LBB26_624:
	s_or_b64 exec, exec, s[4:5]
	v_cmp_gt_u32_e32 vcc, 23, v0
	s_waitcnt vmcnt(4)
	ds_write_b32 v115, v25
	s_waitcnt lgkmcnt(0)
	; wave barrier
	s_and_saveexec_b64 s[4:5], vcc
	s_cbranch_execz .LBB26_634
; %bb.625:
	s_and_b64 vcc, exec, s[0:1]
	s_cbranch_vccnz .LBB26_627
; %bb.626:
	v_cmp_eq_u32_e32 vcc, 1, v0
	s_waitcnt vmcnt(2)
	v_cndmask_b32_e32 v29, v2, v3, vcc
	v_cmp_eq_u32_e32 vcc, 2, v0
	v_cndmask_b32_e32 v29, v29, v4, vcc
	v_cmp_eq_u32_e32 vcc, 3, v0
	;; [unrolled: 2-line block ×22, first 2 shown]
	ds_read_b32 v30, v115
	v_cndmask_b32_e32 v29, v29, v25, vcc
	v_cmp_eq_u32_e32 vcc, 24, v0
	v_cndmask_b32_e32 v29, v29, v26, vcc
	v_cmp_eq_u32_e32 vcc, 25, v0
	s_waitcnt vmcnt(1)
	v_cndmask_b32_e32 v29, v29, v27, vcc
	v_cmp_eq_u32_e32 vcc, 26, v0
	s_waitcnt vmcnt(0)
	v_cndmask_b32_e32 v29, v29, v28, vcc
	s_waitcnt lgkmcnt(0)
	v_mul_f32_e32 v31, v29, v30
	s_cbranch_execz .LBB26_628
	s_branch .LBB26_629
.LBB26_627:
                                        ; implicit-def: $vgpr31
.LBB26_628:
	ds_read_b32 v31, v115
.LBB26_629:
	v_cmp_ne_u32_e32 vcc, 22, v0
	s_and_saveexec_b64 s[6:7], vcc
	s_cbranch_execz .LBB26_633
; %bb.630:
	v_mov_b32_e32 v29, 0x74
	v_lshl_add_u32 v32, v0, 2, v29
	v_mov_b32_e32 v30, v1
	s_mov_b64 s[8:9], 0
	v_mov_b32_e32 v29, v0
.LBB26_631:                             ; =>This Inner Loop Header: Depth=1
	v_add_co_u32_e32 v29, vcc, 1, v29
	v_addc_co_u32_e32 v30, vcc, 0, v30, vcc
	v_cmp_eq_u32_e32 vcc, 1, v29
	s_waitcnt vmcnt(2)
	v_cndmask_b32_e32 v34, v2, v3, vcc
	v_cmp_lt_u32_e32 vcc, 21, v29
	v_cmp_eq_u32_e64 s[2:3], 2, v29
	v_cndmask_b32_e64 v34, v34, v4, s[2:3]
	s_or_b64 s[8:9], vcc, s[8:9]
	v_cmp_eq_u32_e32 vcc, 3, v29
	v_cndmask_b32_e32 v34, v34, v5, vcc
	v_cmp_eq_u32_e32 vcc, 4, v29
	v_cndmask_b32_e32 v34, v34, v6, vcc
	;; [unrolled: 2-line block ×19, first 2 shown]
	v_cmp_eq_u32_e32 vcc, 22, v29
	ds_read_b32 v33, v32
	v_cndmask_b32_e32 v34, v34, v24, vcc
	v_cmp_eq_u32_e32 vcc, 23, v29
	v_cndmask_b32_e32 v34, v34, v25, vcc
	v_cmp_eq_u32_e32 vcc, 24, v29
	v_cndmask_b32_e32 v34, v34, v26, vcc
	v_cmp_eq_u32_e32 vcc, 25, v29
	s_waitcnt vmcnt(1)
	v_cndmask_b32_e32 v34, v34, v27, vcc
	v_cmp_eq_u32_e32 vcc, 26, v29
	s_waitcnt vmcnt(0)
	v_cndmask_b32_e32 v34, v34, v28, vcc
	v_add_u32_e32 v32, 4, v32
	s_waitcnt lgkmcnt(0)
	v_fmac_f32_e32 v31, v34, v33
	s_andn2_b64 exec, exec, s[8:9]
	s_cbranch_execnz .LBB26_631
; %bb.632:
	s_or_b64 exec, exec, s[8:9]
.LBB26_633:
	s_or_b64 exec, exec, s[6:7]
	v_mov_b32_e32 v25, 0
	ds_read_b32 v25, v25 offset:92
	s_waitcnt lgkmcnt(0)
	v_mul_f32_e32 v25, v31, v25
.LBB26_634:
	s_or_b64 exec, exec, s[4:5]
	v_cmp_gt_u32_e32 vcc, 24, v0
	s_waitcnt vmcnt(3)
	ds_write_b32 v115, v26
	s_waitcnt lgkmcnt(0)
	; wave barrier
	s_and_saveexec_b64 s[4:5], vcc
	s_cbranch_execz .LBB26_644
; %bb.635:
	s_and_b64 vcc, exec, s[0:1]
	s_cbranch_vccnz .LBB26_637
; %bb.636:
	v_cmp_eq_u32_e32 vcc, 1, v0
	s_waitcnt vmcnt(2)
	v_cndmask_b32_e32 v29, v2, v3, vcc
	v_cmp_eq_u32_e32 vcc, 2, v0
	v_cndmask_b32_e32 v29, v29, v4, vcc
	v_cmp_eq_u32_e32 vcc, 3, v0
	;; [unrolled: 2-line block ×22, first 2 shown]
	ds_read_b32 v30, v115
	v_cndmask_b32_e32 v29, v29, v25, vcc
	v_cmp_eq_u32_e32 vcc, 24, v0
	v_cndmask_b32_e32 v29, v29, v26, vcc
	v_cmp_eq_u32_e32 vcc, 25, v0
	s_waitcnt vmcnt(1)
	v_cndmask_b32_e32 v29, v29, v27, vcc
	v_cmp_eq_u32_e32 vcc, 26, v0
	s_waitcnt vmcnt(0)
	v_cndmask_b32_e32 v29, v29, v28, vcc
	s_waitcnt lgkmcnt(0)
	v_mul_f32_e32 v31, v29, v30
	s_cbranch_execz .LBB26_638
	s_branch .LBB26_639
.LBB26_637:
                                        ; implicit-def: $vgpr31
.LBB26_638:
	ds_read_b32 v31, v115
.LBB26_639:
	v_cmp_ne_u32_e32 vcc, 23, v0
	s_and_saveexec_b64 s[6:7], vcc
	s_cbranch_execz .LBB26_643
; %bb.640:
	v_mov_b32_e32 v29, 0x74
	v_lshl_add_u32 v32, v0, 2, v29
	v_mov_b32_e32 v30, v1
	s_mov_b64 s[8:9], 0
	v_mov_b32_e32 v29, v0
.LBB26_641:                             ; =>This Inner Loop Header: Depth=1
	v_add_co_u32_e32 v29, vcc, 1, v29
	v_addc_co_u32_e32 v30, vcc, 0, v30, vcc
	v_cmp_eq_u32_e32 vcc, 1, v29
	s_waitcnt vmcnt(2)
	v_cndmask_b32_e32 v34, v2, v3, vcc
	v_cmp_lt_u32_e32 vcc, 22, v29
	v_cmp_eq_u32_e64 s[2:3], 2, v29
	v_cndmask_b32_e64 v34, v34, v4, s[2:3]
	s_or_b64 s[8:9], vcc, s[8:9]
	v_cmp_eq_u32_e32 vcc, 3, v29
	v_cndmask_b32_e32 v34, v34, v5, vcc
	v_cmp_eq_u32_e32 vcc, 4, v29
	v_cndmask_b32_e32 v34, v34, v6, vcc
	;; [unrolled: 2-line block ×19, first 2 shown]
	v_cmp_eq_u32_e32 vcc, 22, v29
	ds_read_b32 v33, v32
	v_cndmask_b32_e32 v34, v34, v24, vcc
	v_cmp_eq_u32_e32 vcc, 23, v29
	v_cndmask_b32_e32 v34, v34, v25, vcc
	v_cmp_eq_u32_e32 vcc, 24, v29
	;; [unrolled: 2-line block ×3, first 2 shown]
	s_waitcnt vmcnt(1)
	v_cndmask_b32_e32 v34, v34, v27, vcc
	v_cmp_eq_u32_e32 vcc, 26, v29
	s_waitcnt vmcnt(0)
	v_cndmask_b32_e32 v34, v34, v28, vcc
	v_add_u32_e32 v32, 4, v32
	s_waitcnt lgkmcnt(0)
	v_fmac_f32_e32 v31, v34, v33
	s_andn2_b64 exec, exec, s[8:9]
	s_cbranch_execnz .LBB26_641
; %bb.642:
	s_or_b64 exec, exec, s[8:9]
.LBB26_643:
	s_or_b64 exec, exec, s[6:7]
	v_mov_b32_e32 v26, 0
	ds_read_b32 v26, v26 offset:96
	s_waitcnt lgkmcnt(0)
	v_mul_f32_e32 v26, v31, v26
.LBB26_644:
	s_or_b64 exec, exec, s[4:5]
	v_cmp_gt_u32_e64 s[2:3], 25, v0
	s_waitcnt vmcnt(1)
	ds_write_b32 v115, v27
	s_waitcnt lgkmcnt(0)
	; wave barrier
	s_and_saveexec_b64 s[6:7], s[2:3]
	s_cbranch_execz .LBB26_654
; %bb.645:
	s_and_b64 vcc, exec, s[0:1]
	s_cbranch_vccnz .LBB26_647
; %bb.646:
	v_cmp_eq_u32_e32 vcc, 1, v0
	v_cndmask_b32_e32 v29, v2, v3, vcc
	v_cmp_eq_u32_e32 vcc, 2, v0
	v_cndmask_b32_e32 v29, v29, v4, vcc
	;; [unrolled: 2-line block ×22, first 2 shown]
	v_cmp_eq_u32_e32 vcc, 23, v0
	ds_read_b32 v30, v115
	v_cndmask_b32_e32 v29, v29, v25, vcc
	v_cmp_eq_u32_e32 vcc, 24, v0
	v_cndmask_b32_e32 v29, v29, v26, vcc
	v_cmp_eq_u32_e32 vcc, 25, v0
	;; [unrolled: 2-line block ×3, first 2 shown]
	s_waitcnt vmcnt(0)
	v_cndmask_b32_e32 v29, v29, v28, vcc
	s_waitcnt lgkmcnt(0)
	v_mul_f32_e32 v31, v29, v30
	s_cbranch_execz .LBB26_648
	s_branch .LBB26_649
.LBB26_647:
                                        ; implicit-def: $vgpr31
.LBB26_648:
	ds_read_b32 v31, v115
.LBB26_649:
	v_cmp_ne_u32_e32 vcc, 24, v0
	s_and_saveexec_b64 s[8:9], vcc
	s_cbranch_execz .LBB26_653
; %bb.650:
	v_mov_b32_e32 v29, 0x74
	v_lshl_add_u32 v32, v0, 2, v29
	v_mov_b32_e32 v30, v1
	s_mov_b64 s[10:11], 0
	v_mov_b32_e32 v29, v0
.LBB26_651:                             ; =>This Inner Loop Header: Depth=1
	v_add_co_u32_e32 v29, vcc, 1, v29
	v_addc_co_u32_e32 v30, vcc, 0, v30, vcc
	v_cmp_eq_u32_e32 vcc, 1, v29
	v_cndmask_b32_e32 v34, v2, v3, vcc
	v_cmp_lt_u32_e32 vcc, 23, v29
	v_cmp_eq_u32_e64 s[4:5], 2, v29
	v_cndmask_b32_e64 v34, v34, v4, s[4:5]
	s_or_b64 s[10:11], vcc, s[10:11]
	v_cmp_eq_u32_e32 vcc, 3, v29
	v_cndmask_b32_e32 v34, v34, v5, vcc
	v_cmp_eq_u32_e32 vcc, 4, v29
	v_cndmask_b32_e32 v34, v34, v6, vcc
	;; [unrolled: 2-line block ×19, first 2 shown]
	v_cmp_eq_u32_e32 vcc, 22, v29
	ds_read_b32 v33, v32
	v_cndmask_b32_e32 v34, v34, v24, vcc
	v_cmp_eq_u32_e32 vcc, 23, v29
	v_cndmask_b32_e32 v34, v34, v25, vcc
	v_cmp_eq_u32_e32 vcc, 24, v29
	;; [unrolled: 2-line block ×4, first 2 shown]
	s_waitcnt vmcnt(0)
	v_cndmask_b32_e32 v34, v34, v28, vcc
	v_add_u32_e32 v32, 4, v32
	s_waitcnt lgkmcnt(0)
	v_fmac_f32_e32 v31, v34, v33
	s_andn2_b64 exec, exec, s[10:11]
	s_cbranch_execnz .LBB26_651
; %bb.652:
	s_or_b64 exec, exec, s[10:11]
.LBB26_653:
	s_or_b64 exec, exec, s[8:9]
	v_mov_b32_e32 v27, 0
	ds_read_b32 v27, v27 offset:100
	s_waitcnt lgkmcnt(0)
	v_mul_f32_e32 v27, v31, v27
.LBB26_654:
	s_or_b64 exec, exec, s[6:7]
	v_cmp_ne_u32_e32 vcc, 26, v0
	s_waitcnt vmcnt(0)
	ds_write_b32 v115, v28
	s_waitcnt lgkmcnt(0)
	; wave barrier
	s_and_saveexec_b64 s[4:5], vcc
	s_cbranch_execz .LBB26_664
; %bb.655:
	s_and_b64 vcc, exec, s[0:1]
	s_cbranch_vccnz .LBB26_657
; %bb.656:
	v_cmp_eq_u32_e32 vcc, 1, v0
	v_cndmask_b32_e32 v29, v2, v3, vcc
	v_cmp_eq_u32_e32 vcc, 2, v0
	v_cndmask_b32_e32 v29, v29, v4, vcc
	;; [unrolled: 2-line block ×22, first 2 shown]
	v_cmp_eq_u32_e32 vcc, 23, v0
	ds_read_b32 v30, v115
	v_cndmask_b32_e32 v29, v29, v25, vcc
	v_cmp_eq_u32_e32 vcc, 24, v0
	v_cndmask_b32_e32 v29, v29, v26, vcc
	v_cmp_eq_u32_e32 vcc, 25, v0
	;; [unrolled: 2-line block ×3, first 2 shown]
	v_cndmask_b32_e32 v29, v29, v28, vcc
	s_waitcnt lgkmcnt(0)
	v_mul_f32_e32 v29, v29, v30
	s_cbranch_execz .LBB26_658
	s_branch .LBB26_659
.LBB26_657:
                                        ; implicit-def: $vgpr29
.LBB26_658:
	ds_read_b32 v29, v115
.LBB26_659:
	s_and_saveexec_b64 s[6:7], s[2:3]
	s_cbranch_execz .LBB26_663
; %bb.660:
	v_mov_b32_e32 v30, 0x74
	v_lshl_add_u32 v30, v0, 2, v30
	s_mov_b64 s[2:3], 0
.LBB26_661:                             ; =>This Inner Loop Header: Depth=1
	v_add_co_u32_e32 v0, vcc, 1, v0
	v_addc_co_u32_e32 v1, vcc, 0, v1, vcc
	v_cmp_eq_u32_e32 vcc, 1, v0
	v_cndmask_b32_e32 v32, v2, v3, vcc
	v_cmp_lt_u32_e32 vcc, 24, v0
	v_cmp_eq_u32_e64 s[0:1], 2, v0
	v_cndmask_b32_e64 v32, v32, v4, s[0:1]
	s_or_b64 s[2:3], vcc, s[2:3]
	v_cmp_eq_u32_e32 vcc, 3, v0
	v_cndmask_b32_e32 v32, v32, v5, vcc
	v_cmp_eq_u32_e32 vcc, 4, v0
	v_cndmask_b32_e32 v32, v32, v6, vcc
	;; [unrolled: 2-line block ×19, first 2 shown]
	v_cmp_eq_u32_e32 vcc, 22, v0
	ds_read_b32 v31, v30
	v_cndmask_b32_e32 v32, v32, v24, vcc
	v_cmp_eq_u32_e32 vcc, 23, v0
	v_cndmask_b32_e32 v32, v32, v25, vcc
	v_cmp_eq_u32_e32 vcc, 24, v0
	;; [unrolled: 2-line block ×4, first 2 shown]
	v_cndmask_b32_e32 v32, v32, v28, vcc
	v_add_u32_e32 v30, 4, v30
	s_waitcnt lgkmcnt(0)
	v_fmac_f32_e32 v29, v32, v31
	s_andn2_b64 exec, exec, s[2:3]
	s_cbranch_execnz .LBB26_661
; %bb.662:
	s_or_b64 exec, exec, s[2:3]
.LBB26_663:
	s_or_b64 exec, exec, s[6:7]
	v_mov_b32_e32 v0, 0
	ds_read_b32 v0, v0 offset:104
	s_waitcnt lgkmcnt(0)
	v_mul_f32_e32 v28, v29, v0
.LBB26_664:
	s_or_b64 exec, exec, s[4:5]
	v_mov_b32_e32 v60, v33
	v_mov_b32_e32 v59, v32
	;; [unrolled: 1-line block ×32, first 2 shown]
.LBB26_665:
	global_store_dword v[111:112], v29, off
	global_store_dword v[113:114], v30, off
	;; [unrolled: 1-line block ×27, first 2 shown]
.LBB26_666:
	s_endpgm
	.section	.rodata,"a",@progbits
	.p2align	6, 0x0
	.amdhsa_kernel _ZN9rocsolver6v33100L18trti2_kernel_smallILi27EfPfEEv13rocblas_fill_17rocblas_diagonal_T1_iil
		.amdhsa_group_segment_fixed_size 220
		.amdhsa_private_segment_fixed_size 0
		.amdhsa_kernarg_size 32
		.amdhsa_user_sgpr_count 6
		.amdhsa_user_sgpr_private_segment_buffer 1
		.amdhsa_user_sgpr_dispatch_ptr 0
		.amdhsa_user_sgpr_queue_ptr 0
		.amdhsa_user_sgpr_kernarg_segment_ptr 1
		.amdhsa_user_sgpr_dispatch_id 0
		.amdhsa_user_sgpr_flat_scratch_init 0
		.amdhsa_user_sgpr_private_segment_size 0
		.amdhsa_uses_dynamic_stack 0
		.amdhsa_system_sgpr_private_segment_wavefront_offset 0
		.amdhsa_system_sgpr_workgroup_id_x 1
		.amdhsa_system_sgpr_workgroup_id_y 0
		.amdhsa_system_sgpr_workgroup_id_z 0
		.amdhsa_system_sgpr_workgroup_info 0
		.amdhsa_system_vgpr_workitem_id 0
		.amdhsa_next_free_vgpr 133
		.amdhsa_next_free_sgpr 64
		.amdhsa_reserve_vcc 1
		.amdhsa_reserve_flat_scratch 0
		.amdhsa_float_round_mode_32 0
		.amdhsa_float_round_mode_16_64 0
		.amdhsa_float_denorm_mode_32 3
		.amdhsa_float_denorm_mode_16_64 3
		.amdhsa_dx10_clamp 1
		.amdhsa_ieee_mode 1
		.amdhsa_fp16_overflow 0
		.amdhsa_exception_fp_ieee_invalid_op 0
		.amdhsa_exception_fp_denorm_src 0
		.amdhsa_exception_fp_ieee_div_zero 0
		.amdhsa_exception_fp_ieee_overflow 0
		.amdhsa_exception_fp_ieee_underflow 0
		.amdhsa_exception_fp_ieee_inexact 0
		.amdhsa_exception_int_div_zero 0
	.end_amdhsa_kernel
	.section	.text._ZN9rocsolver6v33100L18trti2_kernel_smallILi27EfPfEEv13rocblas_fill_17rocblas_diagonal_T1_iil,"axG",@progbits,_ZN9rocsolver6v33100L18trti2_kernel_smallILi27EfPfEEv13rocblas_fill_17rocblas_diagonal_T1_iil,comdat
.Lfunc_end26:
	.size	_ZN9rocsolver6v33100L18trti2_kernel_smallILi27EfPfEEv13rocblas_fill_17rocblas_diagonal_T1_iil, .Lfunc_end26-_ZN9rocsolver6v33100L18trti2_kernel_smallILi27EfPfEEv13rocblas_fill_17rocblas_diagonal_T1_iil
                                        ; -- End function
	.set _ZN9rocsolver6v33100L18trti2_kernel_smallILi27EfPfEEv13rocblas_fill_17rocblas_diagonal_T1_iil.num_vgpr, 133
	.set _ZN9rocsolver6v33100L18trti2_kernel_smallILi27EfPfEEv13rocblas_fill_17rocblas_diagonal_T1_iil.num_agpr, 0
	.set _ZN9rocsolver6v33100L18trti2_kernel_smallILi27EfPfEEv13rocblas_fill_17rocblas_diagonal_T1_iil.numbered_sgpr, 64
	.set _ZN9rocsolver6v33100L18trti2_kernel_smallILi27EfPfEEv13rocblas_fill_17rocblas_diagonal_T1_iil.num_named_barrier, 0
	.set _ZN9rocsolver6v33100L18trti2_kernel_smallILi27EfPfEEv13rocblas_fill_17rocblas_diagonal_T1_iil.private_seg_size, 0
	.set _ZN9rocsolver6v33100L18trti2_kernel_smallILi27EfPfEEv13rocblas_fill_17rocblas_diagonal_T1_iil.uses_vcc, 1
	.set _ZN9rocsolver6v33100L18trti2_kernel_smallILi27EfPfEEv13rocblas_fill_17rocblas_diagonal_T1_iil.uses_flat_scratch, 0
	.set _ZN9rocsolver6v33100L18trti2_kernel_smallILi27EfPfEEv13rocblas_fill_17rocblas_diagonal_T1_iil.has_dyn_sized_stack, 0
	.set _ZN9rocsolver6v33100L18trti2_kernel_smallILi27EfPfEEv13rocblas_fill_17rocblas_diagonal_T1_iil.has_recursion, 0
	.set _ZN9rocsolver6v33100L18trti2_kernel_smallILi27EfPfEEv13rocblas_fill_17rocblas_diagonal_T1_iil.has_indirect_call, 0
	.section	.AMDGPU.csdata,"",@progbits
; Kernel info:
; codeLenInByte = 42180
; TotalNumSgprs: 68
; NumVgprs: 133
; ScratchSize: 0
; MemoryBound: 0
; FloatMode: 240
; IeeeMode: 1
; LDSByteSize: 220 bytes/workgroup (compile time only)
; SGPRBlocks: 8
; VGPRBlocks: 33
; NumSGPRsForWavesPerEU: 68
; NumVGPRsForWavesPerEU: 133
; Occupancy: 1
; WaveLimiterHint : 0
; COMPUTE_PGM_RSRC2:SCRATCH_EN: 0
; COMPUTE_PGM_RSRC2:USER_SGPR: 6
; COMPUTE_PGM_RSRC2:TRAP_HANDLER: 0
; COMPUTE_PGM_RSRC2:TGID_X_EN: 1
; COMPUTE_PGM_RSRC2:TGID_Y_EN: 0
; COMPUTE_PGM_RSRC2:TGID_Z_EN: 0
; COMPUTE_PGM_RSRC2:TIDIG_COMP_CNT: 0
	.section	.text._ZN9rocsolver6v33100L18trti2_kernel_smallILi28EfPfEEv13rocblas_fill_17rocblas_diagonal_T1_iil,"axG",@progbits,_ZN9rocsolver6v33100L18trti2_kernel_smallILi28EfPfEEv13rocblas_fill_17rocblas_diagonal_T1_iil,comdat
	.globl	_ZN9rocsolver6v33100L18trti2_kernel_smallILi28EfPfEEv13rocblas_fill_17rocblas_diagonal_T1_iil ; -- Begin function _ZN9rocsolver6v33100L18trti2_kernel_smallILi28EfPfEEv13rocblas_fill_17rocblas_diagonal_T1_iil
	.p2align	8
	.type	_ZN9rocsolver6v33100L18trti2_kernel_smallILi28EfPfEEv13rocblas_fill_17rocblas_diagonal_T1_iil,@function
_ZN9rocsolver6v33100L18trti2_kernel_smallILi28EfPfEEv13rocblas_fill_17rocblas_diagonal_T1_iil: ; @_ZN9rocsolver6v33100L18trti2_kernel_smallILi28EfPfEEv13rocblas_fill_17rocblas_diagonal_T1_iil
; %bb.0:
	v_cmp_gt_u32_e32 vcc, 28, v0
	s_and_saveexec_b64 s[0:1], vcc
	s_cbranch_execz .LBB27_692
; %bb.1:
	s_load_dwordx8 s[60:67], s[4:5], 0x0
	s_ashr_i32 s2, s6, 31
	v_lshlrev_b32_e32 v30, 2, v0
	v_mov_b32_e32 v31, -1.0
	s_waitcnt lgkmcnt(0)
	s_mul_hi_u32 s3, s66, s6
	s_mul_i32 s2, s66, s2
	s_add_i32 s2, s3, s2
	s_mul_i32 s3, s67, s6
	s_add_i32 s3, s2, s3
	s_mul_i32 s2, s66, s6
	s_ashr_i32 s1, s64, 31
	s_lshl_b64 s[2:3], s[2:3], 2
	s_mov_b32 s0, s64
	s_add_u32 s2, s62, s2
	s_addc_u32 s3, s63, s3
	s_lshl_b64 s[0:1], s[0:1], 2
	s_add_u32 s0, s2, s0
	s_addc_u32 s1, s3, s1
	s_add_i32 s2, s65, s65
	v_add_u32_e32 v1, s2, v0
	v_ashrrev_i32_e32 v2, 31, v1
	v_lshlrev_b64 v[2:3], 2, v[1:2]
	v_add_u32_e32 v1, s65, v1
	v_mov_b32_e32 v4, s1
	v_add_co_u32_e32 v62, vcc, s0, v2
	v_ashrrev_i32_e32 v2, 31, v1
	v_addc_co_u32_e32 v63, vcc, v4, v3, vcc
	v_lshlrev_b64 v[2:3], 2, v[1:2]
	v_add_u32_e32 v1, s65, v1
	v_add_co_u32_e32 v64, vcc, s0, v2
	v_ashrrev_i32_e32 v2, 31, v1
	v_addc_co_u32_e32 v65, vcc, v4, v3, vcc
	v_lshlrev_b64 v[2:3], 2, v[1:2]
	v_add_u32_e32 v1, s65, v1
	;; [unrolled: 5-line block ×24, first 2 shown]
	v_add_co_u32_e32 v110, vcc, s0, v2
	v_ashrrev_i32_e32 v2, 31, v1
	v_lshlrev_b64 v[1:2], 2, v[1:2]
	v_addc_co_u32_e32 v111, vcc, v4, v3, vcc
	v_mov_b32_e32 v3, s1
	v_add_co_u32_e32 v112, vcc, s0, v1
	v_addc_co_u32_e32 v113, vcc, v3, v2, vcc
	v_mov_b32_e32 v1, s1
	v_add_co_u32_e32 v114, vcc, s0, v30
	s_ashr_i32 s3, s65, 31
	s_mov_b32 s2, s65
	v_addc_co_u32_e32 v115, vcc, 0, v1, vcc
	s_lshl_b64 s[2:3], s[2:3], 2
	v_mov_b32_e32 v1, s3
	v_add_co_u32_e32 v116, vcc, s2, v114
	v_addc_co_u32_e32 v117, vcc, v115, v1, vcc
	global_load_dword v3, v[116:117], off
	global_load_dword v4, v[62:63], off
	;; [unrolled: 1-line block ×24, first 2 shown]
	global_load_dword v2, v30, s[0:1]
	global_load_dword v27, v[108:109], off
	global_load_dword v28, v[110:111], off
	;; [unrolled: 1-line block ×3, first 2 shown]
	s_cmpk_lg_i32 s61, 0x84
	v_mov_b32_e32 v1, 0
	s_cselect_b64 s[58:59], -1, 0
	s_cmpk_eq_i32 s61, 0x84
	v_cmp_eq_u32_e64 s[0:1], 0, v0
	s_cbranch_scc1 .LBB27_3
; %bb.2:
	v_cmp_eq_u32_e64 s[2:3], 1, v0
	s_waitcnt vmcnt(3)
	v_cndmask_b32_e64 v31, v2, v3, s[2:3]
	v_cmp_eq_u32_e64 s[4:5], 2, v0
	v_cndmask_b32_e64 v31, v31, v4, s[4:5]
	v_cmp_eq_u32_e64 s[6:7], 3, v0
	;; [unrolled: 2-line block ×24, first 2 shown]
	s_waitcnt vmcnt(2)
	v_cndmask_b32_e64 v31, v31, v27, s[52:53]
	v_cmp_eq_u32_e64 s[54:55], 26, v0
	s_waitcnt vmcnt(1)
	v_cndmask_b32_e64 v31, v31, v28, s[54:55]
	v_cmp_eq_u32_e64 s[56:57], 27, v0
	s_waitcnt vmcnt(0)
	v_cndmask_b32_e64 v31, v31, v29, s[56:57]
	v_div_scale_f32 v32, s[62:63], v31, v31, 1.0
	v_div_scale_f32 v33, vcc, 1.0, v31, 1.0
	v_rcp_f32_e32 v34, v32
	v_fma_f32 v35, -v32, v34, 1.0
	v_fmac_f32_e32 v34, v35, v34
	v_mul_f32_e32 v35, v33, v34
	v_fma_f32 v36, -v32, v35, v33
	v_fmac_f32_e32 v35, v36, v34
	v_fma_f32 v32, -v32, v35, v33
	v_div_fmas_f32 v32, v32, v34, v35
	v_div_fixup_f32 v31, v32, v31, 1.0
	v_cndmask_b32_e64 v29, v29, v31, s[56:57]
	v_cndmask_b32_e64 v28, v28, v31, s[54:55]
	;; [unrolled: 1-line block ×28, first 2 shown]
	v_xor_b32_e32 v31, 0x80000000, v31
.LBB27_3:
	s_cmpk_eq_i32 s60, 0x79
	v_add_u32_e32 v118, 0x70, v30
	ds_write_b32 v30, v31
	s_cbranch_scc1 .LBB27_7
; %bb.4:
	s_waitcnt vmcnt(0)
	v_mov_b32_e32 v61, v33
	v_mov_b32_e32 v60, v32
	;; [unrolled: 1-line block ×32, first 2 shown]
	v_cmp_eq_u32_e64 s[0:1], 27, v0
	ds_write_b32 v118, v28
	s_waitcnt lgkmcnt(0)
	; wave barrier
	s_and_saveexec_b64 s[2:3], s[0:1]
	s_cbranch_execz .LBB27_11
; %bb.5:
	s_and_b64 vcc, exec, s[58:59]
	s_cbranch_vccz .LBB27_8
; %bb.6:
	v_cmp_eq_u32_e32 vcc, 1, v0
	v_cndmask_b32_e32 v30, v2, v3, vcc
	v_cmp_eq_u32_e32 vcc, 2, v0
	v_cndmask_b32_e32 v30, v30, v4, vcc
	;; [unrolled: 2-line block ×23, first 2 shown]
	v_cmp_eq_u32_e32 vcc, 24, v0
	ds_read_b32 v31, v118
	v_cndmask_b32_e32 v30, v30, v26, vcc
	v_cmp_eq_u32_e32 vcc, 25, v0
	v_cndmask_b32_e32 v30, v30, v27, vcc
	v_cmp_eq_u32_e32 vcc, 26, v0
	;; [unrolled: 2-line block ×3, first 2 shown]
	v_cndmask_b32_e32 v30, v30, v29, vcc
	s_waitcnt lgkmcnt(0)
	v_mul_f32_e32 v34, v30, v31
	s_cbranch_execz .LBB27_9
	s_branch .LBB27_10
.LBB27_7:
                                        ; implicit-def: $vgpr30_vgpr31_vgpr32_vgpr33_vgpr34_vgpr35_vgpr36_vgpr37_vgpr38_vgpr39_vgpr40_vgpr41_vgpr42_vgpr43_vgpr44_vgpr45_vgpr46_vgpr47_vgpr48_vgpr49_vgpr50_vgpr51_vgpr52_vgpr53_vgpr54_vgpr55_vgpr56_vgpr57_vgpr58_vgpr59_vgpr60_vgpr61
	s_cbranch_execnz .LBB27_418
	s_branch .LBB27_691
.LBB27_8:
                                        ; implicit-def: $vgpr34
.LBB27_9:
	ds_read_b32 v34, v118
.LBB27_10:
	v_mov_b32_e32 v30, 0
	ds_read_b32 v35, v30 offset:104
	v_mov_b32_e32 v30, v2
	v_mov_b32_e32 v31, v3
	;; [unrolled: 1-line block ×4, first 2 shown]
	s_waitcnt lgkmcnt(0)
	v_mul_f32_e32 v56, v34, v35
	v_mov_b32_e32 v34, v6
	v_mov_b32_e32 v35, v7
	;; [unrolled: 1-line block ×23, first 2 shown]
.LBB27_11:
	s_or_b64 exec, exec, s[2:3]
	v_cmp_lt_u32_e64 s[2:3], 25, v0
	ds_write_b32 v118, v55
	s_waitcnt lgkmcnt(0)
	; wave barrier
	s_and_saveexec_b64 s[4:5], s[2:3]
	s_cbranch_execz .LBB27_17
; %bb.12:
	s_andn2_b64 vcc, exec, s[58:59]
	s_cbranch_vccnz .LBB27_14
; %bb.13:
	v_cmp_eq_u32_e32 vcc, 1, v0
	v_cndmask_b32_e32 v58, v30, v31, vcc
	v_cmp_eq_u32_e32 vcc, 2, v0
	v_cndmask_b32_e32 v58, v58, v32, vcc
	;; [unrolled: 2-line block ×25, first 2 shown]
	ds_read_b32 v58, v118
	v_cmp_eq_u32_e32 vcc, 26, v0
	v_cndmask_b32_e32 v55, v55, v56, vcc
	v_cmp_eq_u32_e32 vcc, 27, v0
	v_cndmask_b32_e32 v55, v55, v57, vcc
	s_waitcnt lgkmcnt(0)
	v_mul_f32_e32 v55, v55, v58
	s_cbranch_execz .LBB27_15
	s_branch .LBB27_16
.LBB27_14:
                                        ; implicit-def: $vgpr55
.LBB27_15:
	ds_read_b32 v55, v118
.LBB27_16:
	v_mov_b32_e32 v58, 0
	ds_read2_b32 v[58:59], v58 offset0:25 offset1:54
	s_waitcnt lgkmcnt(0)
	v_fma_f32 v59, v56, v59, v55
	v_cndmask_b32_e64 v55, v55, v59, s[0:1]
	v_mul_f32_e32 v55, v55, v58
.LBB27_17:
	s_or_b64 exec, exec, s[4:5]
	v_cmp_lt_u32_e64 s[0:1], 24, v0
	ds_write_b32 v118, v54
	s_waitcnt lgkmcnt(0)
	; wave barrier
	s_and_saveexec_b64 s[4:5], s[0:1]
	s_cbranch_execz .LBB27_33
; %bb.18:
	s_andn2_b64 vcc, exec, s[58:59]
	s_cbranch_vccnz .LBB27_20
; %bb.19:
	v_cmp_eq_u32_e32 vcc, 1, v0
	v_cndmask_b32_e32 v119, v30, v31, vcc
	v_cmp_eq_u32_e32 vcc, 2, v0
	v_cndmask_b32_e32 v119, v119, v32, vcc
	;; [unrolled: 2-line block ×23, first 2 shown]
	v_cmp_eq_u32_e32 vcc, 24, v0
	ds_read_b32 v120, v118
	v_cndmask_b32_e32 v119, v119, v54, vcc
	v_cmp_eq_u32_e32 vcc, 25, v0
	v_cndmask_b32_e32 v119, v119, v55, vcc
	v_cmp_eq_u32_e32 vcc, 26, v0
	;; [unrolled: 2-line block ×3, first 2 shown]
	v_cndmask_b32_e32 v119, v119, v57, vcc
	s_waitcnt lgkmcnt(0)
	v_mul_f32_e32 v119, v119, v120
	s_cbranch_execz .LBB27_21
	s_branch .LBB27_22
.LBB27_20:
                                        ; implicit-def: $vgpr119
.LBB27_21:
	ds_read_b32 v119, v118
.LBB27_22:
	s_and_saveexec_b64 s[6:7], s[2:3]
	s_cbranch_execz .LBB27_32
; %bb.23:
	v_subrev_u32_e32 v122, 26, v0
	v_mov_b32_e32 v120, 25
	v_subrev_u32_e32 v121, 25, v0
	v_cmp_lt_u32_e32 vcc, 6, v122
	s_and_saveexec_b64 s[2:3], vcc
	s_cbranch_execz .LBB27_27
; %bb.24:
	v_and_b32_e32 v120, -8, v121
	v_sub_u32_e32 v122, 0, v120
	s_mov_b64 s[8:9], 32
	s_movk_i32 s12, 0xd4
	s_mov_b64 s[10:11], 0
.LBB27_25:                              ; =>This Inner Loop Header: Depth=1
	s_add_i32 s13, s8, -7
	v_mov_b32_e32 v120, s12
	s_add_i32 s14, s8, -6
	s_set_gpr_idx_on s13, gpr_idx(SRC0)
	v_mov_b32_e32 v129, v30
	s_set_gpr_idx_off
	ds_read2_b32 v[123:124], v120 offset1:1
	s_add_i32 s15, s8, -5
	s_set_gpr_idx_on s14, gpr_idx(SRC0)
	v_mov_b32_e32 v130, v30
	s_set_gpr_idx_off
	s_add_i32 s16, s8, -4
	s_set_gpr_idx_on s15, gpr_idx(SRC0)
	v_mov_b32_e32 v131, v30
	s_set_gpr_idx_off
	ds_read2_b32 v[125:126], v120 offset0:2 offset1:3
	s_add_i32 s17, s8, -3
	s_set_gpr_idx_on s16, gpr_idx(SRC0)
	v_mov_b32_e32 v132, v30
	s_set_gpr_idx_off
	s_add_i32 s18, s8, -2
	s_set_gpr_idx_on s17, gpr_idx(SRC0)
	v_mov_b32_e32 v133, v30
	s_set_gpr_idx_off
	ds_read2_b32 v[127:128], v120 offset0:4 offset1:5
	s_add_i32 s19, s8, -1
	s_waitcnt lgkmcnt(2)
	v_fmac_f32_e32 v119, v129, v123
	s_set_gpr_idx_on s18, gpr_idx(SRC0)
	v_mov_b32_e32 v129, v30
	s_set_gpr_idx_off
	v_fmac_f32_e32 v119, v130, v124
	s_set_gpr_idx_on s19, gpr_idx(SRC0)
	v_mov_b32_e32 v130, v30
	s_set_gpr_idx_off
	ds_read2_b32 v[123:124], v120 offset0:6 offset1:7
	s_waitcnt lgkmcnt(2)
	v_fmac_f32_e32 v119, v131, v125
	s_set_gpr_idx_on s8, gpr_idx(SRC0)
	v_mov_b32_e32 v125, v30
	s_set_gpr_idx_off
	v_fmac_f32_e32 v119, v132, v126
	s_add_u32 s8, s8, 8
	s_waitcnt lgkmcnt(1)
	v_fmac_f32_e32 v119, v133, v127
	v_add_u32_e32 v120, s8, v122
	v_fmac_f32_e32 v119, v129, v128
	s_addc_u32 s9, s9, 0
	s_add_i32 s12, s12, 32
	s_add_i32 s13, s8, -7
	v_cmp_eq_u32_e32 vcc, 32, v120
	s_waitcnt lgkmcnt(0)
	v_fmac_f32_e32 v119, v130, v123
	v_mov_b32_e32 v120, s13
	s_or_b64 s[10:11], vcc, s[10:11]
	v_fmac_f32_e32 v119, v125, v124
	s_andn2_b64 exec, exec, s[10:11]
	s_cbranch_execnz .LBB27_25
; %bb.26:
	s_or_b64 exec, exec, s[10:11]
.LBB27_27:
	s_or_b64 exec, exec, s[2:3]
	v_and_b32_e32 v58, 7, v121
	v_cmp_ne_u32_e32 vcc, 0, v58
	s_and_saveexec_b64 s[8:9], vcc
	s_cbranch_execz .LBB27_31
; %bb.28:
	v_mov_b32_e32 v59, 0x70
	v_lshl_add_u32 v59, v120, 2, v59
	v_mov_b32_e32 v60, 0
	s_mov_b64 s[10:11], 0
.LBB27_29:                              ; =>This Inner Loop Header: Depth=1
	v_cmp_eq_u32_e32 vcc, 1, v120
	v_cndmask_b32_e32 v61, v30, v31, vcc
	v_add_u32_e32 v58, -1, v58
	v_cmp_eq_u32_e32 vcc, 2, v120
	v_cndmask_b32_e32 v61, v61, v32, vcc
	v_cmp_eq_u32_e32 vcc, 0, v58
	v_cmp_eq_u32_e64 s[2:3], 3, v120
	v_cndmask_b32_e64 v61, v61, v33, s[2:3]
	s_or_b64 s[10:11], vcc, s[10:11]
	v_cmp_eq_u32_e32 vcc, 4, v120
	v_cndmask_b32_e32 v61, v61, v34, vcc
	v_cmp_eq_u32_e32 vcc, 5, v120
	v_cndmask_b32_e32 v61, v61, v35, vcc
	;; [unrolled: 2-line block ×19, first 2 shown]
	v_cmp_eq_u32_e32 vcc, 23, v120
	ds_read_b32 v121, v59
	v_cndmask_b32_e32 v61, v61, v53, vcc
	v_cmp_eq_u32_e32 vcc, 24, v120
	v_cndmask_b32_e32 v61, v61, v54, vcc
	v_cmp_eq_u32_e32 vcc, 25, v120
	;; [unrolled: 2-line block ×4, first 2 shown]
	v_add_co_u32_e64 v120, s[2:3], 1, v120
	v_cndmask_b32_e32 v61, v61, v57, vcc
	v_add_u32_e32 v59, 4, v59
	v_addc_co_u32_e64 v60, s[2:3], 0, v60, s[2:3]
	s_waitcnt lgkmcnt(0)
	v_fmac_f32_e32 v119, v61, v121
	s_andn2_b64 exec, exec, s[10:11]
	s_cbranch_execnz .LBB27_29
; %bb.30:
	s_or_b64 exec, exec, s[10:11]
.LBB27_31:
	s_or_b64 exec, exec, s[8:9]
.LBB27_32:
	s_or_b64 exec, exec, s[6:7]
	v_mov_b32_e32 v54, 0
	ds_read_b32 v54, v54 offset:96
	s_waitcnt lgkmcnt(0)
	v_mul_f32_e32 v54, v119, v54
.LBB27_33:
	s_or_b64 exec, exec, s[4:5]
	v_cmp_lt_u32_e64 s[2:3], 23, v0
	ds_write_b32 v118, v53
	s_waitcnt lgkmcnt(0)
	; wave barrier
	s_and_saveexec_b64 s[4:5], s[2:3]
	s_cbranch_execz .LBB27_49
; %bb.34:
	s_andn2_b64 vcc, exec, s[58:59]
	s_cbranch_vccnz .LBB27_36
; %bb.35:
	v_cmp_eq_u32_e32 vcc, 1, v0
	v_cndmask_b32_e32 v119, v30, v31, vcc
	v_cmp_eq_u32_e32 vcc, 2, v0
	v_cndmask_b32_e32 v119, v119, v32, vcc
	;; [unrolled: 2-line block ×23, first 2 shown]
	v_cmp_eq_u32_e32 vcc, 24, v0
	ds_read_b32 v120, v118
	v_cndmask_b32_e32 v119, v119, v54, vcc
	v_cmp_eq_u32_e32 vcc, 25, v0
	v_cndmask_b32_e32 v119, v119, v55, vcc
	v_cmp_eq_u32_e32 vcc, 26, v0
	;; [unrolled: 2-line block ×3, first 2 shown]
	v_cndmask_b32_e32 v119, v119, v57, vcc
	s_waitcnt lgkmcnt(0)
	v_mul_f32_e32 v119, v119, v120
	s_cbranch_execz .LBB27_37
	s_branch .LBB27_38
.LBB27_36:
                                        ; implicit-def: $vgpr119
.LBB27_37:
	ds_read_b32 v119, v118
.LBB27_38:
	s_and_saveexec_b64 s[6:7], s[0:1]
	s_cbranch_execz .LBB27_48
; %bb.39:
	v_subrev_u32_e32 v120, 25, v0
	v_cmp_lt_u32_e32 vcc, 6, v120
	v_mov_b32_e32 v120, 24
	s_and_saveexec_b64 s[0:1], vcc
	s_cbranch_execz .LBB27_43
; %bb.40:
	v_and_b32_e32 v120, 24, v0
	v_sub_u32_e32 v121, 0, v120
	s_mov_b64 s[8:9], 31
	s_movk_i32 s12, 0xd0
	s_mov_b64 s[10:11], 0
.LBB27_41:                              ; =>This Inner Loop Header: Depth=1
	s_add_i32 s13, s8, -7
	v_mov_b32_e32 v120, s12
	s_add_i32 s14, s8, -6
	s_set_gpr_idx_on s13, gpr_idx(SRC0)
	v_mov_b32_e32 v130, v30
	s_set_gpr_idx_off
	s_add_i32 s15, s8, -5
	ds_read_b128 v[122:125], v120
	ds_read_b128 v[126:129], v120 offset:16
	s_set_gpr_idx_on s14, gpr_idx(SRC0)
	v_mov_b32_e32 v120, v30
	s_set_gpr_idx_off
	s_add_i32 s16, s8, -4
	s_set_gpr_idx_on s15, gpr_idx(SRC0)
	v_mov_b32_e32 v131, v30
	s_set_gpr_idx_off
	s_add_i32 s17, s8, -3
	s_set_gpr_idx_on s16, gpr_idx(SRC0)
	v_mov_b32_e32 v132, v30
	s_set_gpr_idx_off
	s_add_i32 s18, s8, -2
	s_set_gpr_idx_on s17, gpr_idx(SRC0)
	v_mov_b32_e32 v133, v30
	s_set_gpr_idx_off
	s_add_i32 s19, s8, -1
	s_waitcnt lgkmcnt(1)
	v_fmac_f32_e32 v119, v130, v122
	s_set_gpr_idx_on s18, gpr_idx(SRC0)
	v_mov_b32_e32 v122, v30
	s_set_gpr_idx_off
	v_fmac_f32_e32 v119, v120, v123
	s_set_gpr_idx_on s19, gpr_idx(SRC0)
	v_mov_b32_e32 v123, v30
	s_set_gpr_idx_off
	;; [unrolled: 4-line block ×3, first 2 shown]
	v_fmac_f32_e32 v119, v132, v125
	s_add_u32 s8, s8, 8
	s_waitcnt lgkmcnt(0)
	v_fmac_f32_e32 v119, v133, v126
	v_add_u32_e32 v120, s8, v121
	v_fmac_f32_e32 v119, v122, v127
	s_addc_u32 s9, s9, 0
	s_add_i32 s12, s12, 32
	s_add_i32 s13, s8, -7
	v_cmp_eq_u32_e32 vcc, 7, v120
	v_fmac_f32_e32 v119, v123, v128
	v_mov_b32_e32 v120, s13
	s_or_b64 s[10:11], vcc, s[10:11]
	v_fmac_f32_e32 v119, v124, v129
	s_andn2_b64 exec, exec, s[10:11]
	s_cbranch_execnz .LBB27_41
; %bb.42:
	s_or_b64 exec, exec, s[10:11]
.LBB27_43:
	s_or_b64 exec, exec, s[0:1]
	v_and_b32_e32 v58, 7, v0
	v_cmp_ne_u32_e32 vcc, 0, v58
	s_and_saveexec_b64 s[8:9], vcc
	s_cbranch_execz .LBB27_47
; %bb.44:
	v_mov_b32_e32 v59, 0x70
	v_lshl_add_u32 v59, v120, 2, v59
	v_mov_b32_e32 v60, 0
	s_mov_b64 s[10:11], 0
.LBB27_45:                              ; =>This Inner Loop Header: Depth=1
	v_cmp_eq_u32_e32 vcc, 1, v120
	v_cndmask_b32_e32 v61, v30, v31, vcc
	v_add_u32_e32 v58, -1, v58
	v_cmp_eq_u32_e32 vcc, 2, v120
	v_cndmask_b32_e32 v61, v61, v32, vcc
	v_cmp_eq_u32_e32 vcc, 0, v58
	v_cmp_eq_u32_e64 s[0:1], 3, v120
	v_cndmask_b32_e64 v61, v61, v33, s[0:1]
	s_or_b64 s[10:11], vcc, s[10:11]
	v_cmp_eq_u32_e32 vcc, 4, v120
	v_cndmask_b32_e32 v61, v61, v34, vcc
	v_cmp_eq_u32_e32 vcc, 5, v120
	v_cndmask_b32_e32 v61, v61, v35, vcc
	v_cmp_eq_u32_e32 vcc, 6, v120
	v_cndmask_b32_e32 v61, v61, v36, vcc
	v_cmp_eq_u32_e32 vcc, 7, v120
	v_cndmask_b32_e32 v61, v61, v37, vcc
	v_cmp_eq_u32_e32 vcc, 8, v120
	v_cndmask_b32_e32 v61, v61, v38, vcc
	v_cmp_eq_u32_e32 vcc, 9, v120
	v_cndmask_b32_e32 v61, v61, v39, vcc
	v_cmp_eq_u32_e32 vcc, 10, v120
	v_cndmask_b32_e32 v61, v61, v40, vcc
	v_cmp_eq_u32_e32 vcc, 11, v120
	v_cndmask_b32_e32 v61, v61, v41, vcc
	v_cmp_eq_u32_e32 vcc, 12, v120
	v_cndmask_b32_e32 v61, v61, v42, vcc
	v_cmp_eq_u32_e32 vcc, 13, v120
	v_cndmask_b32_e32 v61, v61, v43, vcc
	v_cmp_eq_u32_e32 vcc, 14, v120
	v_cndmask_b32_e32 v61, v61, v44, vcc
	v_cmp_eq_u32_e32 vcc, 15, v120
	v_cndmask_b32_e32 v61, v61, v45, vcc
	v_cmp_eq_u32_e32 vcc, 16, v120
	v_cndmask_b32_e32 v61, v61, v46, vcc
	v_cmp_eq_u32_e32 vcc, 17, v120
	v_cndmask_b32_e32 v61, v61, v47, vcc
	v_cmp_eq_u32_e32 vcc, 18, v120
	v_cndmask_b32_e32 v61, v61, v48, vcc
	v_cmp_eq_u32_e32 vcc, 19, v120
	v_cndmask_b32_e32 v61, v61, v49, vcc
	v_cmp_eq_u32_e32 vcc, 20, v120
	v_cndmask_b32_e32 v61, v61, v50, vcc
	v_cmp_eq_u32_e32 vcc, 21, v120
	v_cndmask_b32_e32 v61, v61, v51, vcc
	v_cmp_eq_u32_e32 vcc, 22, v120
	v_cndmask_b32_e32 v61, v61, v52, vcc
	v_cmp_eq_u32_e32 vcc, 23, v120
	ds_read_b32 v121, v59
	v_cndmask_b32_e32 v61, v61, v53, vcc
	v_cmp_eq_u32_e32 vcc, 24, v120
	v_cndmask_b32_e32 v61, v61, v54, vcc
	v_cmp_eq_u32_e32 vcc, 25, v120
	;; [unrolled: 2-line block ×4, first 2 shown]
	v_add_co_u32_e64 v120, s[0:1], 1, v120
	v_cndmask_b32_e32 v61, v61, v57, vcc
	v_add_u32_e32 v59, 4, v59
	v_addc_co_u32_e64 v60, s[0:1], 0, v60, s[0:1]
	s_waitcnt lgkmcnt(0)
	v_fmac_f32_e32 v119, v61, v121
	s_andn2_b64 exec, exec, s[10:11]
	s_cbranch_execnz .LBB27_45
; %bb.46:
	s_or_b64 exec, exec, s[10:11]
.LBB27_47:
	s_or_b64 exec, exec, s[8:9]
.LBB27_48:
	s_or_b64 exec, exec, s[6:7]
	v_mov_b32_e32 v53, 0
	ds_read_b32 v53, v53 offset:92
	s_waitcnt lgkmcnt(0)
	v_mul_f32_e32 v53, v119, v53
.LBB27_49:
	s_or_b64 exec, exec, s[4:5]
	v_cmp_lt_u32_e64 s[0:1], 22, v0
	ds_write_b32 v118, v52
	s_waitcnt lgkmcnt(0)
	; wave barrier
	s_and_saveexec_b64 s[4:5], s[0:1]
	s_cbranch_execz .LBB27_65
; %bb.50:
	s_andn2_b64 vcc, exec, s[58:59]
	s_cbranch_vccnz .LBB27_52
; %bb.51:
	v_cmp_eq_u32_e32 vcc, 1, v0
	v_cndmask_b32_e32 v119, v30, v31, vcc
	v_cmp_eq_u32_e32 vcc, 2, v0
	v_cndmask_b32_e32 v119, v119, v32, vcc
	;; [unrolled: 2-line block ×23, first 2 shown]
	v_cmp_eq_u32_e32 vcc, 24, v0
	ds_read_b32 v120, v118
	v_cndmask_b32_e32 v119, v119, v54, vcc
	v_cmp_eq_u32_e32 vcc, 25, v0
	v_cndmask_b32_e32 v119, v119, v55, vcc
	v_cmp_eq_u32_e32 vcc, 26, v0
	v_cndmask_b32_e32 v119, v119, v56, vcc
	v_cmp_eq_u32_e32 vcc, 27, v0
	v_cndmask_b32_e32 v119, v119, v57, vcc
	s_waitcnt lgkmcnt(0)
	v_mul_f32_e32 v119, v119, v120
	s_cbranch_execz .LBB27_53
	s_branch .LBB27_54
.LBB27_52:
                                        ; implicit-def: $vgpr119
.LBB27_53:
	ds_read_b32 v119, v118
.LBB27_54:
	s_and_saveexec_b64 s[6:7], s[2:3]
	s_cbranch_execz .LBB27_64
; %bb.55:
	v_subrev_u32_e32 v122, 24, v0
	v_mov_b32_e32 v120, 23
	v_subrev_u32_e32 v121, 23, v0
	v_cmp_lt_u32_e32 vcc, 6, v122
	s_and_saveexec_b64 s[2:3], vcc
	s_cbranch_execz .LBB27_59
; %bb.56:
	v_and_b32_e32 v120, -8, v121
	v_sub_u32_e32 v122, 0, v120
	s_mov_b64 s[8:9], 30
	s_movk_i32 s12, 0xcc
	s_mov_b64 s[10:11], 0
.LBB27_57:                              ; =>This Inner Loop Header: Depth=1
	s_add_i32 s13, s8, -7
	v_mov_b32_e32 v120, s12
	s_add_i32 s14, s8, -6
	s_set_gpr_idx_on s13, gpr_idx(SRC0)
	v_mov_b32_e32 v129, v30
	s_set_gpr_idx_off
	ds_read2_b32 v[123:124], v120 offset1:1
	s_add_i32 s15, s8, -5
	s_set_gpr_idx_on s14, gpr_idx(SRC0)
	v_mov_b32_e32 v130, v30
	s_set_gpr_idx_off
	s_add_i32 s16, s8, -4
	s_set_gpr_idx_on s15, gpr_idx(SRC0)
	v_mov_b32_e32 v131, v30
	s_set_gpr_idx_off
	ds_read2_b32 v[125:126], v120 offset0:2 offset1:3
	s_add_i32 s17, s8, -3
	s_set_gpr_idx_on s16, gpr_idx(SRC0)
	v_mov_b32_e32 v132, v30
	s_set_gpr_idx_off
	s_add_i32 s18, s8, -2
	s_set_gpr_idx_on s17, gpr_idx(SRC0)
	v_mov_b32_e32 v133, v30
	s_set_gpr_idx_off
	ds_read2_b32 v[127:128], v120 offset0:4 offset1:5
	s_add_i32 s19, s8, -1
	s_waitcnt lgkmcnt(2)
	v_fmac_f32_e32 v119, v129, v123
	s_set_gpr_idx_on s18, gpr_idx(SRC0)
	v_mov_b32_e32 v129, v30
	s_set_gpr_idx_off
	v_fmac_f32_e32 v119, v130, v124
	s_set_gpr_idx_on s19, gpr_idx(SRC0)
	v_mov_b32_e32 v130, v30
	s_set_gpr_idx_off
	ds_read2_b32 v[123:124], v120 offset0:6 offset1:7
	s_waitcnt lgkmcnt(2)
	v_fmac_f32_e32 v119, v131, v125
	s_set_gpr_idx_on s8, gpr_idx(SRC0)
	v_mov_b32_e32 v125, v30
	s_set_gpr_idx_off
	v_fmac_f32_e32 v119, v132, v126
	s_add_u32 s8, s8, 8
	s_waitcnt lgkmcnt(1)
	v_fmac_f32_e32 v119, v133, v127
	v_add_u32_e32 v120, s8, v122
	v_fmac_f32_e32 v119, v129, v128
	s_addc_u32 s9, s9, 0
	s_add_i32 s12, s12, 32
	s_add_i32 s13, s8, -7
	v_cmp_eq_u32_e32 vcc, 30, v120
	s_waitcnt lgkmcnt(0)
	v_fmac_f32_e32 v119, v130, v123
	v_mov_b32_e32 v120, s13
	s_or_b64 s[10:11], vcc, s[10:11]
	v_fmac_f32_e32 v119, v125, v124
	s_andn2_b64 exec, exec, s[10:11]
	s_cbranch_execnz .LBB27_57
; %bb.58:
	s_or_b64 exec, exec, s[10:11]
.LBB27_59:
	s_or_b64 exec, exec, s[2:3]
	v_and_b32_e32 v58, 7, v121
	v_cmp_ne_u32_e32 vcc, 0, v58
	s_and_saveexec_b64 s[8:9], vcc
	s_cbranch_execz .LBB27_63
; %bb.60:
	v_mov_b32_e32 v59, 0x70
	v_lshl_add_u32 v59, v120, 2, v59
	v_mov_b32_e32 v60, 0
	s_mov_b64 s[10:11], 0
.LBB27_61:                              ; =>This Inner Loop Header: Depth=1
	v_cmp_eq_u32_e32 vcc, 1, v120
	v_cndmask_b32_e32 v61, v30, v31, vcc
	v_add_u32_e32 v58, -1, v58
	v_cmp_eq_u32_e32 vcc, 2, v120
	v_cndmask_b32_e32 v61, v61, v32, vcc
	v_cmp_eq_u32_e32 vcc, 0, v58
	v_cmp_eq_u32_e64 s[2:3], 3, v120
	v_cndmask_b32_e64 v61, v61, v33, s[2:3]
	s_or_b64 s[10:11], vcc, s[10:11]
	v_cmp_eq_u32_e32 vcc, 4, v120
	v_cndmask_b32_e32 v61, v61, v34, vcc
	v_cmp_eq_u32_e32 vcc, 5, v120
	v_cndmask_b32_e32 v61, v61, v35, vcc
	;; [unrolled: 2-line block ×19, first 2 shown]
	v_cmp_eq_u32_e32 vcc, 23, v120
	ds_read_b32 v121, v59
	v_cndmask_b32_e32 v61, v61, v53, vcc
	v_cmp_eq_u32_e32 vcc, 24, v120
	v_cndmask_b32_e32 v61, v61, v54, vcc
	v_cmp_eq_u32_e32 vcc, 25, v120
	v_cndmask_b32_e32 v61, v61, v55, vcc
	v_cmp_eq_u32_e32 vcc, 26, v120
	v_cndmask_b32_e32 v61, v61, v56, vcc
	v_cmp_eq_u32_e32 vcc, 27, v120
	v_add_co_u32_e64 v120, s[2:3], 1, v120
	v_cndmask_b32_e32 v61, v61, v57, vcc
	v_add_u32_e32 v59, 4, v59
	v_addc_co_u32_e64 v60, s[2:3], 0, v60, s[2:3]
	s_waitcnt lgkmcnt(0)
	v_fmac_f32_e32 v119, v61, v121
	s_andn2_b64 exec, exec, s[10:11]
	s_cbranch_execnz .LBB27_61
; %bb.62:
	s_or_b64 exec, exec, s[10:11]
.LBB27_63:
	s_or_b64 exec, exec, s[8:9]
.LBB27_64:
	s_or_b64 exec, exec, s[6:7]
	v_mov_b32_e32 v52, 0
	ds_read_b32 v52, v52 offset:88
	s_waitcnt lgkmcnt(0)
	v_mul_f32_e32 v52, v119, v52
.LBB27_65:
	s_or_b64 exec, exec, s[4:5]
	v_cmp_lt_u32_e64 s[2:3], 21, v0
	ds_write_b32 v118, v51
	s_waitcnt lgkmcnt(0)
	; wave barrier
	s_and_saveexec_b64 s[4:5], s[2:3]
	s_cbranch_execz .LBB27_81
; %bb.66:
	s_andn2_b64 vcc, exec, s[58:59]
	s_cbranch_vccnz .LBB27_68
; %bb.67:
	v_cmp_eq_u32_e32 vcc, 1, v0
	v_cndmask_b32_e32 v119, v30, v31, vcc
	v_cmp_eq_u32_e32 vcc, 2, v0
	v_cndmask_b32_e32 v119, v119, v32, vcc
	;; [unrolled: 2-line block ×23, first 2 shown]
	v_cmp_eq_u32_e32 vcc, 24, v0
	ds_read_b32 v120, v118
	v_cndmask_b32_e32 v119, v119, v54, vcc
	v_cmp_eq_u32_e32 vcc, 25, v0
	v_cndmask_b32_e32 v119, v119, v55, vcc
	v_cmp_eq_u32_e32 vcc, 26, v0
	;; [unrolled: 2-line block ×3, first 2 shown]
	v_cndmask_b32_e32 v119, v119, v57, vcc
	s_waitcnt lgkmcnt(0)
	v_mul_f32_e32 v119, v119, v120
	s_cbranch_execz .LBB27_69
	s_branch .LBB27_70
.LBB27_68:
                                        ; implicit-def: $vgpr119
.LBB27_69:
	ds_read_b32 v119, v118
.LBB27_70:
	s_and_saveexec_b64 s[6:7], s[0:1]
	s_cbranch_execz .LBB27_80
; %bb.71:
	v_subrev_u32_e32 v122, 23, v0
	v_mov_b32_e32 v120, 22
	v_subrev_u32_e32 v121, 22, v0
	v_cmp_lt_u32_e32 vcc, 6, v122
	s_and_saveexec_b64 s[0:1], vcc
	s_cbranch_execz .LBB27_75
; %bb.72:
	v_and_b32_e32 v120, -8, v121
	v_sub_u32_e32 v122, 0, v120
	s_mov_b64 s[8:9], 29
	s_movk_i32 s12, 0xc8
	s_mov_b64 s[10:11], 0
.LBB27_73:                              ; =>This Inner Loop Header: Depth=1
	s_add_i32 s13, s8, -7
	v_mov_b32_e32 v120, s12
	s_add_i32 s14, s8, -6
	s_set_gpr_idx_on s13, gpr_idx(SRC0)
	v_mov_b32_e32 v131, v30
	s_set_gpr_idx_off
	ds_read2_b64 v[123:126], v120 offset1:1
	s_add_i32 s15, s8, -5
	s_set_gpr_idx_on s14, gpr_idx(SRC0)
	v_mov_b32_e32 v132, v30
	s_set_gpr_idx_off
	s_add_i32 s16, s8, -4
	s_set_gpr_idx_on s15, gpr_idx(SRC0)
	v_mov_b32_e32 v133, v30
	s_set_gpr_idx_off
	;; [unrolled: 4-line block ×4, first 2 shown]
	ds_read2_b64 v[127:130], v120 offset0:2 offset1:3
	s_add_i32 s19, s8, -1
	s_waitcnt lgkmcnt(1)
	v_fmac_f32_e32 v119, v131, v123
	s_set_gpr_idx_on s18, gpr_idx(SRC0)
	v_mov_b32_e32 v123, v30
	s_set_gpr_idx_off
	v_fmac_f32_e32 v119, v132, v124
	s_set_gpr_idx_on s19, gpr_idx(SRC0)
	v_mov_b32_e32 v124, v30
	s_set_gpr_idx_off
	;; [unrolled: 4-line block ×3, first 2 shown]
	v_fmac_f32_e32 v119, v134, v126
	s_add_u32 s8, s8, 8
	s_waitcnt lgkmcnt(0)
	v_fmac_f32_e32 v119, v135, v127
	v_add_u32_e32 v120, s8, v122
	v_fmac_f32_e32 v119, v123, v128
	s_addc_u32 s9, s9, 0
	s_add_i32 s12, s12, 32
	s_add_i32 s13, s8, -7
	v_cmp_eq_u32_e32 vcc, 29, v120
	v_fmac_f32_e32 v119, v124, v129
	v_mov_b32_e32 v120, s13
	s_or_b64 s[10:11], vcc, s[10:11]
	v_fmac_f32_e32 v119, v125, v130
	s_andn2_b64 exec, exec, s[10:11]
	s_cbranch_execnz .LBB27_73
; %bb.74:
	s_or_b64 exec, exec, s[10:11]
.LBB27_75:
	s_or_b64 exec, exec, s[0:1]
	v_and_b32_e32 v58, 7, v121
	v_cmp_ne_u32_e32 vcc, 0, v58
	s_and_saveexec_b64 s[8:9], vcc
	s_cbranch_execz .LBB27_79
; %bb.76:
	v_mov_b32_e32 v59, 0x70
	v_lshl_add_u32 v59, v120, 2, v59
	v_mov_b32_e32 v60, 0
	s_mov_b64 s[10:11], 0
.LBB27_77:                              ; =>This Inner Loop Header: Depth=1
	v_cmp_eq_u32_e32 vcc, 1, v120
	v_cndmask_b32_e32 v61, v30, v31, vcc
	v_add_u32_e32 v58, -1, v58
	v_cmp_eq_u32_e32 vcc, 2, v120
	v_cndmask_b32_e32 v61, v61, v32, vcc
	v_cmp_eq_u32_e32 vcc, 0, v58
	v_cmp_eq_u32_e64 s[0:1], 3, v120
	v_cndmask_b32_e64 v61, v61, v33, s[0:1]
	s_or_b64 s[10:11], vcc, s[10:11]
	v_cmp_eq_u32_e32 vcc, 4, v120
	v_cndmask_b32_e32 v61, v61, v34, vcc
	v_cmp_eq_u32_e32 vcc, 5, v120
	v_cndmask_b32_e32 v61, v61, v35, vcc
	;; [unrolled: 2-line block ×19, first 2 shown]
	v_cmp_eq_u32_e32 vcc, 23, v120
	ds_read_b32 v121, v59
	v_cndmask_b32_e32 v61, v61, v53, vcc
	v_cmp_eq_u32_e32 vcc, 24, v120
	v_cndmask_b32_e32 v61, v61, v54, vcc
	v_cmp_eq_u32_e32 vcc, 25, v120
	;; [unrolled: 2-line block ×4, first 2 shown]
	v_add_co_u32_e64 v120, s[0:1], 1, v120
	v_cndmask_b32_e32 v61, v61, v57, vcc
	v_add_u32_e32 v59, 4, v59
	v_addc_co_u32_e64 v60, s[0:1], 0, v60, s[0:1]
	s_waitcnt lgkmcnt(0)
	v_fmac_f32_e32 v119, v61, v121
	s_andn2_b64 exec, exec, s[10:11]
	s_cbranch_execnz .LBB27_77
; %bb.78:
	s_or_b64 exec, exec, s[10:11]
.LBB27_79:
	s_or_b64 exec, exec, s[8:9]
.LBB27_80:
	s_or_b64 exec, exec, s[6:7]
	v_mov_b32_e32 v51, 0
	ds_read_b32 v51, v51 offset:84
	s_waitcnt lgkmcnt(0)
	v_mul_f32_e32 v51, v119, v51
.LBB27_81:
	s_or_b64 exec, exec, s[4:5]
	v_cmp_lt_u32_e64 s[0:1], 20, v0
	ds_write_b32 v118, v50
	s_waitcnt lgkmcnt(0)
	; wave barrier
	s_and_saveexec_b64 s[4:5], s[0:1]
	s_cbranch_execz .LBB27_97
; %bb.82:
	s_andn2_b64 vcc, exec, s[58:59]
	s_cbranch_vccnz .LBB27_84
; %bb.83:
	v_cmp_eq_u32_e32 vcc, 1, v0
	v_cndmask_b32_e32 v119, v30, v31, vcc
	v_cmp_eq_u32_e32 vcc, 2, v0
	v_cndmask_b32_e32 v119, v119, v32, vcc
	;; [unrolled: 2-line block ×23, first 2 shown]
	v_cmp_eq_u32_e32 vcc, 24, v0
	ds_read_b32 v120, v118
	v_cndmask_b32_e32 v119, v119, v54, vcc
	v_cmp_eq_u32_e32 vcc, 25, v0
	v_cndmask_b32_e32 v119, v119, v55, vcc
	v_cmp_eq_u32_e32 vcc, 26, v0
	;; [unrolled: 2-line block ×3, first 2 shown]
	v_cndmask_b32_e32 v119, v119, v57, vcc
	s_waitcnt lgkmcnt(0)
	v_mul_f32_e32 v119, v119, v120
	s_cbranch_execz .LBB27_85
	s_branch .LBB27_86
.LBB27_84:
                                        ; implicit-def: $vgpr119
.LBB27_85:
	ds_read_b32 v119, v118
.LBB27_86:
	s_and_saveexec_b64 s[6:7], s[2:3]
	s_cbranch_execz .LBB27_96
; %bb.87:
	v_subrev_u32_e32 v122, 22, v0
	v_mov_b32_e32 v120, 21
	v_subrev_u32_e32 v121, 21, v0
	v_cmp_lt_u32_e32 vcc, 6, v122
	s_and_saveexec_b64 s[2:3], vcc
	s_cbranch_execz .LBB27_91
; %bb.88:
	v_and_b32_e32 v120, -8, v121
	v_sub_u32_e32 v122, 0, v120
	s_mov_b64 s[8:9], 28
	s_movk_i32 s12, 0xc4
	s_mov_b64 s[10:11], 0
.LBB27_89:                              ; =>This Inner Loop Header: Depth=1
	s_add_i32 s13, s8, -7
	v_mov_b32_e32 v120, s12
	s_add_i32 s14, s8, -6
	s_set_gpr_idx_on s13, gpr_idx(SRC0)
	v_mov_b32_e32 v129, v30
	s_set_gpr_idx_off
	ds_read2_b32 v[123:124], v120 offset1:1
	s_add_i32 s15, s8, -5
	s_set_gpr_idx_on s14, gpr_idx(SRC0)
	v_mov_b32_e32 v130, v30
	s_set_gpr_idx_off
	s_add_i32 s16, s8, -4
	s_set_gpr_idx_on s15, gpr_idx(SRC0)
	v_mov_b32_e32 v131, v30
	s_set_gpr_idx_off
	ds_read2_b32 v[125:126], v120 offset0:2 offset1:3
	s_add_i32 s17, s8, -3
	s_set_gpr_idx_on s16, gpr_idx(SRC0)
	v_mov_b32_e32 v132, v30
	s_set_gpr_idx_off
	s_add_i32 s18, s8, -2
	s_set_gpr_idx_on s17, gpr_idx(SRC0)
	v_mov_b32_e32 v133, v30
	s_set_gpr_idx_off
	ds_read2_b32 v[127:128], v120 offset0:4 offset1:5
	s_add_i32 s19, s8, -1
	s_waitcnt lgkmcnt(2)
	v_fmac_f32_e32 v119, v129, v123
	s_set_gpr_idx_on s18, gpr_idx(SRC0)
	v_mov_b32_e32 v129, v30
	s_set_gpr_idx_off
	v_fmac_f32_e32 v119, v130, v124
	s_set_gpr_idx_on s19, gpr_idx(SRC0)
	v_mov_b32_e32 v130, v30
	s_set_gpr_idx_off
	ds_read2_b32 v[123:124], v120 offset0:6 offset1:7
	s_waitcnt lgkmcnt(2)
	v_fmac_f32_e32 v119, v131, v125
	s_set_gpr_idx_on s8, gpr_idx(SRC0)
	v_mov_b32_e32 v125, v30
	s_set_gpr_idx_off
	v_fmac_f32_e32 v119, v132, v126
	s_add_u32 s8, s8, 8
	s_waitcnt lgkmcnt(1)
	v_fmac_f32_e32 v119, v133, v127
	v_add_u32_e32 v120, s8, v122
	v_fmac_f32_e32 v119, v129, v128
	s_addc_u32 s9, s9, 0
	s_add_i32 s12, s12, 32
	s_add_i32 s13, s8, -7
	v_cmp_eq_u32_e32 vcc, 28, v120
	s_waitcnt lgkmcnt(0)
	v_fmac_f32_e32 v119, v130, v123
	v_mov_b32_e32 v120, s13
	s_or_b64 s[10:11], vcc, s[10:11]
	v_fmac_f32_e32 v119, v125, v124
	s_andn2_b64 exec, exec, s[10:11]
	s_cbranch_execnz .LBB27_89
; %bb.90:
	s_or_b64 exec, exec, s[10:11]
.LBB27_91:
	s_or_b64 exec, exec, s[2:3]
	v_and_b32_e32 v58, 7, v121
	v_cmp_ne_u32_e32 vcc, 0, v58
	s_and_saveexec_b64 s[8:9], vcc
	s_cbranch_execz .LBB27_95
; %bb.92:
	v_mov_b32_e32 v59, 0x70
	v_lshl_add_u32 v59, v120, 2, v59
	v_mov_b32_e32 v60, 0
	s_mov_b64 s[10:11], 0
.LBB27_93:                              ; =>This Inner Loop Header: Depth=1
	v_cmp_eq_u32_e32 vcc, 1, v120
	v_cndmask_b32_e32 v61, v30, v31, vcc
	v_add_u32_e32 v58, -1, v58
	v_cmp_eq_u32_e32 vcc, 2, v120
	v_cndmask_b32_e32 v61, v61, v32, vcc
	v_cmp_eq_u32_e32 vcc, 0, v58
	v_cmp_eq_u32_e64 s[2:3], 3, v120
	v_cndmask_b32_e64 v61, v61, v33, s[2:3]
	s_or_b64 s[10:11], vcc, s[10:11]
	v_cmp_eq_u32_e32 vcc, 4, v120
	v_cndmask_b32_e32 v61, v61, v34, vcc
	v_cmp_eq_u32_e32 vcc, 5, v120
	v_cndmask_b32_e32 v61, v61, v35, vcc
	v_cmp_eq_u32_e32 vcc, 6, v120
	v_cndmask_b32_e32 v61, v61, v36, vcc
	v_cmp_eq_u32_e32 vcc, 7, v120
	v_cndmask_b32_e32 v61, v61, v37, vcc
	v_cmp_eq_u32_e32 vcc, 8, v120
	v_cndmask_b32_e32 v61, v61, v38, vcc
	v_cmp_eq_u32_e32 vcc, 9, v120
	v_cndmask_b32_e32 v61, v61, v39, vcc
	v_cmp_eq_u32_e32 vcc, 10, v120
	v_cndmask_b32_e32 v61, v61, v40, vcc
	v_cmp_eq_u32_e32 vcc, 11, v120
	v_cndmask_b32_e32 v61, v61, v41, vcc
	v_cmp_eq_u32_e32 vcc, 12, v120
	v_cndmask_b32_e32 v61, v61, v42, vcc
	v_cmp_eq_u32_e32 vcc, 13, v120
	v_cndmask_b32_e32 v61, v61, v43, vcc
	v_cmp_eq_u32_e32 vcc, 14, v120
	v_cndmask_b32_e32 v61, v61, v44, vcc
	v_cmp_eq_u32_e32 vcc, 15, v120
	v_cndmask_b32_e32 v61, v61, v45, vcc
	v_cmp_eq_u32_e32 vcc, 16, v120
	v_cndmask_b32_e32 v61, v61, v46, vcc
	v_cmp_eq_u32_e32 vcc, 17, v120
	v_cndmask_b32_e32 v61, v61, v47, vcc
	v_cmp_eq_u32_e32 vcc, 18, v120
	v_cndmask_b32_e32 v61, v61, v48, vcc
	v_cmp_eq_u32_e32 vcc, 19, v120
	v_cndmask_b32_e32 v61, v61, v49, vcc
	v_cmp_eq_u32_e32 vcc, 20, v120
	v_cndmask_b32_e32 v61, v61, v50, vcc
	v_cmp_eq_u32_e32 vcc, 21, v120
	v_cndmask_b32_e32 v61, v61, v51, vcc
	v_cmp_eq_u32_e32 vcc, 22, v120
	v_cndmask_b32_e32 v61, v61, v52, vcc
	v_cmp_eq_u32_e32 vcc, 23, v120
	ds_read_b32 v121, v59
	v_cndmask_b32_e32 v61, v61, v53, vcc
	v_cmp_eq_u32_e32 vcc, 24, v120
	v_cndmask_b32_e32 v61, v61, v54, vcc
	v_cmp_eq_u32_e32 vcc, 25, v120
	v_cndmask_b32_e32 v61, v61, v55, vcc
	v_cmp_eq_u32_e32 vcc, 26, v120
	v_cndmask_b32_e32 v61, v61, v56, vcc
	v_cmp_eq_u32_e32 vcc, 27, v120
	v_add_co_u32_e64 v120, s[2:3], 1, v120
	v_cndmask_b32_e32 v61, v61, v57, vcc
	v_add_u32_e32 v59, 4, v59
	v_addc_co_u32_e64 v60, s[2:3], 0, v60, s[2:3]
	s_waitcnt lgkmcnt(0)
	v_fmac_f32_e32 v119, v61, v121
	s_andn2_b64 exec, exec, s[10:11]
	s_cbranch_execnz .LBB27_93
; %bb.94:
	s_or_b64 exec, exec, s[10:11]
.LBB27_95:
	s_or_b64 exec, exec, s[8:9]
.LBB27_96:
	s_or_b64 exec, exec, s[6:7]
	v_mov_b32_e32 v50, 0
	ds_read_b32 v50, v50 offset:80
	s_waitcnt lgkmcnt(0)
	v_mul_f32_e32 v50, v119, v50
.LBB27_97:
	s_or_b64 exec, exec, s[4:5]
	v_cmp_lt_u32_e64 s[2:3], 19, v0
	ds_write_b32 v118, v49
	s_waitcnt lgkmcnt(0)
	; wave barrier
	s_and_saveexec_b64 s[4:5], s[2:3]
	s_cbranch_execz .LBB27_113
; %bb.98:
	s_andn2_b64 vcc, exec, s[58:59]
	s_cbranch_vccnz .LBB27_100
; %bb.99:
	v_cmp_eq_u32_e32 vcc, 1, v0
	v_cndmask_b32_e32 v119, v30, v31, vcc
	v_cmp_eq_u32_e32 vcc, 2, v0
	v_cndmask_b32_e32 v119, v119, v32, vcc
	;; [unrolled: 2-line block ×23, first 2 shown]
	v_cmp_eq_u32_e32 vcc, 24, v0
	ds_read_b32 v120, v118
	v_cndmask_b32_e32 v119, v119, v54, vcc
	v_cmp_eq_u32_e32 vcc, 25, v0
	v_cndmask_b32_e32 v119, v119, v55, vcc
	v_cmp_eq_u32_e32 vcc, 26, v0
	;; [unrolled: 2-line block ×3, first 2 shown]
	v_cndmask_b32_e32 v119, v119, v57, vcc
	s_waitcnt lgkmcnt(0)
	v_mul_f32_e32 v119, v119, v120
	s_cbranch_execz .LBB27_101
	s_branch .LBB27_102
.LBB27_100:
                                        ; implicit-def: $vgpr119
.LBB27_101:
	ds_read_b32 v119, v118
.LBB27_102:
	s_and_saveexec_b64 s[6:7], s[0:1]
	s_cbranch_execz .LBB27_112
; %bb.103:
	v_subrev_u32_e32 v122, 21, v0
	v_mov_b32_e32 v120, 20
	v_subrev_u32_e32 v121, 20, v0
	v_cmp_lt_u32_e32 vcc, 6, v122
	s_and_saveexec_b64 s[0:1], vcc
	s_cbranch_execz .LBB27_107
; %bb.104:
	v_and_b32_e32 v120, -8, v121
	v_sub_u32_e32 v122, 0, v120
	s_mov_b64 s[8:9], 27
	s_movk_i32 s12, 0xc0
	s_mov_b64 s[10:11], 0
.LBB27_105:                             ; =>This Inner Loop Header: Depth=1
	s_add_i32 s13, s8, -7
	v_mov_b32_e32 v120, s12
	s_add_i32 s14, s8, -6
	s_set_gpr_idx_on s13, gpr_idx(SRC0)
	v_mov_b32_e32 v131, v30
	s_set_gpr_idx_off
	s_add_i32 s15, s8, -5
	ds_read_b128 v[123:126], v120
	ds_read_b128 v[127:130], v120 offset:16
	s_set_gpr_idx_on s14, gpr_idx(SRC0)
	v_mov_b32_e32 v120, v30
	s_set_gpr_idx_off
	s_add_i32 s16, s8, -4
	s_set_gpr_idx_on s15, gpr_idx(SRC0)
	v_mov_b32_e32 v132, v30
	s_set_gpr_idx_off
	s_add_i32 s17, s8, -3
	s_set_gpr_idx_on s16, gpr_idx(SRC0)
	v_mov_b32_e32 v133, v30
	s_set_gpr_idx_off
	s_add_i32 s18, s8, -2
	s_set_gpr_idx_on s17, gpr_idx(SRC0)
	v_mov_b32_e32 v134, v30
	s_set_gpr_idx_off
	s_add_i32 s19, s8, -1
	s_waitcnt lgkmcnt(1)
	v_fmac_f32_e32 v119, v131, v123
	s_set_gpr_idx_on s18, gpr_idx(SRC0)
	v_mov_b32_e32 v123, v30
	s_set_gpr_idx_off
	v_fmac_f32_e32 v119, v120, v124
	s_set_gpr_idx_on s19, gpr_idx(SRC0)
	v_mov_b32_e32 v124, v30
	s_set_gpr_idx_off
	;; [unrolled: 4-line block ×3, first 2 shown]
	v_fmac_f32_e32 v119, v133, v126
	s_add_u32 s8, s8, 8
	s_waitcnt lgkmcnt(0)
	v_fmac_f32_e32 v119, v134, v127
	v_add_u32_e32 v120, s8, v122
	v_fmac_f32_e32 v119, v123, v128
	s_addc_u32 s9, s9, 0
	s_add_i32 s12, s12, 32
	s_add_i32 s13, s8, -7
	v_cmp_eq_u32_e32 vcc, 27, v120
	v_fmac_f32_e32 v119, v124, v129
	v_mov_b32_e32 v120, s13
	s_or_b64 s[10:11], vcc, s[10:11]
	v_fmac_f32_e32 v119, v125, v130
	s_andn2_b64 exec, exec, s[10:11]
	s_cbranch_execnz .LBB27_105
; %bb.106:
	s_or_b64 exec, exec, s[10:11]
.LBB27_107:
	s_or_b64 exec, exec, s[0:1]
	v_and_b32_e32 v58, 7, v121
	v_cmp_ne_u32_e32 vcc, 0, v58
	s_and_saveexec_b64 s[8:9], vcc
	s_cbranch_execz .LBB27_111
; %bb.108:
	v_mov_b32_e32 v59, 0x70
	v_lshl_add_u32 v59, v120, 2, v59
	v_mov_b32_e32 v60, 0
	s_mov_b64 s[10:11], 0
.LBB27_109:                             ; =>This Inner Loop Header: Depth=1
	v_cmp_eq_u32_e32 vcc, 1, v120
	v_cndmask_b32_e32 v61, v30, v31, vcc
	v_add_u32_e32 v58, -1, v58
	v_cmp_eq_u32_e32 vcc, 2, v120
	v_cndmask_b32_e32 v61, v61, v32, vcc
	v_cmp_eq_u32_e32 vcc, 0, v58
	v_cmp_eq_u32_e64 s[0:1], 3, v120
	v_cndmask_b32_e64 v61, v61, v33, s[0:1]
	s_or_b64 s[10:11], vcc, s[10:11]
	v_cmp_eq_u32_e32 vcc, 4, v120
	v_cndmask_b32_e32 v61, v61, v34, vcc
	v_cmp_eq_u32_e32 vcc, 5, v120
	v_cndmask_b32_e32 v61, v61, v35, vcc
	;; [unrolled: 2-line block ×19, first 2 shown]
	v_cmp_eq_u32_e32 vcc, 23, v120
	ds_read_b32 v121, v59
	v_cndmask_b32_e32 v61, v61, v53, vcc
	v_cmp_eq_u32_e32 vcc, 24, v120
	v_cndmask_b32_e32 v61, v61, v54, vcc
	v_cmp_eq_u32_e32 vcc, 25, v120
	;; [unrolled: 2-line block ×4, first 2 shown]
	v_add_co_u32_e64 v120, s[0:1], 1, v120
	v_cndmask_b32_e32 v61, v61, v57, vcc
	v_add_u32_e32 v59, 4, v59
	v_addc_co_u32_e64 v60, s[0:1], 0, v60, s[0:1]
	s_waitcnt lgkmcnt(0)
	v_fmac_f32_e32 v119, v61, v121
	s_andn2_b64 exec, exec, s[10:11]
	s_cbranch_execnz .LBB27_109
; %bb.110:
	s_or_b64 exec, exec, s[10:11]
.LBB27_111:
	s_or_b64 exec, exec, s[8:9]
.LBB27_112:
	s_or_b64 exec, exec, s[6:7]
	v_mov_b32_e32 v49, 0
	ds_read_b32 v49, v49 offset:76
	s_waitcnt lgkmcnt(0)
	v_mul_f32_e32 v49, v119, v49
.LBB27_113:
	s_or_b64 exec, exec, s[4:5]
	v_cmp_lt_u32_e64 s[0:1], 18, v0
	ds_write_b32 v118, v48
	s_waitcnt lgkmcnt(0)
	; wave barrier
	s_and_saveexec_b64 s[4:5], s[0:1]
	s_cbranch_execz .LBB27_129
; %bb.114:
	s_andn2_b64 vcc, exec, s[58:59]
	s_cbranch_vccnz .LBB27_116
; %bb.115:
	v_cmp_eq_u32_e32 vcc, 1, v0
	v_cndmask_b32_e32 v119, v30, v31, vcc
	v_cmp_eq_u32_e32 vcc, 2, v0
	v_cndmask_b32_e32 v119, v119, v32, vcc
	;; [unrolled: 2-line block ×23, first 2 shown]
	v_cmp_eq_u32_e32 vcc, 24, v0
	ds_read_b32 v120, v118
	v_cndmask_b32_e32 v119, v119, v54, vcc
	v_cmp_eq_u32_e32 vcc, 25, v0
	v_cndmask_b32_e32 v119, v119, v55, vcc
	v_cmp_eq_u32_e32 vcc, 26, v0
	;; [unrolled: 2-line block ×3, first 2 shown]
	v_cndmask_b32_e32 v119, v119, v57, vcc
	s_waitcnt lgkmcnt(0)
	v_mul_f32_e32 v119, v119, v120
	s_cbranch_execz .LBB27_117
	s_branch .LBB27_118
.LBB27_116:
                                        ; implicit-def: $vgpr119
.LBB27_117:
	ds_read_b32 v119, v118
.LBB27_118:
	s_and_saveexec_b64 s[6:7], s[2:3]
	s_cbranch_execz .LBB27_128
; %bb.119:
	v_subrev_u32_e32 v122, 20, v0
	v_mov_b32_e32 v120, 19
	v_subrev_u32_e32 v121, 19, v0
	v_cmp_lt_u32_e32 vcc, 6, v122
	s_and_saveexec_b64 s[2:3], vcc
	s_cbranch_execz .LBB27_123
; %bb.120:
	v_and_b32_e32 v120, -8, v121
	v_sub_u32_e32 v122, 0, v120
	s_mov_b64 s[8:9], 26
	s_movk_i32 s12, 0xbc
	s_mov_b64 s[10:11], 0
.LBB27_121:                             ; =>This Inner Loop Header: Depth=1
	s_add_i32 s13, s8, -7
	v_mov_b32_e32 v120, s12
	s_add_i32 s14, s8, -6
	s_set_gpr_idx_on s13, gpr_idx(SRC0)
	v_mov_b32_e32 v129, v30
	s_set_gpr_idx_off
	ds_read2_b32 v[123:124], v120 offset1:1
	s_add_i32 s15, s8, -5
	s_set_gpr_idx_on s14, gpr_idx(SRC0)
	v_mov_b32_e32 v130, v30
	s_set_gpr_idx_off
	s_add_i32 s16, s8, -4
	s_set_gpr_idx_on s15, gpr_idx(SRC0)
	v_mov_b32_e32 v131, v30
	s_set_gpr_idx_off
	ds_read2_b32 v[125:126], v120 offset0:2 offset1:3
	s_add_i32 s17, s8, -3
	s_set_gpr_idx_on s16, gpr_idx(SRC0)
	v_mov_b32_e32 v132, v30
	s_set_gpr_idx_off
	s_add_i32 s18, s8, -2
	s_set_gpr_idx_on s17, gpr_idx(SRC0)
	v_mov_b32_e32 v133, v30
	s_set_gpr_idx_off
	ds_read2_b32 v[127:128], v120 offset0:4 offset1:5
	s_add_i32 s19, s8, -1
	s_waitcnt lgkmcnt(2)
	v_fmac_f32_e32 v119, v129, v123
	s_set_gpr_idx_on s18, gpr_idx(SRC0)
	v_mov_b32_e32 v129, v30
	s_set_gpr_idx_off
	v_fmac_f32_e32 v119, v130, v124
	s_set_gpr_idx_on s19, gpr_idx(SRC0)
	v_mov_b32_e32 v130, v30
	s_set_gpr_idx_off
	ds_read2_b32 v[123:124], v120 offset0:6 offset1:7
	s_waitcnt lgkmcnt(2)
	v_fmac_f32_e32 v119, v131, v125
	s_set_gpr_idx_on s8, gpr_idx(SRC0)
	v_mov_b32_e32 v125, v30
	s_set_gpr_idx_off
	v_fmac_f32_e32 v119, v132, v126
	s_add_u32 s8, s8, 8
	s_waitcnt lgkmcnt(1)
	v_fmac_f32_e32 v119, v133, v127
	v_add_u32_e32 v120, s8, v122
	v_fmac_f32_e32 v119, v129, v128
	s_addc_u32 s9, s9, 0
	s_add_i32 s12, s12, 32
	s_add_i32 s13, s8, -7
	v_cmp_eq_u32_e32 vcc, 26, v120
	s_waitcnt lgkmcnt(0)
	v_fmac_f32_e32 v119, v130, v123
	v_mov_b32_e32 v120, s13
	s_or_b64 s[10:11], vcc, s[10:11]
	v_fmac_f32_e32 v119, v125, v124
	s_andn2_b64 exec, exec, s[10:11]
	s_cbranch_execnz .LBB27_121
; %bb.122:
	s_or_b64 exec, exec, s[10:11]
.LBB27_123:
	s_or_b64 exec, exec, s[2:3]
	v_and_b32_e32 v58, 7, v121
	v_cmp_ne_u32_e32 vcc, 0, v58
	s_and_saveexec_b64 s[8:9], vcc
	s_cbranch_execz .LBB27_127
; %bb.124:
	v_mov_b32_e32 v59, 0x70
	v_lshl_add_u32 v59, v120, 2, v59
	v_mov_b32_e32 v60, 0
	s_mov_b64 s[10:11], 0
.LBB27_125:                             ; =>This Inner Loop Header: Depth=1
	v_cmp_eq_u32_e32 vcc, 1, v120
	v_cndmask_b32_e32 v61, v30, v31, vcc
	v_add_u32_e32 v58, -1, v58
	v_cmp_eq_u32_e32 vcc, 2, v120
	v_cndmask_b32_e32 v61, v61, v32, vcc
	v_cmp_eq_u32_e32 vcc, 0, v58
	v_cmp_eq_u32_e64 s[2:3], 3, v120
	v_cndmask_b32_e64 v61, v61, v33, s[2:3]
	s_or_b64 s[10:11], vcc, s[10:11]
	v_cmp_eq_u32_e32 vcc, 4, v120
	v_cndmask_b32_e32 v61, v61, v34, vcc
	v_cmp_eq_u32_e32 vcc, 5, v120
	v_cndmask_b32_e32 v61, v61, v35, vcc
	;; [unrolled: 2-line block ×19, first 2 shown]
	v_cmp_eq_u32_e32 vcc, 23, v120
	ds_read_b32 v121, v59
	v_cndmask_b32_e32 v61, v61, v53, vcc
	v_cmp_eq_u32_e32 vcc, 24, v120
	v_cndmask_b32_e32 v61, v61, v54, vcc
	v_cmp_eq_u32_e32 vcc, 25, v120
	;; [unrolled: 2-line block ×4, first 2 shown]
	v_add_co_u32_e64 v120, s[2:3], 1, v120
	v_cndmask_b32_e32 v61, v61, v57, vcc
	v_add_u32_e32 v59, 4, v59
	v_addc_co_u32_e64 v60, s[2:3], 0, v60, s[2:3]
	s_waitcnt lgkmcnt(0)
	v_fmac_f32_e32 v119, v61, v121
	s_andn2_b64 exec, exec, s[10:11]
	s_cbranch_execnz .LBB27_125
; %bb.126:
	s_or_b64 exec, exec, s[10:11]
.LBB27_127:
	s_or_b64 exec, exec, s[8:9]
.LBB27_128:
	s_or_b64 exec, exec, s[6:7]
	v_mov_b32_e32 v48, 0
	ds_read_b32 v48, v48 offset:72
	s_waitcnt lgkmcnt(0)
	v_mul_f32_e32 v48, v119, v48
.LBB27_129:
	s_or_b64 exec, exec, s[4:5]
	v_cmp_lt_u32_e64 s[2:3], 17, v0
	ds_write_b32 v118, v47
	s_waitcnt lgkmcnt(0)
	; wave barrier
	s_and_saveexec_b64 s[4:5], s[2:3]
	s_cbranch_execz .LBB27_145
; %bb.130:
	s_andn2_b64 vcc, exec, s[58:59]
	s_cbranch_vccnz .LBB27_132
; %bb.131:
	v_cmp_eq_u32_e32 vcc, 1, v0
	v_cndmask_b32_e32 v119, v30, v31, vcc
	v_cmp_eq_u32_e32 vcc, 2, v0
	v_cndmask_b32_e32 v119, v119, v32, vcc
	;; [unrolled: 2-line block ×23, first 2 shown]
	v_cmp_eq_u32_e32 vcc, 24, v0
	ds_read_b32 v120, v118
	v_cndmask_b32_e32 v119, v119, v54, vcc
	v_cmp_eq_u32_e32 vcc, 25, v0
	v_cndmask_b32_e32 v119, v119, v55, vcc
	v_cmp_eq_u32_e32 vcc, 26, v0
	;; [unrolled: 2-line block ×3, first 2 shown]
	v_cndmask_b32_e32 v119, v119, v57, vcc
	s_waitcnt lgkmcnt(0)
	v_mul_f32_e32 v119, v119, v120
	s_cbranch_execz .LBB27_133
	s_branch .LBB27_134
.LBB27_132:
                                        ; implicit-def: $vgpr119
.LBB27_133:
	ds_read_b32 v119, v118
.LBB27_134:
	s_and_saveexec_b64 s[6:7], s[0:1]
	s_cbranch_execz .LBB27_144
; %bb.135:
	v_subrev_u32_e32 v122, 19, v0
	v_mov_b32_e32 v120, 18
	v_subrev_u32_e32 v121, 18, v0
	v_cmp_lt_u32_e32 vcc, 6, v122
	s_and_saveexec_b64 s[0:1], vcc
	s_cbranch_execz .LBB27_139
; %bb.136:
	v_and_b32_e32 v120, -8, v121
	v_sub_u32_e32 v122, 0, v120
	s_mov_b64 s[8:9], 25
	s_movk_i32 s12, 0xb8
	s_mov_b64 s[10:11], 0
.LBB27_137:                             ; =>This Inner Loop Header: Depth=1
	s_add_i32 s13, s8, -7
	v_mov_b32_e32 v120, s12
	s_add_i32 s14, s8, -6
	s_set_gpr_idx_on s13, gpr_idx(SRC0)
	v_mov_b32_e32 v131, v30
	s_set_gpr_idx_off
	ds_read2_b64 v[123:126], v120 offset1:1
	s_add_i32 s15, s8, -5
	s_set_gpr_idx_on s14, gpr_idx(SRC0)
	v_mov_b32_e32 v132, v30
	s_set_gpr_idx_off
	s_add_i32 s16, s8, -4
	s_set_gpr_idx_on s15, gpr_idx(SRC0)
	v_mov_b32_e32 v133, v30
	s_set_gpr_idx_off
	s_add_i32 s17, s8, -3
	s_set_gpr_idx_on s16, gpr_idx(SRC0)
	v_mov_b32_e32 v134, v30
	s_set_gpr_idx_off
	s_add_i32 s18, s8, -2
	s_set_gpr_idx_on s17, gpr_idx(SRC0)
	v_mov_b32_e32 v135, v30
	s_set_gpr_idx_off
	ds_read2_b64 v[127:130], v120 offset0:2 offset1:3
	s_add_i32 s19, s8, -1
	s_waitcnt lgkmcnt(1)
	v_fmac_f32_e32 v119, v131, v123
	s_set_gpr_idx_on s18, gpr_idx(SRC0)
	v_mov_b32_e32 v123, v30
	s_set_gpr_idx_off
	v_fmac_f32_e32 v119, v132, v124
	s_set_gpr_idx_on s19, gpr_idx(SRC0)
	v_mov_b32_e32 v124, v30
	s_set_gpr_idx_off
	;; [unrolled: 4-line block ×3, first 2 shown]
	v_fmac_f32_e32 v119, v134, v126
	s_add_u32 s8, s8, 8
	s_waitcnt lgkmcnt(0)
	v_fmac_f32_e32 v119, v135, v127
	v_add_u32_e32 v120, s8, v122
	v_fmac_f32_e32 v119, v123, v128
	s_addc_u32 s9, s9, 0
	s_add_i32 s12, s12, 32
	s_add_i32 s13, s8, -7
	v_cmp_eq_u32_e32 vcc, 25, v120
	v_fmac_f32_e32 v119, v124, v129
	v_mov_b32_e32 v120, s13
	s_or_b64 s[10:11], vcc, s[10:11]
	v_fmac_f32_e32 v119, v125, v130
	s_andn2_b64 exec, exec, s[10:11]
	s_cbranch_execnz .LBB27_137
; %bb.138:
	s_or_b64 exec, exec, s[10:11]
.LBB27_139:
	s_or_b64 exec, exec, s[0:1]
	v_and_b32_e32 v58, 7, v121
	v_cmp_ne_u32_e32 vcc, 0, v58
	s_and_saveexec_b64 s[8:9], vcc
	s_cbranch_execz .LBB27_143
; %bb.140:
	v_mov_b32_e32 v59, 0x70
	v_lshl_add_u32 v59, v120, 2, v59
	v_mov_b32_e32 v60, 0
	s_mov_b64 s[10:11], 0
.LBB27_141:                             ; =>This Inner Loop Header: Depth=1
	v_cmp_eq_u32_e32 vcc, 1, v120
	v_cndmask_b32_e32 v61, v30, v31, vcc
	v_add_u32_e32 v58, -1, v58
	v_cmp_eq_u32_e32 vcc, 2, v120
	v_cndmask_b32_e32 v61, v61, v32, vcc
	v_cmp_eq_u32_e32 vcc, 0, v58
	v_cmp_eq_u32_e64 s[0:1], 3, v120
	v_cndmask_b32_e64 v61, v61, v33, s[0:1]
	s_or_b64 s[10:11], vcc, s[10:11]
	v_cmp_eq_u32_e32 vcc, 4, v120
	v_cndmask_b32_e32 v61, v61, v34, vcc
	v_cmp_eq_u32_e32 vcc, 5, v120
	v_cndmask_b32_e32 v61, v61, v35, vcc
	;; [unrolled: 2-line block ×19, first 2 shown]
	v_cmp_eq_u32_e32 vcc, 23, v120
	ds_read_b32 v121, v59
	v_cndmask_b32_e32 v61, v61, v53, vcc
	v_cmp_eq_u32_e32 vcc, 24, v120
	v_cndmask_b32_e32 v61, v61, v54, vcc
	v_cmp_eq_u32_e32 vcc, 25, v120
	v_cndmask_b32_e32 v61, v61, v55, vcc
	v_cmp_eq_u32_e32 vcc, 26, v120
	v_cndmask_b32_e32 v61, v61, v56, vcc
	v_cmp_eq_u32_e32 vcc, 27, v120
	v_add_co_u32_e64 v120, s[0:1], 1, v120
	v_cndmask_b32_e32 v61, v61, v57, vcc
	v_add_u32_e32 v59, 4, v59
	v_addc_co_u32_e64 v60, s[0:1], 0, v60, s[0:1]
	s_waitcnt lgkmcnt(0)
	v_fmac_f32_e32 v119, v61, v121
	s_andn2_b64 exec, exec, s[10:11]
	s_cbranch_execnz .LBB27_141
; %bb.142:
	s_or_b64 exec, exec, s[10:11]
.LBB27_143:
	s_or_b64 exec, exec, s[8:9]
.LBB27_144:
	s_or_b64 exec, exec, s[6:7]
	v_mov_b32_e32 v47, 0
	ds_read_b32 v47, v47 offset:68
	s_waitcnt lgkmcnt(0)
	v_mul_f32_e32 v47, v119, v47
.LBB27_145:
	s_or_b64 exec, exec, s[4:5]
	v_cmp_lt_u32_e64 s[0:1], 16, v0
	ds_write_b32 v118, v46
	s_waitcnt lgkmcnt(0)
	; wave barrier
	s_and_saveexec_b64 s[4:5], s[0:1]
	s_cbranch_execz .LBB27_161
; %bb.146:
	s_andn2_b64 vcc, exec, s[58:59]
	s_cbranch_vccnz .LBB27_148
; %bb.147:
	v_cmp_eq_u32_e32 vcc, 1, v0
	v_cndmask_b32_e32 v119, v30, v31, vcc
	v_cmp_eq_u32_e32 vcc, 2, v0
	v_cndmask_b32_e32 v119, v119, v32, vcc
	;; [unrolled: 2-line block ×23, first 2 shown]
	v_cmp_eq_u32_e32 vcc, 24, v0
	ds_read_b32 v120, v118
	v_cndmask_b32_e32 v119, v119, v54, vcc
	v_cmp_eq_u32_e32 vcc, 25, v0
	v_cndmask_b32_e32 v119, v119, v55, vcc
	v_cmp_eq_u32_e32 vcc, 26, v0
	;; [unrolled: 2-line block ×3, first 2 shown]
	v_cndmask_b32_e32 v119, v119, v57, vcc
	s_waitcnt lgkmcnt(0)
	v_mul_f32_e32 v119, v119, v120
	s_cbranch_execz .LBB27_149
	s_branch .LBB27_150
.LBB27_148:
                                        ; implicit-def: $vgpr119
.LBB27_149:
	ds_read_b32 v119, v118
.LBB27_150:
	s_and_saveexec_b64 s[6:7], s[2:3]
	s_cbranch_execz .LBB27_160
; %bb.151:
	v_subrev_u32_e32 v122, 18, v0
	v_mov_b32_e32 v120, 17
	v_subrev_u32_e32 v121, 17, v0
	v_cmp_lt_u32_e32 vcc, 6, v122
	s_and_saveexec_b64 s[2:3], vcc
	s_cbranch_execz .LBB27_155
; %bb.152:
	v_and_b32_e32 v120, -8, v121
	v_sub_u32_e32 v122, 0, v120
	s_mov_b64 s[8:9], 24
	s_movk_i32 s12, 0xb4
	s_mov_b64 s[10:11], 0
.LBB27_153:                             ; =>This Inner Loop Header: Depth=1
	s_add_i32 s13, s8, -7
	v_mov_b32_e32 v120, s12
	s_add_i32 s14, s8, -6
	s_set_gpr_idx_on s13, gpr_idx(SRC0)
	v_mov_b32_e32 v129, v30
	s_set_gpr_idx_off
	ds_read2_b32 v[123:124], v120 offset1:1
	s_add_i32 s15, s8, -5
	s_set_gpr_idx_on s14, gpr_idx(SRC0)
	v_mov_b32_e32 v130, v30
	s_set_gpr_idx_off
	s_add_i32 s16, s8, -4
	s_set_gpr_idx_on s15, gpr_idx(SRC0)
	v_mov_b32_e32 v131, v30
	s_set_gpr_idx_off
	ds_read2_b32 v[125:126], v120 offset0:2 offset1:3
	s_add_i32 s17, s8, -3
	s_set_gpr_idx_on s16, gpr_idx(SRC0)
	v_mov_b32_e32 v132, v30
	s_set_gpr_idx_off
	s_add_i32 s18, s8, -2
	s_set_gpr_idx_on s17, gpr_idx(SRC0)
	v_mov_b32_e32 v133, v30
	s_set_gpr_idx_off
	ds_read2_b32 v[127:128], v120 offset0:4 offset1:5
	s_add_i32 s19, s8, -1
	s_waitcnt lgkmcnt(2)
	v_fmac_f32_e32 v119, v129, v123
	s_set_gpr_idx_on s18, gpr_idx(SRC0)
	v_mov_b32_e32 v129, v30
	s_set_gpr_idx_off
	v_fmac_f32_e32 v119, v130, v124
	s_set_gpr_idx_on s19, gpr_idx(SRC0)
	v_mov_b32_e32 v130, v30
	s_set_gpr_idx_off
	ds_read2_b32 v[123:124], v120 offset0:6 offset1:7
	s_waitcnt lgkmcnt(2)
	v_fmac_f32_e32 v119, v131, v125
	s_set_gpr_idx_on s8, gpr_idx(SRC0)
	v_mov_b32_e32 v125, v30
	s_set_gpr_idx_off
	v_fmac_f32_e32 v119, v132, v126
	s_add_u32 s8, s8, 8
	s_waitcnt lgkmcnt(1)
	v_fmac_f32_e32 v119, v133, v127
	v_add_u32_e32 v120, s8, v122
	v_fmac_f32_e32 v119, v129, v128
	s_addc_u32 s9, s9, 0
	s_add_i32 s12, s12, 32
	s_add_i32 s13, s8, -7
	v_cmp_eq_u32_e32 vcc, 24, v120
	s_waitcnt lgkmcnt(0)
	v_fmac_f32_e32 v119, v130, v123
	v_mov_b32_e32 v120, s13
	s_or_b64 s[10:11], vcc, s[10:11]
	v_fmac_f32_e32 v119, v125, v124
	s_andn2_b64 exec, exec, s[10:11]
	s_cbranch_execnz .LBB27_153
; %bb.154:
	s_or_b64 exec, exec, s[10:11]
.LBB27_155:
	s_or_b64 exec, exec, s[2:3]
	v_and_b32_e32 v58, 7, v121
	v_cmp_ne_u32_e32 vcc, 0, v58
	s_and_saveexec_b64 s[8:9], vcc
	s_cbranch_execz .LBB27_159
; %bb.156:
	v_mov_b32_e32 v59, 0x70
	v_lshl_add_u32 v59, v120, 2, v59
	v_mov_b32_e32 v60, 0
	s_mov_b64 s[10:11], 0
.LBB27_157:                             ; =>This Inner Loop Header: Depth=1
	v_cmp_eq_u32_e32 vcc, 1, v120
	v_cndmask_b32_e32 v61, v30, v31, vcc
	v_add_u32_e32 v58, -1, v58
	v_cmp_eq_u32_e32 vcc, 2, v120
	v_cndmask_b32_e32 v61, v61, v32, vcc
	v_cmp_eq_u32_e32 vcc, 0, v58
	v_cmp_eq_u32_e64 s[2:3], 3, v120
	v_cndmask_b32_e64 v61, v61, v33, s[2:3]
	s_or_b64 s[10:11], vcc, s[10:11]
	v_cmp_eq_u32_e32 vcc, 4, v120
	v_cndmask_b32_e32 v61, v61, v34, vcc
	v_cmp_eq_u32_e32 vcc, 5, v120
	v_cndmask_b32_e32 v61, v61, v35, vcc
	;; [unrolled: 2-line block ×19, first 2 shown]
	v_cmp_eq_u32_e32 vcc, 23, v120
	ds_read_b32 v121, v59
	v_cndmask_b32_e32 v61, v61, v53, vcc
	v_cmp_eq_u32_e32 vcc, 24, v120
	v_cndmask_b32_e32 v61, v61, v54, vcc
	v_cmp_eq_u32_e32 vcc, 25, v120
	;; [unrolled: 2-line block ×4, first 2 shown]
	v_add_co_u32_e64 v120, s[2:3], 1, v120
	v_cndmask_b32_e32 v61, v61, v57, vcc
	v_add_u32_e32 v59, 4, v59
	v_addc_co_u32_e64 v60, s[2:3], 0, v60, s[2:3]
	s_waitcnt lgkmcnt(0)
	v_fmac_f32_e32 v119, v61, v121
	s_andn2_b64 exec, exec, s[10:11]
	s_cbranch_execnz .LBB27_157
; %bb.158:
	s_or_b64 exec, exec, s[10:11]
.LBB27_159:
	s_or_b64 exec, exec, s[8:9]
.LBB27_160:
	s_or_b64 exec, exec, s[6:7]
	v_mov_b32_e32 v46, 0
	ds_read_b32 v46, v46 offset:64
	s_waitcnt lgkmcnt(0)
	v_mul_f32_e32 v46, v119, v46
.LBB27_161:
	s_or_b64 exec, exec, s[4:5]
	v_cmp_lt_u32_e64 s[2:3], 15, v0
	ds_write_b32 v118, v45
	s_waitcnt lgkmcnt(0)
	; wave barrier
	s_and_saveexec_b64 s[4:5], s[2:3]
	s_cbranch_execz .LBB27_177
; %bb.162:
	s_andn2_b64 vcc, exec, s[58:59]
	s_cbranch_vccnz .LBB27_164
; %bb.163:
	v_cmp_eq_u32_e32 vcc, 1, v0
	v_cndmask_b32_e32 v119, v30, v31, vcc
	v_cmp_eq_u32_e32 vcc, 2, v0
	v_cndmask_b32_e32 v119, v119, v32, vcc
	;; [unrolled: 2-line block ×23, first 2 shown]
	v_cmp_eq_u32_e32 vcc, 24, v0
	ds_read_b32 v120, v118
	v_cndmask_b32_e32 v119, v119, v54, vcc
	v_cmp_eq_u32_e32 vcc, 25, v0
	v_cndmask_b32_e32 v119, v119, v55, vcc
	v_cmp_eq_u32_e32 vcc, 26, v0
	;; [unrolled: 2-line block ×3, first 2 shown]
	v_cndmask_b32_e32 v119, v119, v57, vcc
	s_waitcnt lgkmcnt(0)
	v_mul_f32_e32 v119, v119, v120
	s_cbranch_execz .LBB27_165
	s_branch .LBB27_166
.LBB27_164:
                                        ; implicit-def: $vgpr119
.LBB27_165:
	ds_read_b32 v119, v118
.LBB27_166:
	s_and_saveexec_b64 s[6:7], s[0:1]
	s_cbranch_execz .LBB27_176
; %bb.167:
	v_subrev_u32_e32 v120, 17, v0
	v_cmp_lt_u32_e32 vcc, 6, v120
	v_mov_b32_e32 v120, 16
	s_and_saveexec_b64 s[0:1], vcc
	s_cbranch_execz .LBB27_171
; %bb.168:
	v_and_b32_e32 v120, 24, v0
	v_sub_u32_e32 v121, 0, v120
	s_mov_b64 s[8:9], 23
	s_movk_i32 s12, 0xb0
	s_mov_b64 s[10:11], 0
.LBB27_169:                             ; =>This Inner Loop Header: Depth=1
	s_add_i32 s13, s8, -7
	v_mov_b32_e32 v120, s12
	s_add_i32 s14, s8, -6
	s_set_gpr_idx_on s13, gpr_idx(SRC0)
	v_mov_b32_e32 v130, v30
	s_set_gpr_idx_off
	s_add_i32 s15, s8, -5
	ds_read_b128 v[122:125], v120
	ds_read_b128 v[126:129], v120 offset:16
	s_set_gpr_idx_on s14, gpr_idx(SRC0)
	v_mov_b32_e32 v120, v30
	s_set_gpr_idx_off
	s_add_i32 s16, s8, -4
	s_set_gpr_idx_on s15, gpr_idx(SRC0)
	v_mov_b32_e32 v131, v30
	s_set_gpr_idx_off
	s_add_i32 s17, s8, -3
	;; [unrolled: 4-line block ×4, first 2 shown]
	s_waitcnt lgkmcnt(1)
	v_fmac_f32_e32 v119, v130, v122
	s_set_gpr_idx_on s18, gpr_idx(SRC0)
	v_mov_b32_e32 v122, v30
	s_set_gpr_idx_off
	v_fmac_f32_e32 v119, v120, v123
	s_set_gpr_idx_on s19, gpr_idx(SRC0)
	v_mov_b32_e32 v123, v30
	s_set_gpr_idx_off
	v_fmac_f32_e32 v119, v131, v124
	s_set_gpr_idx_on s8, gpr_idx(SRC0)
	v_mov_b32_e32 v124, v30
	s_set_gpr_idx_off
	v_fmac_f32_e32 v119, v132, v125
	s_add_u32 s8, s8, 8
	s_waitcnt lgkmcnt(0)
	v_fmac_f32_e32 v119, v133, v126
	v_add_u32_e32 v120, s8, v121
	v_fmac_f32_e32 v119, v122, v127
	s_addc_u32 s9, s9, 0
	s_add_i32 s12, s12, 32
	s_add_i32 s13, s8, -7
	v_cmp_eq_u32_e32 vcc, 7, v120
	v_fmac_f32_e32 v119, v123, v128
	v_mov_b32_e32 v120, s13
	s_or_b64 s[10:11], vcc, s[10:11]
	v_fmac_f32_e32 v119, v124, v129
	s_andn2_b64 exec, exec, s[10:11]
	s_cbranch_execnz .LBB27_169
; %bb.170:
	s_or_b64 exec, exec, s[10:11]
.LBB27_171:
	s_or_b64 exec, exec, s[0:1]
	v_and_b32_e32 v58, 7, v0
	v_cmp_ne_u32_e32 vcc, 0, v58
	s_and_saveexec_b64 s[8:9], vcc
	s_cbranch_execz .LBB27_175
; %bb.172:
	v_mov_b32_e32 v59, 0x70
	v_lshl_add_u32 v59, v120, 2, v59
	v_mov_b32_e32 v60, 0
	s_mov_b64 s[10:11], 0
.LBB27_173:                             ; =>This Inner Loop Header: Depth=1
	v_cmp_eq_u32_e32 vcc, 1, v120
	v_cndmask_b32_e32 v61, v30, v31, vcc
	v_add_u32_e32 v58, -1, v58
	v_cmp_eq_u32_e32 vcc, 2, v120
	v_cndmask_b32_e32 v61, v61, v32, vcc
	v_cmp_eq_u32_e32 vcc, 0, v58
	v_cmp_eq_u32_e64 s[0:1], 3, v120
	v_cndmask_b32_e64 v61, v61, v33, s[0:1]
	s_or_b64 s[10:11], vcc, s[10:11]
	v_cmp_eq_u32_e32 vcc, 4, v120
	v_cndmask_b32_e32 v61, v61, v34, vcc
	v_cmp_eq_u32_e32 vcc, 5, v120
	v_cndmask_b32_e32 v61, v61, v35, vcc
	;; [unrolled: 2-line block ×19, first 2 shown]
	v_cmp_eq_u32_e32 vcc, 23, v120
	ds_read_b32 v121, v59
	v_cndmask_b32_e32 v61, v61, v53, vcc
	v_cmp_eq_u32_e32 vcc, 24, v120
	v_cndmask_b32_e32 v61, v61, v54, vcc
	v_cmp_eq_u32_e32 vcc, 25, v120
	;; [unrolled: 2-line block ×4, first 2 shown]
	v_add_co_u32_e64 v120, s[0:1], 1, v120
	v_cndmask_b32_e32 v61, v61, v57, vcc
	v_add_u32_e32 v59, 4, v59
	v_addc_co_u32_e64 v60, s[0:1], 0, v60, s[0:1]
	s_waitcnt lgkmcnt(0)
	v_fmac_f32_e32 v119, v61, v121
	s_andn2_b64 exec, exec, s[10:11]
	s_cbranch_execnz .LBB27_173
; %bb.174:
	s_or_b64 exec, exec, s[10:11]
.LBB27_175:
	s_or_b64 exec, exec, s[8:9]
.LBB27_176:
	s_or_b64 exec, exec, s[6:7]
	v_mov_b32_e32 v45, 0
	ds_read_b32 v45, v45 offset:60
	s_waitcnt lgkmcnt(0)
	v_mul_f32_e32 v45, v119, v45
.LBB27_177:
	s_or_b64 exec, exec, s[4:5]
	v_cmp_lt_u32_e64 s[0:1], 14, v0
	ds_write_b32 v118, v44
	s_waitcnt lgkmcnt(0)
	; wave barrier
	s_and_saveexec_b64 s[4:5], s[0:1]
	s_cbranch_execz .LBB27_193
; %bb.178:
	s_andn2_b64 vcc, exec, s[58:59]
	s_cbranch_vccnz .LBB27_180
; %bb.179:
	v_cmp_eq_u32_e32 vcc, 1, v0
	v_cndmask_b32_e32 v119, v30, v31, vcc
	v_cmp_eq_u32_e32 vcc, 2, v0
	v_cndmask_b32_e32 v119, v119, v32, vcc
	;; [unrolled: 2-line block ×23, first 2 shown]
	v_cmp_eq_u32_e32 vcc, 24, v0
	ds_read_b32 v120, v118
	v_cndmask_b32_e32 v119, v119, v54, vcc
	v_cmp_eq_u32_e32 vcc, 25, v0
	v_cndmask_b32_e32 v119, v119, v55, vcc
	v_cmp_eq_u32_e32 vcc, 26, v0
	;; [unrolled: 2-line block ×3, first 2 shown]
	v_cndmask_b32_e32 v119, v119, v57, vcc
	s_waitcnt lgkmcnt(0)
	v_mul_f32_e32 v119, v119, v120
	s_cbranch_execz .LBB27_181
	s_branch .LBB27_182
.LBB27_180:
                                        ; implicit-def: $vgpr119
.LBB27_181:
	ds_read_b32 v119, v118
.LBB27_182:
	s_and_saveexec_b64 s[6:7], s[2:3]
	s_cbranch_execz .LBB27_192
; %bb.183:
	v_add_u32_e32 v120, -16, v0
	v_add_u32_e32 v121, -15, v0
	v_cmp_lt_u32_e32 vcc, 6, v120
	v_mov_b32_e32 v120, 15
	s_and_saveexec_b64 s[2:3], vcc
	s_cbranch_execz .LBB27_187
; %bb.184:
	v_and_b32_e32 v120, -8, v121
	v_sub_u32_e32 v122, 0, v120
	s_mov_b64 s[8:9], 22
	s_movk_i32 s12, 0xac
	s_mov_b64 s[10:11], 0
.LBB27_185:                             ; =>This Inner Loop Header: Depth=1
	s_add_i32 s13, s8, -7
	v_mov_b32_e32 v120, s12
	s_add_i32 s14, s8, -6
	s_set_gpr_idx_on s13, gpr_idx(SRC0)
	v_mov_b32_e32 v129, v30
	s_set_gpr_idx_off
	ds_read2_b32 v[123:124], v120 offset1:1
	s_add_i32 s15, s8, -5
	s_set_gpr_idx_on s14, gpr_idx(SRC0)
	v_mov_b32_e32 v130, v30
	s_set_gpr_idx_off
	s_add_i32 s16, s8, -4
	s_set_gpr_idx_on s15, gpr_idx(SRC0)
	v_mov_b32_e32 v131, v30
	s_set_gpr_idx_off
	ds_read2_b32 v[125:126], v120 offset0:2 offset1:3
	s_add_i32 s17, s8, -3
	s_set_gpr_idx_on s16, gpr_idx(SRC0)
	v_mov_b32_e32 v132, v30
	s_set_gpr_idx_off
	s_add_i32 s18, s8, -2
	s_set_gpr_idx_on s17, gpr_idx(SRC0)
	v_mov_b32_e32 v133, v30
	s_set_gpr_idx_off
	ds_read2_b32 v[127:128], v120 offset0:4 offset1:5
	s_add_i32 s19, s8, -1
	s_waitcnt lgkmcnt(2)
	v_fmac_f32_e32 v119, v129, v123
	s_set_gpr_idx_on s18, gpr_idx(SRC0)
	v_mov_b32_e32 v129, v30
	s_set_gpr_idx_off
	v_fmac_f32_e32 v119, v130, v124
	s_set_gpr_idx_on s19, gpr_idx(SRC0)
	v_mov_b32_e32 v130, v30
	s_set_gpr_idx_off
	ds_read2_b32 v[123:124], v120 offset0:6 offset1:7
	s_waitcnt lgkmcnt(2)
	v_fmac_f32_e32 v119, v131, v125
	s_set_gpr_idx_on s8, gpr_idx(SRC0)
	v_mov_b32_e32 v125, v30
	s_set_gpr_idx_off
	v_fmac_f32_e32 v119, v132, v126
	s_add_u32 s8, s8, 8
	s_waitcnt lgkmcnt(1)
	v_fmac_f32_e32 v119, v133, v127
	v_add_u32_e32 v120, s8, v122
	v_fmac_f32_e32 v119, v129, v128
	s_addc_u32 s9, s9, 0
	s_add_i32 s12, s12, 32
	s_add_i32 s13, s8, -7
	v_cmp_eq_u32_e32 vcc, 22, v120
	s_waitcnt lgkmcnt(0)
	v_fmac_f32_e32 v119, v130, v123
	v_mov_b32_e32 v120, s13
	s_or_b64 s[10:11], vcc, s[10:11]
	v_fmac_f32_e32 v119, v125, v124
	s_andn2_b64 exec, exec, s[10:11]
	s_cbranch_execnz .LBB27_185
; %bb.186:
	s_or_b64 exec, exec, s[10:11]
.LBB27_187:
	s_or_b64 exec, exec, s[2:3]
	v_and_b32_e32 v58, 7, v121
	v_cmp_ne_u32_e32 vcc, 0, v58
	s_and_saveexec_b64 s[8:9], vcc
	s_cbranch_execz .LBB27_191
; %bb.188:
	v_mov_b32_e32 v59, 0x70
	v_lshl_add_u32 v59, v120, 2, v59
	v_mov_b32_e32 v60, 0
	s_mov_b64 s[10:11], 0
.LBB27_189:                             ; =>This Inner Loop Header: Depth=1
	v_cmp_eq_u32_e32 vcc, 1, v120
	v_cndmask_b32_e32 v61, v30, v31, vcc
	v_add_u32_e32 v58, -1, v58
	v_cmp_eq_u32_e32 vcc, 2, v120
	v_cndmask_b32_e32 v61, v61, v32, vcc
	v_cmp_eq_u32_e32 vcc, 0, v58
	v_cmp_eq_u32_e64 s[2:3], 3, v120
	v_cndmask_b32_e64 v61, v61, v33, s[2:3]
	s_or_b64 s[10:11], vcc, s[10:11]
	v_cmp_eq_u32_e32 vcc, 4, v120
	v_cndmask_b32_e32 v61, v61, v34, vcc
	v_cmp_eq_u32_e32 vcc, 5, v120
	v_cndmask_b32_e32 v61, v61, v35, vcc
	;; [unrolled: 2-line block ×19, first 2 shown]
	v_cmp_eq_u32_e32 vcc, 23, v120
	ds_read_b32 v121, v59
	v_cndmask_b32_e32 v61, v61, v53, vcc
	v_cmp_eq_u32_e32 vcc, 24, v120
	v_cndmask_b32_e32 v61, v61, v54, vcc
	v_cmp_eq_u32_e32 vcc, 25, v120
	;; [unrolled: 2-line block ×4, first 2 shown]
	v_add_co_u32_e64 v120, s[2:3], 1, v120
	v_cndmask_b32_e32 v61, v61, v57, vcc
	v_add_u32_e32 v59, 4, v59
	v_addc_co_u32_e64 v60, s[2:3], 0, v60, s[2:3]
	s_waitcnt lgkmcnt(0)
	v_fmac_f32_e32 v119, v61, v121
	s_andn2_b64 exec, exec, s[10:11]
	s_cbranch_execnz .LBB27_189
; %bb.190:
	s_or_b64 exec, exec, s[10:11]
.LBB27_191:
	s_or_b64 exec, exec, s[8:9]
.LBB27_192:
	s_or_b64 exec, exec, s[6:7]
	v_mov_b32_e32 v44, 0
	ds_read_b32 v44, v44 offset:56
	s_waitcnt lgkmcnt(0)
	v_mul_f32_e32 v44, v119, v44
.LBB27_193:
	s_or_b64 exec, exec, s[4:5]
	v_cmp_lt_u32_e64 s[2:3], 13, v0
	ds_write_b32 v118, v43
	s_waitcnt lgkmcnt(0)
	; wave barrier
	s_and_saveexec_b64 s[4:5], s[2:3]
	s_cbranch_execz .LBB27_209
; %bb.194:
	s_andn2_b64 vcc, exec, s[58:59]
	s_cbranch_vccnz .LBB27_196
; %bb.195:
	v_cmp_eq_u32_e32 vcc, 1, v0
	v_cndmask_b32_e32 v119, v30, v31, vcc
	v_cmp_eq_u32_e32 vcc, 2, v0
	v_cndmask_b32_e32 v119, v119, v32, vcc
	;; [unrolled: 2-line block ×23, first 2 shown]
	v_cmp_eq_u32_e32 vcc, 24, v0
	ds_read_b32 v120, v118
	v_cndmask_b32_e32 v119, v119, v54, vcc
	v_cmp_eq_u32_e32 vcc, 25, v0
	v_cndmask_b32_e32 v119, v119, v55, vcc
	v_cmp_eq_u32_e32 vcc, 26, v0
	;; [unrolled: 2-line block ×3, first 2 shown]
	v_cndmask_b32_e32 v119, v119, v57, vcc
	s_waitcnt lgkmcnt(0)
	v_mul_f32_e32 v119, v119, v120
	s_cbranch_execz .LBB27_197
	s_branch .LBB27_198
.LBB27_196:
                                        ; implicit-def: $vgpr119
.LBB27_197:
	ds_read_b32 v119, v118
.LBB27_198:
	s_and_saveexec_b64 s[6:7], s[0:1]
	s_cbranch_execz .LBB27_208
; %bb.199:
	v_add_u32_e32 v120, -15, v0
	v_add_u32_e32 v121, -14, v0
	v_cmp_lt_u32_e32 vcc, 6, v120
	v_mov_b32_e32 v120, 14
	s_and_saveexec_b64 s[0:1], vcc
	s_cbranch_execz .LBB27_203
; %bb.200:
	v_and_b32_e32 v120, -8, v121
	v_sub_u32_e32 v122, 0, v120
	s_mov_b64 s[8:9], 21
	s_movk_i32 s12, 0xa8
	s_mov_b64 s[10:11], 0
.LBB27_201:                             ; =>This Inner Loop Header: Depth=1
	s_add_i32 s13, s8, -7
	v_mov_b32_e32 v120, s12
	s_add_i32 s14, s8, -6
	s_set_gpr_idx_on s13, gpr_idx(SRC0)
	v_mov_b32_e32 v131, v30
	s_set_gpr_idx_off
	ds_read2_b64 v[123:126], v120 offset1:1
	s_add_i32 s15, s8, -5
	s_set_gpr_idx_on s14, gpr_idx(SRC0)
	v_mov_b32_e32 v132, v30
	s_set_gpr_idx_off
	s_add_i32 s16, s8, -4
	s_set_gpr_idx_on s15, gpr_idx(SRC0)
	v_mov_b32_e32 v133, v30
	s_set_gpr_idx_off
	;; [unrolled: 4-line block ×4, first 2 shown]
	ds_read2_b64 v[127:130], v120 offset0:2 offset1:3
	s_add_i32 s19, s8, -1
	s_waitcnt lgkmcnt(1)
	v_fmac_f32_e32 v119, v131, v123
	s_set_gpr_idx_on s18, gpr_idx(SRC0)
	v_mov_b32_e32 v123, v30
	s_set_gpr_idx_off
	v_fmac_f32_e32 v119, v132, v124
	s_set_gpr_idx_on s19, gpr_idx(SRC0)
	v_mov_b32_e32 v124, v30
	s_set_gpr_idx_off
	;; [unrolled: 4-line block ×3, first 2 shown]
	v_fmac_f32_e32 v119, v134, v126
	s_add_u32 s8, s8, 8
	s_waitcnt lgkmcnt(0)
	v_fmac_f32_e32 v119, v135, v127
	v_add_u32_e32 v120, s8, v122
	v_fmac_f32_e32 v119, v123, v128
	s_addc_u32 s9, s9, 0
	s_add_i32 s12, s12, 32
	s_add_i32 s13, s8, -7
	v_cmp_eq_u32_e32 vcc, 21, v120
	v_fmac_f32_e32 v119, v124, v129
	v_mov_b32_e32 v120, s13
	s_or_b64 s[10:11], vcc, s[10:11]
	v_fmac_f32_e32 v119, v125, v130
	s_andn2_b64 exec, exec, s[10:11]
	s_cbranch_execnz .LBB27_201
; %bb.202:
	s_or_b64 exec, exec, s[10:11]
.LBB27_203:
	s_or_b64 exec, exec, s[0:1]
	v_and_b32_e32 v58, 7, v121
	v_cmp_ne_u32_e32 vcc, 0, v58
	s_and_saveexec_b64 s[8:9], vcc
	s_cbranch_execz .LBB27_207
; %bb.204:
	v_mov_b32_e32 v59, 0x70
	v_lshl_add_u32 v59, v120, 2, v59
	v_mov_b32_e32 v60, 0
	s_mov_b64 s[10:11], 0
.LBB27_205:                             ; =>This Inner Loop Header: Depth=1
	v_cmp_eq_u32_e32 vcc, 1, v120
	v_cndmask_b32_e32 v61, v30, v31, vcc
	v_add_u32_e32 v58, -1, v58
	v_cmp_eq_u32_e32 vcc, 2, v120
	v_cndmask_b32_e32 v61, v61, v32, vcc
	v_cmp_eq_u32_e32 vcc, 0, v58
	v_cmp_eq_u32_e64 s[0:1], 3, v120
	v_cndmask_b32_e64 v61, v61, v33, s[0:1]
	s_or_b64 s[10:11], vcc, s[10:11]
	v_cmp_eq_u32_e32 vcc, 4, v120
	v_cndmask_b32_e32 v61, v61, v34, vcc
	v_cmp_eq_u32_e32 vcc, 5, v120
	v_cndmask_b32_e32 v61, v61, v35, vcc
	;; [unrolled: 2-line block ×19, first 2 shown]
	v_cmp_eq_u32_e32 vcc, 23, v120
	ds_read_b32 v121, v59
	v_cndmask_b32_e32 v61, v61, v53, vcc
	v_cmp_eq_u32_e32 vcc, 24, v120
	v_cndmask_b32_e32 v61, v61, v54, vcc
	v_cmp_eq_u32_e32 vcc, 25, v120
	;; [unrolled: 2-line block ×4, first 2 shown]
	v_add_co_u32_e64 v120, s[0:1], 1, v120
	v_cndmask_b32_e32 v61, v61, v57, vcc
	v_add_u32_e32 v59, 4, v59
	v_addc_co_u32_e64 v60, s[0:1], 0, v60, s[0:1]
	s_waitcnt lgkmcnt(0)
	v_fmac_f32_e32 v119, v61, v121
	s_andn2_b64 exec, exec, s[10:11]
	s_cbranch_execnz .LBB27_205
; %bb.206:
	s_or_b64 exec, exec, s[10:11]
.LBB27_207:
	s_or_b64 exec, exec, s[8:9]
.LBB27_208:
	s_or_b64 exec, exec, s[6:7]
	v_mov_b32_e32 v43, 0
	ds_read_b32 v43, v43 offset:52
	s_waitcnt lgkmcnt(0)
	v_mul_f32_e32 v43, v119, v43
.LBB27_209:
	s_or_b64 exec, exec, s[4:5]
	v_cmp_lt_u32_e64 s[0:1], 12, v0
	ds_write_b32 v118, v42
	s_waitcnt lgkmcnt(0)
	; wave barrier
	s_and_saveexec_b64 s[4:5], s[0:1]
	s_cbranch_execz .LBB27_225
; %bb.210:
	s_andn2_b64 vcc, exec, s[58:59]
	s_cbranch_vccnz .LBB27_212
; %bb.211:
	v_cmp_eq_u32_e32 vcc, 1, v0
	v_cndmask_b32_e32 v119, v30, v31, vcc
	v_cmp_eq_u32_e32 vcc, 2, v0
	v_cndmask_b32_e32 v119, v119, v32, vcc
	;; [unrolled: 2-line block ×23, first 2 shown]
	v_cmp_eq_u32_e32 vcc, 24, v0
	ds_read_b32 v120, v118
	v_cndmask_b32_e32 v119, v119, v54, vcc
	v_cmp_eq_u32_e32 vcc, 25, v0
	v_cndmask_b32_e32 v119, v119, v55, vcc
	v_cmp_eq_u32_e32 vcc, 26, v0
	;; [unrolled: 2-line block ×3, first 2 shown]
	v_cndmask_b32_e32 v119, v119, v57, vcc
	s_waitcnt lgkmcnt(0)
	v_mul_f32_e32 v119, v119, v120
	s_cbranch_execz .LBB27_213
	s_branch .LBB27_214
.LBB27_212:
                                        ; implicit-def: $vgpr119
.LBB27_213:
	ds_read_b32 v119, v118
.LBB27_214:
	s_and_saveexec_b64 s[6:7], s[2:3]
	s_cbranch_execz .LBB27_224
; %bb.215:
	v_add_u32_e32 v120, -14, v0
	v_add_u32_e32 v121, -13, v0
	v_cmp_lt_u32_e32 vcc, 6, v120
	v_mov_b32_e32 v120, 13
	s_and_saveexec_b64 s[2:3], vcc
	s_cbranch_execz .LBB27_219
; %bb.216:
	v_and_b32_e32 v120, -8, v121
	v_sub_u32_e32 v122, 0, v120
	s_mov_b64 s[8:9], 20
	s_movk_i32 s12, 0xa4
	s_mov_b64 s[10:11], 0
.LBB27_217:                             ; =>This Inner Loop Header: Depth=1
	s_add_i32 s13, s8, -7
	v_mov_b32_e32 v120, s12
	s_add_i32 s14, s8, -6
	s_set_gpr_idx_on s13, gpr_idx(SRC0)
	v_mov_b32_e32 v129, v30
	s_set_gpr_idx_off
	ds_read2_b32 v[123:124], v120 offset1:1
	s_add_i32 s15, s8, -5
	s_set_gpr_idx_on s14, gpr_idx(SRC0)
	v_mov_b32_e32 v130, v30
	s_set_gpr_idx_off
	s_add_i32 s16, s8, -4
	s_set_gpr_idx_on s15, gpr_idx(SRC0)
	v_mov_b32_e32 v131, v30
	s_set_gpr_idx_off
	ds_read2_b32 v[125:126], v120 offset0:2 offset1:3
	s_add_i32 s17, s8, -3
	s_set_gpr_idx_on s16, gpr_idx(SRC0)
	v_mov_b32_e32 v132, v30
	s_set_gpr_idx_off
	s_add_i32 s18, s8, -2
	s_set_gpr_idx_on s17, gpr_idx(SRC0)
	v_mov_b32_e32 v133, v30
	s_set_gpr_idx_off
	ds_read2_b32 v[127:128], v120 offset0:4 offset1:5
	s_add_i32 s19, s8, -1
	s_waitcnt lgkmcnt(2)
	v_fmac_f32_e32 v119, v129, v123
	s_set_gpr_idx_on s18, gpr_idx(SRC0)
	v_mov_b32_e32 v129, v30
	s_set_gpr_idx_off
	v_fmac_f32_e32 v119, v130, v124
	s_set_gpr_idx_on s19, gpr_idx(SRC0)
	v_mov_b32_e32 v130, v30
	s_set_gpr_idx_off
	ds_read2_b32 v[123:124], v120 offset0:6 offset1:7
	s_waitcnt lgkmcnt(2)
	v_fmac_f32_e32 v119, v131, v125
	s_set_gpr_idx_on s8, gpr_idx(SRC0)
	v_mov_b32_e32 v125, v30
	s_set_gpr_idx_off
	v_fmac_f32_e32 v119, v132, v126
	s_add_u32 s8, s8, 8
	s_waitcnt lgkmcnt(1)
	v_fmac_f32_e32 v119, v133, v127
	v_add_u32_e32 v120, s8, v122
	v_fmac_f32_e32 v119, v129, v128
	s_addc_u32 s9, s9, 0
	s_add_i32 s12, s12, 32
	s_add_i32 s13, s8, -7
	v_cmp_eq_u32_e32 vcc, 20, v120
	s_waitcnt lgkmcnt(0)
	v_fmac_f32_e32 v119, v130, v123
	v_mov_b32_e32 v120, s13
	s_or_b64 s[10:11], vcc, s[10:11]
	v_fmac_f32_e32 v119, v125, v124
	s_andn2_b64 exec, exec, s[10:11]
	s_cbranch_execnz .LBB27_217
; %bb.218:
	s_or_b64 exec, exec, s[10:11]
.LBB27_219:
	s_or_b64 exec, exec, s[2:3]
	v_and_b32_e32 v58, 7, v121
	v_cmp_ne_u32_e32 vcc, 0, v58
	s_and_saveexec_b64 s[8:9], vcc
	s_cbranch_execz .LBB27_223
; %bb.220:
	v_mov_b32_e32 v59, 0x70
	v_lshl_add_u32 v59, v120, 2, v59
	v_mov_b32_e32 v60, 0
	s_mov_b64 s[10:11], 0
.LBB27_221:                             ; =>This Inner Loop Header: Depth=1
	v_cmp_eq_u32_e32 vcc, 1, v120
	v_cndmask_b32_e32 v61, v30, v31, vcc
	v_add_u32_e32 v58, -1, v58
	v_cmp_eq_u32_e32 vcc, 2, v120
	v_cndmask_b32_e32 v61, v61, v32, vcc
	v_cmp_eq_u32_e32 vcc, 0, v58
	v_cmp_eq_u32_e64 s[2:3], 3, v120
	v_cndmask_b32_e64 v61, v61, v33, s[2:3]
	s_or_b64 s[10:11], vcc, s[10:11]
	v_cmp_eq_u32_e32 vcc, 4, v120
	v_cndmask_b32_e32 v61, v61, v34, vcc
	v_cmp_eq_u32_e32 vcc, 5, v120
	v_cndmask_b32_e32 v61, v61, v35, vcc
	;; [unrolled: 2-line block ×19, first 2 shown]
	v_cmp_eq_u32_e32 vcc, 23, v120
	ds_read_b32 v121, v59
	v_cndmask_b32_e32 v61, v61, v53, vcc
	v_cmp_eq_u32_e32 vcc, 24, v120
	v_cndmask_b32_e32 v61, v61, v54, vcc
	v_cmp_eq_u32_e32 vcc, 25, v120
	v_cndmask_b32_e32 v61, v61, v55, vcc
	v_cmp_eq_u32_e32 vcc, 26, v120
	v_cndmask_b32_e32 v61, v61, v56, vcc
	v_cmp_eq_u32_e32 vcc, 27, v120
	v_add_co_u32_e64 v120, s[2:3], 1, v120
	v_cndmask_b32_e32 v61, v61, v57, vcc
	v_add_u32_e32 v59, 4, v59
	v_addc_co_u32_e64 v60, s[2:3], 0, v60, s[2:3]
	s_waitcnt lgkmcnt(0)
	v_fmac_f32_e32 v119, v61, v121
	s_andn2_b64 exec, exec, s[10:11]
	s_cbranch_execnz .LBB27_221
; %bb.222:
	s_or_b64 exec, exec, s[10:11]
.LBB27_223:
	s_or_b64 exec, exec, s[8:9]
.LBB27_224:
	s_or_b64 exec, exec, s[6:7]
	v_mov_b32_e32 v42, 0
	ds_read_b32 v42, v42 offset:48
	s_waitcnt lgkmcnt(0)
	v_mul_f32_e32 v42, v119, v42
.LBB27_225:
	s_or_b64 exec, exec, s[4:5]
	v_cmp_lt_u32_e64 s[2:3], 11, v0
	ds_write_b32 v118, v41
	s_waitcnt lgkmcnt(0)
	; wave barrier
	s_and_saveexec_b64 s[4:5], s[2:3]
	s_cbranch_execz .LBB27_241
; %bb.226:
	s_andn2_b64 vcc, exec, s[58:59]
	s_cbranch_vccnz .LBB27_228
; %bb.227:
	v_cmp_eq_u32_e32 vcc, 1, v0
	v_cndmask_b32_e32 v119, v30, v31, vcc
	v_cmp_eq_u32_e32 vcc, 2, v0
	v_cndmask_b32_e32 v119, v119, v32, vcc
	;; [unrolled: 2-line block ×23, first 2 shown]
	v_cmp_eq_u32_e32 vcc, 24, v0
	ds_read_b32 v120, v118
	v_cndmask_b32_e32 v119, v119, v54, vcc
	v_cmp_eq_u32_e32 vcc, 25, v0
	v_cndmask_b32_e32 v119, v119, v55, vcc
	v_cmp_eq_u32_e32 vcc, 26, v0
	;; [unrolled: 2-line block ×3, first 2 shown]
	v_cndmask_b32_e32 v119, v119, v57, vcc
	s_waitcnt lgkmcnt(0)
	v_mul_f32_e32 v119, v119, v120
	s_cbranch_execz .LBB27_229
	s_branch .LBB27_230
.LBB27_228:
                                        ; implicit-def: $vgpr119
.LBB27_229:
	ds_read_b32 v119, v118
.LBB27_230:
	s_and_saveexec_b64 s[6:7], s[0:1]
	s_cbranch_execz .LBB27_240
; %bb.231:
	v_add_u32_e32 v120, -13, v0
	v_add_u32_e32 v121, -12, v0
	v_cmp_lt_u32_e32 vcc, 6, v120
	v_mov_b32_e32 v120, 12
	s_and_saveexec_b64 s[0:1], vcc
	s_cbranch_execz .LBB27_235
; %bb.232:
	v_and_b32_e32 v120, -8, v121
	v_sub_u32_e32 v122, 0, v120
	s_mov_b64 s[8:9], 19
	s_movk_i32 s12, 0xa0
	s_mov_b64 s[10:11], 0
.LBB27_233:                             ; =>This Inner Loop Header: Depth=1
	s_add_i32 s13, s8, -7
	v_mov_b32_e32 v120, s12
	s_add_i32 s14, s8, -6
	s_set_gpr_idx_on s13, gpr_idx(SRC0)
	v_mov_b32_e32 v131, v30
	s_set_gpr_idx_off
	s_add_i32 s15, s8, -5
	ds_read_b128 v[123:126], v120
	ds_read_b128 v[127:130], v120 offset:16
	s_set_gpr_idx_on s14, gpr_idx(SRC0)
	v_mov_b32_e32 v120, v30
	s_set_gpr_idx_off
	s_add_i32 s16, s8, -4
	s_set_gpr_idx_on s15, gpr_idx(SRC0)
	v_mov_b32_e32 v132, v30
	s_set_gpr_idx_off
	s_add_i32 s17, s8, -3
	;; [unrolled: 4-line block ×4, first 2 shown]
	s_waitcnt lgkmcnt(1)
	v_fmac_f32_e32 v119, v131, v123
	s_set_gpr_idx_on s18, gpr_idx(SRC0)
	v_mov_b32_e32 v123, v30
	s_set_gpr_idx_off
	v_fmac_f32_e32 v119, v120, v124
	s_set_gpr_idx_on s19, gpr_idx(SRC0)
	v_mov_b32_e32 v124, v30
	s_set_gpr_idx_off
	;; [unrolled: 4-line block ×3, first 2 shown]
	v_fmac_f32_e32 v119, v133, v126
	s_add_u32 s8, s8, 8
	s_waitcnt lgkmcnt(0)
	v_fmac_f32_e32 v119, v134, v127
	v_add_u32_e32 v120, s8, v122
	v_fmac_f32_e32 v119, v123, v128
	s_addc_u32 s9, s9, 0
	s_add_i32 s12, s12, 32
	s_add_i32 s13, s8, -7
	v_cmp_eq_u32_e32 vcc, 19, v120
	v_fmac_f32_e32 v119, v124, v129
	v_mov_b32_e32 v120, s13
	s_or_b64 s[10:11], vcc, s[10:11]
	v_fmac_f32_e32 v119, v125, v130
	s_andn2_b64 exec, exec, s[10:11]
	s_cbranch_execnz .LBB27_233
; %bb.234:
	s_or_b64 exec, exec, s[10:11]
.LBB27_235:
	s_or_b64 exec, exec, s[0:1]
	v_and_b32_e32 v58, 7, v121
	v_cmp_ne_u32_e32 vcc, 0, v58
	s_and_saveexec_b64 s[8:9], vcc
	s_cbranch_execz .LBB27_239
; %bb.236:
	v_mov_b32_e32 v59, 0x70
	v_lshl_add_u32 v59, v120, 2, v59
	v_mov_b32_e32 v60, 0
	s_mov_b64 s[10:11], 0
.LBB27_237:                             ; =>This Inner Loop Header: Depth=1
	v_cmp_eq_u32_e32 vcc, 1, v120
	v_cndmask_b32_e32 v61, v30, v31, vcc
	v_add_u32_e32 v58, -1, v58
	v_cmp_eq_u32_e32 vcc, 2, v120
	v_cndmask_b32_e32 v61, v61, v32, vcc
	v_cmp_eq_u32_e32 vcc, 0, v58
	v_cmp_eq_u32_e64 s[0:1], 3, v120
	v_cndmask_b32_e64 v61, v61, v33, s[0:1]
	s_or_b64 s[10:11], vcc, s[10:11]
	v_cmp_eq_u32_e32 vcc, 4, v120
	v_cndmask_b32_e32 v61, v61, v34, vcc
	v_cmp_eq_u32_e32 vcc, 5, v120
	v_cndmask_b32_e32 v61, v61, v35, vcc
	;; [unrolled: 2-line block ×19, first 2 shown]
	v_cmp_eq_u32_e32 vcc, 23, v120
	ds_read_b32 v121, v59
	v_cndmask_b32_e32 v61, v61, v53, vcc
	v_cmp_eq_u32_e32 vcc, 24, v120
	v_cndmask_b32_e32 v61, v61, v54, vcc
	v_cmp_eq_u32_e32 vcc, 25, v120
	;; [unrolled: 2-line block ×4, first 2 shown]
	v_add_co_u32_e64 v120, s[0:1], 1, v120
	v_cndmask_b32_e32 v61, v61, v57, vcc
	v_add_u32_e32 v59, 4, v59
	v_addc_co_u32_e64 v60, s[0:1], 0, v60, s[0:1]
	s_waitcnt lgkmcnt(0)
	v_fmac_f32_e32 v119, v61, v121
	s_andn2_b64 exec, exec, s[10:11]
	s_cbranch_execnz .LBB27_237
; %bb.238:
	s_or_b64 exec, exec, s[10:11]
.LBB27_239:
	s_or_b64 exec, exec, s[8:9]
.LBB27_240:
	s_or_b64 exec, exec, s[6:7]
	v_mov_b32_e32 v41, 0
	ds_read_b32 v41, v41 offset:44
	s_waitcnt lgkmcnt(0)
	v_mul_f32_e32 v41, v119, v41
.LBB27_241:
	s_or_b64 exec, exec, s[4:5]
	v_cmp_lt_u32_e64 s[0:1], 10, v0
	ds_write_b32 v118, v40
	s_waitcnt lgkmcnt(0)
	; wave barrier
	s_and_saveexec_b64 s[4:5], s[0:1]
	s_cbranch_execz .LBB27_257
; %bb.242:
	s_andn2_b64 vcc, exec, s[58:59]
	s_cbranch_vccnz .LBB27_244
; %bb.243:
	v_cmp_eq_u32_e32 vcc, 1, v0
	v_cndmask_b32_e32 v119, v30, v31, vcc
	v_cmp_eq_u32_e32 vcc, 2, v0
	v_cndmask_b32_e32 v119, v119, v32, vcc
	v_cmp_eq_u32_e32 vcc, 3, v0
	v_cndmask_b32_e32 v119, v119, v33, vcc
	v_cmp_eq_u32_e32 vcc, 4, v0
	v_cndmask_b32_e32 v119, v119, v34, vcc
	v_cmp_eq_u32_e32 vcc, 5, v0
	v_cndmask_b32_e32 v119, v119, v35, vcc
	v_cmp_eq_u32_e32 vcc, 6, v0
	v_cndmask_b32_e32 v119, v119, v36, vcc
	v_cmp_eq_u32_e32 vcc, 7, v0
	v_cndmask_b32_e32 v119, v119, v37, vcc
	v_cmp_eq_u32_e32 vcc, 8, v0
	v_cndmask_b32_e32 v119, v119, v38, vcc
	v_cmp_eq_u32_e32 vcc, 9, v0
	v_cndmask_b32_e32 v119, v119, v39, vcc
	v_cmp_eq_u32_e32 vcc, 10, v0
	v_cndmask_b32_e32 v119, v119, v40, vcc
	v_cmp_eq_u32_e32 vcc, 11, v0
	v_cndmask_b32_e32 v119, v119, v41, vcc
	v_cmp_eq_u32_e32 vcc, 12, v0
	v_cndmask_b32_e32 v119, v119, v42, vcc
	v_cmp_eq_u32_e32 vcc, 13, v0
	v_cndmask_b32_e32 v119, v119, v43, vcc
	v_cmp_eq_u32_e32 vcc, 14, v0
	v_cndmask_b32_e32 v119, v119, v44, vcc
	v_cmp_eq_u32_e32 vcc, 15, v0
	v_cndmask_b32_e32 v119, v119, v45, vcc
	v_cmp_eq_u32_e32 vcc, 16, v0
	v_cndmask_b32_e32 v119, v119, v46, vcc
	v_cmp_eq_u32_e32 vcc, 17, v0
	v_cndmask_b32_e32 v119, v119, v47, vcc
	v_cmp_eq_u32_e32 vcc, 18, v0
	v_cndmask_b32_e32 v119, v119, v48, vcc
	v_cmp_eq_u32_e32 vcc, 19, v0
	v_cndmask_b32_e32 v119, v119, v49, vcc
	v_cmp_eq_u32_e32 vcc, 20, v0
	v_cndmask_b32_e32 v119, v119, v50, vcc
	v_cmp_eq_u32_e32 vcc, 21, v0
	v_cndmask_b32_e32 v119, v119, v51, vcc
	v_cmp_eq_u32_e32 vcc, 22, v0
	v_cndmask_b32_e32 v119, v119, v52, vcc
	v_cmp_eq_u32_e32 vcc, 23, v0
	v_cndmask_b32_e32 v119, v119, v53, vcc
	v_cmp_eq_u32_e32 vcc, 24, v0
	ds_read_b32 v120, v118
	v_cndmask_b32_e32 v119, v119, v54, vcc
	v_cmp_eq_u32_e32 vcc, 25, v0
	v_cndmask_b32_e32 v119, v119, v55, vcc
	v_cmp_eq_u32_e32 vcc, 26, v0
	;; [unrolled: 2-line block ×3, first 2 shown]
	v_cndmask_b32_e32 v119, v119, v57, vcc
	s_waitcnt lgkmcnt(0)
	v_mul_f32_e32 v119, v119, v120
	s_cbranch_execz .LBB27_245
	s_branch .LBB27_246
.LBB27_244:
                                        ; implicit-def: $vgpr119
.LBB27_245:
	ds_read_b32 v119, v118
.LBB27_246:
	s_and_saveexec_b64 s[6:7], s[2:3]
	s_cbranch_execz .LBB27_256
; %bb.247:
	v_add_u32_e32 v120, -12, v0
	v_add_u32_e32 v121, -11, v0
	v_cmp_lt_u32_e32 vcc, 6, v120
	v_mov_b32_e32 v120, 11
	s_and_saveexec_b64 s[2:3], vcc
	s_cbranch_execz .LBB27_251
; %bb.248:
	v_and_b32_e32 v120, -8, v121
	v_sub_u32_e32 v122, 0, v120
	s_mov_b64 s[8:9], 18
	s_movk_i32 s12, 0x9c
	s_mov_b64 s[10:11], 0
.LBB27_249:                             ; =>This Inner Loop Header: Depth=1
	s_add_i32 s13, s8, -7
	v_mov_b32_e32 v120, s12
	s_add_i32 s14, s8, -6
	s_set_gpr_idx_on s13, gpr_idx(SRC0)
	v_mov_b32_e32 v129, v30
	s_set_gpr_idx_off
	ds_read2_b32 v[123:124], v120 offset1:1
	s_add_i32 s15, s8, -5
	s_set_gpr_idx_on s14, gpr_idx(SRC0)
	v_mov_b32_e32 v130, v30
	s_set_gpr_idx_off
	s_add_i32 s16, s8, -4
	s_set_gpr_idx_on s15, gpr_idx(SRC0)
	v_mov_b32_e32 v131, v30
	s_set_gpr_idx_off
	ds_read2_b32 v[125:126], v120 offset0:2 offset1:3
	s_add_i32 s17, s8, -3
	s_set_gpr_idx_on s16, gpr_idx(SRC0)
	v_mov_b32_e32 v132, v30
	s_set_gpr_idx_off
	s_add_i32 s18, s8, -2
	s_set_gpr_idx_on s17, gpr_idx(SRC0)
	v_mov_b32_e32 v133, v30
	s_set_gpr_idx_off
	ds_read2_b32 v[127:128], v120 offset0:4 offset1:5
	s_add_i32 s19, s8, -1
	s_waitcnt lgkmcnt(2)
	v_fmac_f32_e32 v119, v129, v123
	s_set_gpr_idx_on s18, gpr_idx(SRC0)
	v_mov_b32_e32 v129, v30
	s_set_gpr_idx_off
	v_fmac_f32_e32 v119, v130, v124
	s_set_gpr_idx_on s19, gpr_idx(SRC0)
	v_mov_b32_e32 v130, v30
	s_set_gpr_idx_off
	ds_read2_b32 v[123:124], v120 offset0:6 offset1:7
	s_waitcnt lgkmcnt(2)
	v_fmac_f32_e32 v119, v131, v125
	s_set_gpr_idx_on s8, gpr_idx(SRC0)
	v_mov_b32_e32 v125, v30
	s_set_gpr_idx_off
	v_fmac_f32_e32 v119, v132, v126
	s_add_u32 s8, s8, 8
	s_waitcnt lgkmcnt(1)
	v_fmac_f32_e32 v119, v133, v127
	v_add_u32_e32 v120, s8, v122
	v_fmac_f32_e32 v119, v129, v128
	s_addc_u32 s9, s9, 0
	s_add_i32 s12, s12, 32
	s_add_i32 s13, s8, -7
	v_cmp_eq_u32_e32 vcc, 18, v120
	s_waitcnt lgkmcnt(0)
	v_fmac_f32_e32 v119, v130, v123
	v_mov_b32_e32 v120, s13
	s_or_b64 s[10:11], vcc, s[10:11]
	v_fmac_f32_e32 v119, v125, v124
	s_andn2_b64 exec, exec, s[10:11]
	s_cbranch_execnz .LBB27_249
; %bb.250:
	s_or_b64 exec, exec, s[10:11]
.LBB27_251:
	s_or_b64 exec, exec, s[2:3]
	v_and_b32_e32 v58, 7, v121
	v_cmp_ne_u32_e32 vcc, 0, v58
	s_and_saveexec_b64 s[8:9], vcc
	s_cbranch_execz .LBB27_255
; %bb.252:
	v_mov_b32_e32 v59, 0x70
	v_lshl_add_u32 v59, v120, 2, v59
	v_mov_b32_e32 v60, 0
	s_mov_b64 s[10:11], 0
.LBB27_253:                             ; =>This Inner Loop Header: Depth=1
	v_cmp_eq_u32_e32 vcc, 1, v120
	v_cndmask_b32_e32 v61, v30, v31, vcc
	v_add_u32_e32 v58, -1, v58
	v_cmp_eq_u32_e32 vcc, 2, v120
	v_cndmask_b32_e32 v61, v61, v32, vcc
	v_cmp_eq_u32_e32 vcc, 0, v58
	v_cmp_eq_u32_e64 s[2:3], 3, v120
	v_cndmask_b32_e64 v61, v61, v33, s[2:3]
	s_or_b64 s[10:11], vcc, s[10:11]
	v_cmp_eq_u32_e32 vcc, 4, v120
	v_cndmask_b32_e32 v61, v61, v34, vcc
	v_cmp_eq_u32_e32 vcc, 5, v120
	v_cndmask_b32_e32 v61, v61, v35, vcc
	;; [unrolled: 2-line block ×19, first 2 shown]
	v_cmp_eq_u32_e32 vcc, 23, v120
	ds_read_b32 v121, v59
	v_cndmask_b32_e32 v61, v61, v53, vcc
	v_cmp_eq_u32_e32 vcc, 24, v120
	v_cndmask_b32_e32 v61, v61, v54, vcc
	v_cmp_eq_u32_e32 vcc, 25, v120
	v_cndmask_b32_e32 v61, v61, v55, vcc
	v_cmp_eq_u32_e32 vcc, 26, v120
	v_cndmask_b32_e32 v61, v61, v56, vcc
	v_cmp_eq_u32_e32 vcc, 27, v120
	v_add_co_u32_e64 v120, s[2:3], 1, v120
	v_cndmask_b32_e32 v61, v61, v57, vcc
	v_add_u32_e32 v59, 4, v59
	v_addc_co_u32_e64 v60, s[2:3], 0, v60, s[2:3]
	s_waitcnt lgkmcnt(0)
	v_fmac_f32_e32 v119, v61, v121
	s_andn2_b64 exec, exec, s[10:11]
	s_cbranch_execnz .LBB27_253
; %bb.254:
	s_or_b64 exec, exec, s[10:11]
.LBB27_255:
	s_or_b64 exec, exec, s[8:9]
.LBB27_256:
	s_or_b64 exec, exec, s[6:7]
	v_mov_b32_e32 v40, 0
	ds_read_b32 v40, v40 offset:40
	s_waitcnt lgkmcnt(0)
	v_mul_f32_e32 v40, v119, v40
.LBB27_257:
	s_or_b64 exec, exec, s[4:5]
	v_cmp_lt_u32_e64 s[2:3], 9, v0
	ds_write_b32 v118, v39
	s_waitcnt lgkmcnt(0)
	; wave barrier
	s_and_saveexec_b64 s[4:5], s[2:3]
	s_cbranch_execz .LBB27_273
; %bb.258:
	s_andn2_b64 vcc, exec, s[58:59]
	s_cbranch_vccnz .LBB27_260
; %bb.259:
	v_cmp_eq_u32_e32 vcc, 1, v0
	v_cndmask_b32_e32 v119, v30, v31, vcc
	v_cmp_eq_u32_e32 vcc, 2, v0
	v_cndmask_b32_e32 v119, v119, v32, vcc
	;; [unrolled: 2-line block ×23, first 2 shown]
	v_cmp_eq_u32_e32 vcc, 24, v0
	ds_read_b32 v120, v118
	v_cndmask_b32_e32 v119, v119, v54, vcc
	v_cmp_eq_u32_e32 vcc, 25, v0
	v_cndmask_b32_e32 v119, v119, v55, vcc
	v_cmp_eq_u32_e32 vcc, 26, v0
	;; [unrolled: 2-line block ×3, first 2 shown]
	v_cndmask_b32_e32 v119, v119, v57, vcc
	s_waitcnt lgkmcnt(0)
	v_mul_f32_e32 v119, v119, v120
	s_cbranch_execz .LBB27_261
	s_branch .LBB27_262
.LBB27_260:
                                        ; implicit-def: $vgpr119
.LBB27_261:
	ds_read_b32 v119, v118
.LBB27_262:
	s_and_saveexec_b64 s[6:7], s[0:1]
	s_cbranch_execz .LBB27_272
; %bb.263:
	v_add_u32_e32 v120, -11, v0
	v_add_u32_e32 v121, -10, v0
	v_cmp_lt_u32_e32 vcc, 6, v120
	v_mov_b32_e32 v120, 10
	s_and_saveexec_b64 s[0:1], vcc
	s_cbranch_execz .LBB27_267
; %bb.264:
	v_and_b32_e32 v120, -8, v121
	v_sub_u32_e32 v122, 0, v120
	s_mov_b64 s[8:9], 17
	s_movk_i32 s12, 0x98
	s_mov_b64 s[10:11], 0
.LBB27_265:                             ; =>This Inner Loop Header: Depth=1
	s_add_i32 s13, s8, -7
	v_mov_b32_e32 v120, s12
	s_add_i32 s14, s8, -6
	s_set_gpr_idx_on s13, gpr_idx(SRC0)
	v_mov_b32_e32 v131, v30
	s_set_gpr_idx_off
	ds_read2_b64 v[123:126], v120 offset1:1
	s_add_i32 s15, s8, -5
	s_set_gpr_idx_on s14, gpr_idx(SRC0)
	v_mov_b32_e32 v132, v30
	s_set_gpr_idx_off
	s_add_i32 s16, s8, -4
	s_set_gpr_idx_on s15, gpr_idx(SRC0)
	v_mov_b32_e32 v133, v30
	s_set_gpr_idx_off
	;; [unrolled: 4-line block ×4, first 2 shown]
	ds_read2_b64 v[127:130], v120 offset0:2 offset1:3
	s_add_i32 s19, s8, -1
	s_waitcnt lgkmcnt(1)
	v_fmac_f32_e32 v119, v131, v123
	s_set_gpr_idx_on s18, gpr_idx(SRC0)
	v_mov_b32_e32 v123, v30
	s_set_gpr_idx_off
	v_fmac_f32_e32 v119, v132, v124
	s_set_gpr_idx_on s19, gpr_idx(SRC0)
	v_mov_b32_e32 v124, v30
	s_set_gpr_idx_off
	;; [unrolled: 4-line block ×3, first 2 shown]
	v_fmac_f32_e32 v119, v134, v126
	s_add_u32 s8, s8, 8
	s_waitcnt lgkmcnt(0)
	v_fmac_f32_e32 v119, v135, v127
	v_add_u32_e32 v120, s8, v122
	v_fmac_f32_e32 v119, v123, v128
	s_addc_u32 s9, s9, 0
	s_add_i32 s12, s12, 32
	s_add_i32 s13, s8, -7
	v_cmp_eq_u32_e32 vcc, 17, v120
	v_fmac_f32_e32 v119, v124, v129
	v_mov_b32_e32 v120, s13
	s_or_b64 s[10:11], vcc, s[10:11]
	v_fmac_f32_e32 v119, v125, v130
	s_andn2_b64 exec, exec, s[10:11]
	s_cbranch_execnz .LBB27_265
; %bb.266:
	s_or_b64 exec, exec, s[10:11]
.LBB27_267:
	s_or_b64 exec, exec, s[0:1]
	v_and_b32_e32 v58, 7, v121
	v_cmp_ne_u32_e32 vcc, 0, v58
	s_and_saveexec_b64 s[8:9], vcc
	s_cbranch_execz .LBB27_271
; %bb.268:
	v_mov_b32_e32 v59, 0x70
	v_lshl_add_u32 v59, v120, 2, v59
	v_mov_b32_e32 v60, 0
	s_mov_b64 s[10:11], 0
.LBB27_269:                             ; =>This Inner Loop Header: Depth=1
	v_cmp_eq_u32_e32 vcc, 1, v120
	v_cndmask_b32_e32 v61, v30, v31, vcc
	v_add_u32_e32 v58, -1, v58
	v_cmp_eq_u32_e32 vcc, 2, v120
	v_cndmask_b32_e32 v61, v61, v32, vcc
	v_cmp_eq_u32_e32 vcc, 0, v58
	v_cmp_eq_u32_e64 s[0:1], 3, v120
	v_cndmask_b32_e64 v61, v61, v33, s[0:1]
	s_or_b64 s[10:11], vcc, s[10:11]
	v_cmp_eq_u32_e32 vcc, 4, v120
	v_cndmask_b32_e32 v61, v61, v34, vcc
	v_cmp_eq_u32_e32 vcc, 5, v120
	v_cndmask_b32_e32 v61, v61, v35, vcc
	;; [unrolled: 2-line block ×19, first 2 shown]
	v_cmp_eq_u32_e32 vcc, 23, v120
	ds_read_b32 v121, v59
	v_cndmask_b32_e32 v61, v61, v53, vcc
	v_cmp_eq_u32_e32 vcc, 24, v120
	v_cndmask_b32_e32 v61, v61, v54, vcc
	v_cmp_eq_u32_e32 vcc, 25, v120
	;; [unrolled: 2-line block ×4, first 2 shown]
	v_add_co_u32_e64 v120, s[0:1], 1, v120
	v_cndmask_b32_e32 v61, v61, v57, vcc
	v_add_u32_e32 v59, 4, v59
	v_addc_co_u32_e64 v60, s[0:1], 0, v60, s[0:1]
	s_waitcnt lgkmcnt(0)
	v_fmac_f32_e32 v119, v61, v121
	s_andn2_b64 exec, exec, s[10:11]
	s_cbranch_execnz .LBB27_269
; %bb.270:
	s_or_b64 exec, exec, s[10:11]
.LBB27_271:
	s_or_b64 exec, exec, s[8:9]
.LBB27_272:
	s_or_b64 exec, exec, s[6:7]
	v_mov_b32_e32 v39, 0
	ds_read_b32 v39, v39 offset:36
	s_waitcnt lgkmcnt(0)
	v_mul_f32_e32 v39, v119, v39
.LBB27_273:
	s_or_b64 exec, exec, s[4:5]
	v_cmp_lt_u32_e64 s[0:1], 8, v0
	ds_write_b32 v118, v38
	s_waitcnt lgkmcnt(0)
	; wave barrier
	s_and_saveexec_b64 s[4:5], s[0:1]
	s_cbranch_execz .LBB27_289
; %bb.274:
	s_andn2_b64 vcc, exec, s[58:59]
	s_cbranch_vccnz .LBB27_276
; %bb.275:
	v_cmp_eq_u32_e32 vcc, 1, v0
	v_cndmask_b32_e32 v119, v30, v31, vcc
	v_cmp_eq_u32_e32 vcc, 2, v0
	v_cndmask_b32_e32 v119, v119, v32, vcc
	;; [unrolled: 2-line block ×23, first 2 shown]
	v_cmp_eq_u32_e32 vcc, 24, v0
	ds_read_b32 v120, v118
	v_cndmask_b32_e32 v119, v119, v54, vcc
	v_cmp_eq_u32_e32 vcc, 25, v0
	v_cndmask_b32_e32 v119, v119, v55, vcc
	v_cmp_eq_u32_e32 vcc, 26, v0
	;; [unrolled: 2-line block ×3, first 2 shown]
	v_cndmask_b32_e32 v119, v119, v57, vcc
	s_waitcnt lgkmcnt(0)
	v_mul_f32_e32 v119, v119, v120
	s_cbranch_execz .LBB27_277
	s_branch .LBB27_278
.LBB27_276:
                                        ; implicit-def: $vgpr119
.LBB27_277:
	ds_read_b32 v119, v118
.LBB27_278:
	s_and_saveexec_b64 s[6:7], s[2:3]
	s_cbranch_execz .LBB27_288
; %bb.279:
	v_add_u32_e32 v120, -10, v0
	v_add_u32_e32 v121, -9, v0
	v_cmp_lt_u32_e32 vcc, 6, v120
	v_mov_b32_e32 v120, 9
	s_and_saveexec_b64 s[2:3], vcc
	s_cbranch_execz .LBB27_283
; %bb.280:
	v_and_b32_e32 v120, -8, v121
	v_sub_u32_e32 v122, 0, v120
	s_mov_b64 s[8:9], 16
	s_movk_i32 s12, 0x94
	s_mov_b64 s[10:11], 0
.LBB27_281:                             ; =>This Inner Loop Header: Depth=1
	s_add_i32 s13, s8, -7
	v_mov_b32_e32 v120, s12
	s_add_i32 s14, s8, -6
	s_set_gpr_idx_on s13, gpr_idx(SRC0)
	v_mov_b32_e32 v129, v30
	s_set_gpr_idx_off
	ds_read2_b32 v[123:124], v120 offset1:1
	s_add_i32 s15, s8, -5
	s_set_gpr_idx_on s14, gpr_idx(SRC0)
	v_mov_b32_e32 v130, v30
	s_set_gpr_idx_off
	s_add_i32 s16, s8, -4
	s_set_gpr_idx_on s15, gpr_idx(SRC0)
	v_mov_b32_e32 v131, v30
	s_set_gpr_idx_off
	ds_read2_b32 v[125:126], v120 offset0:2 offset1:3
	s_add_i32 s17, s8, -3
	s_set_gpr_idx_on s16, gpr_idx(SRC0)
	v_mov_b32_e32 v132, v30
	s_set_gpr_idx_off
	s_add_i32 s18, s8, -2
	s_set_gpr_idx_on s17, gpr_idx(SRC0)
	v_mov_b32_e32 v133, v30
	s_set_gpr_idx_off
	ds_read2_b32 v[127:128], v120 offset0:4 offset1:5
	s_add_i32 s19, s8, -1
	s_waitcnt lgkmcnt(2)
	v_fmac_f32_e32 v119, v129, v123
	s_set_gpr_idx_on s18, gpr_idx(SRC0)
	v_mov_b32_e32 v129, v30
	s_set_gpr_idx_off
	v_fmac_f32_e32 v119, v130, v124
	s_set_gpr_idx_on s19, gpr_idx(SRC0)
	v_mov_b32_e32 v130, v30
	s_set_gpr_idx_off
	ds_read2_b32 v[123:124], v120 offset0:6 offset1:7
	s_waitcnt lgkmcnt(2)
	v_fmac_f32_e32 v119, v131, v125
	s_set_gpr_idx_on s8, gpr_idx(SRC0)
	v_mov_b32_e32 v125, v30
	s_set_gpr_idx_off
	v_fmac_f32_e32 v119, v132, v126
	s_add_u32 s8, s8, 8
	s_waitcnt lgkmcnt(1)
	v_fmac_f32_e32 v119, v133, v127
	v_add_u32_e32 v120, s8, v122
	v_fmac_f32_e32 v119, v129, v128
	s_addc_u32 s9, s9, 0
	s_add_i32 s12, s12, 32
	s_add_i32 s13, s8, -7
	v_cmp_eq_u32_e32 vcc, 16, v120
	s_waitcnt lgkmcnt(0)
	v_fmac_f32_e32 v119, v130, v123
	v_mov_b32_e32 v120, s13
	s_or_b64 s[10:11], vcc, s[10:11]
	v_fmac_f32_e32 v119, v125, v124
	s_andn2_b64 exec, exec, s[10:11]
	s_cbranch_execnz .LBB27_281
; %bb.282:
	s_or_b64 exec, exec, s[10:11]
.LBB27_283:
	s_or_b64 exec, exec, s[2:3]
	v_and_b32_e32 v58, 7, v121
	v_cmp_ne_u32_e32 vcc, 0, v58
	s_and_saveexec_b64 s[8:9], vcc
	s_cbranch_execz .LBB27_287
; %bb.284:
	v_mov_b32_e32 v59, 0x70
	v_lshl_add_u32 v59, v120, 2, v59
	v_mov_b32_e32 v60, 0
	s_mov_b64 s[10:11], 0
.LBB27_285:                             ; =>This Inner Loop Header: Depth=1
	v_cmp_eq_u32_e32 vcc, 1, v120
	v_cndmask_b32_e32 v61, v30, v31, vcc
	v_add_u32_e32 v58, -1, v58
	v_cmp_eq_u32_e32 vcc, 2, v120
	v_cndmask_b32_e32 v61, v61, v32, vcc
	v_cmp_eq_u32_e32 vcc, 0, v58
	v_cmp_eq_u32_e64 s[2:3], 3, v120
	v_cndmask_b32_e64 v61, v61, v33, s[2:3]
	s_or_b64 s[10:11], vcc, s[10:11]
	v_cmp_eq_u32_e32 vcc, 4, v120
	v_cndmask_b32_e32 v61, v61, v34, vcc
	v_cmp_eq_u32_e32 vcc, 5, v120
	v_cndmask_b32_e32 v61, v61, v35, vcc
	v_cmp_eq_u32_e32 vcc, 6, v120
	v_cndmask_b32_e32 v61, v61, v36, vcc
	v_cmp_eq_u32_e32 vcc, 7, v120
	v_cndmask_b32_e32 v61, v61, v37, vcc
	v_cmp_eq_u32_e32 vcc, 8, v120
	v_cndmask_b32_e32 v61, v61, v38, vcc
	v_cmp_eq_u32_e32 vcc, 9, v120
	v_cndmask_b32_e32 v61, v61, v39, vcc
	v_cmp_eq_u32_e32 vcc, 10, v120
	v_cndmask_b32_e32 v61, v61, v40, vcc
	v_cmp_eq_u32_e32 vcc, 11, v120
	v_cndmask_b32_e32 v61, v61, v41, vcc
	v_cmp_eq_u32_e32 vcc, 12, v120
	v_cndmask_b32_e32 v61, v61, v42, vcc
	v_cmp_eq_u32_e32 vcc, 13, v120
	v_cndmask_b32_e32 v61, v61, v43, vcc
	v_cmp_eq_u32_e32 vcc, 14, v120
	v_cndmask_b32_e32 v61, v61, v44, vcc
	v_cmp_eq_u32_e32 vcc, 15, v120
	v_cndmask_b32_e32 v61, v61, v45, vcc
	v_cmp_eq_u32_e32 vcc, 16, v120
	v_cndmask_b32_e32 v61, v61, v46, vcc
	v_cmp_eq_u32_e32 vcc, 17, v120
	v_cndmask_b32_e32 v61, v61, v47, vcc
	v_cmp_eq_u32_e32 vcc, 18, v120
	v_cndmask_b32_e32 v61, v61, v48, vcc
	v_cmp_eq_u32_e32 vcc, 19, v120
	v_cndmask_b32_e32 v61, v61, v49, vcc
	v_cmp_eq_u32_e32 vcc, 20, v120
	v_cndmask_b32_e32 v61, v61, v50, vcc
	v_cmp_eq_u32_e32 vcc, 21, v120
	v_cndmask_b32_e32 v61, v61, v51, vcc
	v_cmp_eq_u32_e32 vcc, 22, v120
	v_cndmask_b32_e32 v61, v61, v52, vcc
	v_cmp_eq_u32_e32 vcc, 23, v120
	ds_read_b32 v121, v59
	v_cndmask_b32_e32 v61, v61, v53, vcc
	v_cmp_eq_u32_e32 vcc, 24, v120
	v_cndmask_b32_e32 v61, v61, v54, vcc
	v_cmp_eq_u32_e32 vcc, 25, v120
	v_cndmask_b32_e32 v61, v61, v55, vcc
	v_cmp_eq_u32_e32 vcc, 26, v120
	v_cndmask_b32_e32 v61, v61, v56, vcc
	v_cmp_eq_u32_e32 vcc, 27, v120
	v_add_co_u32_e64 v120, s[2:3], 1, v120
	v_cndmask_b32_e32 v61, v61, v57, vcc
	v_add_u32_e32 v59, 4, v59
	v_addc_co_u32_e64 v60, s[2:3], 0, v60, s[2:3]
	s_waitcnt lgkmcnt(0)
	v_fmac_f32_e32 v119, v61, v121
	s_andn2_b64 exec, exec, s[10:11]
	s_cbranch_execnz .LBB27_285
; %bb.286:
	s_or_b64 exec, exec, s[10:11]
.LBB27_287:
	s_or_b64 exec, exec, s[8:9]
.LBB27_288:
	s_or_b64 exec, exec, s[6:7]
	v_mov_b32_e32 v38, 0
	ds_read_b32 v38, v38 offset:32
	s_waitcnt lgkmcnt(0)
	v_mul_f32_e32 v38, v119, v38
.LBB27_289:
	s_or_b64 exec, exec, s[4:5]
	v_cmp_lt_u32_e64 s[2:3], 7, v0
	ds_write_b32 v118, v37
	s_waitcnt lgkmcnt(0)
	; wave barrier
	s_and_saveexec_b64 s[4:5], s[2:3]
	s_cbranch_execz .LBB27_305
; %bb.290:
	s_andn2_b64 vcc, exec, s[58:59]
	s_cbranch_vccnz .LBB27_292
; %bb.291:
	v_cmp_eq_u32_e32 vcc, 1, v0
	v_cndmask_b32_e32 v119, v30, v31, vcc
	v_cmp_eq_u32_e32 vcc, 2, v0
	v_cndmask_b32_e32 v119, v119, v32, vcc
	;; [unrolled: 2-line block ×23, first 2 shown]
	v_cmp_eq_u32_e32 vcc, 24, v0
	ds_read_b32 v120, v118
	v_cndmask_b32_e32 v119, v119, v54, vcc
	v_cmp_eq_u32_e32 vcc, 25, v0
	v_cndmask_b32_e32 v119, v119, v55, vcc
	v_cmp_eq_u32_e32 vcc, 26, v0
	;; [unrolled: 2-line block ×3, first 2 shown]
	v_cndmask_b32_e32 v119, v119, v57, vcc
	s_waitcnt lgkmcnt(0)
	v_mul_f32_e32 v119, v119, v120
	s_cbranch_execz .LBB27_293
	s_branch .LBB27_294
.LBB27_292:
                                        ; implicit-def: $vgpr119
.LBB27_293:
	ds_read_b32 v119, v118
.LBB27_294:
	s_and_saveexec_b64 s[6:7], s[0:1]
	s_cbranch_execz .LBB27_304
; %bb.295:
	v_add_u32_e32 v120, -9, v0
	v_cmp_lt_u32_e32 vcc, 6, v120
	v_mov_b32_e32 v120, 8
	s_and_saveexec_b64 s[0:1], vcc
	s_cbranch_execz .LBB27_299
; %bb.296:
	v_and_b32_e32 v120, 24, v0
	v_sub_u32_e32 v121, 0, v120
	s_mov_b64 s[8:9], 15
	s_movk_i32 s12, 0x90
	s_mov_b64 s[10:11], 0
.LBB27_297:                             ; =>This Inner Loop Header: Depth=1
	s_add_i32 s13, s8, -7
	v_mov_b32_e32 v120, s12
	s_add_i32 s14, s8, -6
	s_set_gpr_idx_on s13, gpr_idx(SRC0)
	v_mov_b32_e32 v130, v30
	s_set_gpr_idx_off
	s_add_i32 s15, s8, -5
	ds_read_b128 v[122:125], v120
	ds_read_b128 v[126:129], v120 offset:16
	s_set_gpr_idx_on s14, gpr_idx(SRC0)
	v_mov_b32_e32 v120, v30
	s_set_gpr_idx_off
	s_add_i32 s16, s8, -4
	s_set_gpr_idx_on s15, gpr_idx(SRC0)
	v_mov_b32_e32 v131, v30
	s_set_gpr_idx_off
	s_add_i32 s17, s8, -3
	;; [unrolled: 4-line block ×4, first 2 shown]
	s_waitcnt lgkmcnt(1)
	v_fmac_f32_e32 v119, v130, v122
	s_set_gpr_idx_on s18, gpr_idx(SRC0)
	v_mov_b32_e32 v122, v30
	s_set_gpr_idx_off
	v_fmac_f32_e32 v119, v120, v123
	s_set_gpr_idx_on s19, gpr_idx(SRC0)
	v_mov_b32_e32 v123, v30
	s_set_gpr_idx_off
	;; [unrolled: 4-line block ×3, first 2 shown]
	v_fmac_f32_e32 v119, v132, v125
	s_add_u32 s8, s8, 8
	s_waitcnt lgkmcnt(0)
	v_fmac_f32_e32 v119, v133, v126
	v_add_u32_e32 v120, s8, v121
	v_fmac_f32_e32 v119, v122, v127
	s_addc_u32 s9, s9, 0
	s_add_i32 s12, s12, 32
	s_add_i32 s13, s8, -7
	v_cmp_eq_u32_e32 vcc, 7, v120
	v_fmac_f32_e32 v119, v123, v128
	v_mov_b32_e32 v120, s13
	s_or_b64 s[10:11], vcc, s[10:11]
	v_fmac_f32_e32 v119, v124, v129
	s_andn2_b64 exec, exec, s[10:11]
	s_cbranch_execnz .LBB27_297
; %bb.298:
	s_or_b64 exec, exec, s[10:11]
.LBB27_299:
	s_or_b64 exec, exec, s[0:1]
	v_and_b32_e32 v58, 7, v0
	v_cmp_ne_u32_e32 vcc, 0, v58
	s_and_saveexec_b64 s[8:9], vcc
	s_cbranch_execz .LBB27_303
; %bb.300:
	v_mov_b32_e32 v59, 0x70
	v_lshl_add_u32 v59, v120, 2, v59
	v_mov_b32_e32 v60, 0
	s_mov_b64 s[10:11], 0
.LBB27_301:                             ; =>This Inner Loop Header: Depth=1
	v_cmp_eq_u32_e32 vcc, 1, v120
	v_cndmask_b32_e32 v61, v30, v31, vcc
	v_add_u32_e32 v58, -1, v58
	v_cmp_eq_u32_e32 vcc, 2, v120
	v_cndmask_b32_e32 v61, v61, v32, vcc
	v_cmp_eq_u32_e32 vcc, 0, v58
	v_cmp_eq_u32_e64 s[0:1], 3, v120
	v_cndmask_b32_e64 v61, v61, v33, s[0:1]
	s_or_b64 s[10:11], vcc, s[10:11]
	v_cmp_eq_u32_e32 vcc, 4, v120
	v_cndmask_b32_e32 v61, v61, v34, vcc
	v_cmp_eq_u32_e32 vcc, 5, v120
	v_cndmask_b32_e32 v61, v61, v35, vcc
	;; [unrolled: 2-line block ×19, first 2 shown]
	v_cmp_eq_u32_e32 vcc, 23, v120
	ds_read_b32 v121, v59
	v_cndmask_b32_e32 v61, v61, v53, vcc
	v_cmp_eq_u32_e32 vcc, 24, v120
	v_cndmask_b32_e32 v61, v61, v54, vcc
	v_cmp_eq_u32_e32 vcc, 25, v120
	;; [unrolled: 2-line block ×4, first 2 shown]
	v_add_co_u32_e64 v120, s[0:1], 1, v120
	v_cndmask_b32_e32 v61, v61, v57, vcc
	v_add_u32_e32 v59, 4, v59
	v_addc_co_u32_e64 v60, s[0:1], 0, v60, s[0:1]
	s_waitcnt lgkmcnt(0)
	v_fmac_f32_e32 v119, v61, v121
	s_andn2_b64 exec, exec, s[10:11]
	s_cbranch_execnz .LBB27_301
; %bb.302:
	s_or_b64 exec, exec, s[10:11]
.LBB27_303:
	s_or_b64 exec, exec, s[8:9]
.LBB27_304:
	s_or_b64 exec, exec, s[6:7]
	v_mov_b32_e32 v37, 0
	ds_read_b32 v37, v37 offset:28
	s_waitcnt lgkmcnt(0)
	v_mul_f32_e32 v37, v119, v37
.LBB27_305:
	s_or_b64 exec, exec, s[4:5]
	v_cmp_lt_u32_e64 s[0:1], 6, v0
	ds_write_b32 v118, v36
	s_waitcnt lgkmcnt(0)
	; wave barrier
	s_and_saveexec_b64 s[4:5], s[0:1]
	s_cbranch_execz .LBB27_321
; %bb.306:
	s_andn2_b64 vcc, exec, s[58:59]
	s_cbranch_vccnz .LBB27_308
; %bb.307:
	v_cmp_eq_u32_e32 vcc, 1, v0
	v_cndmask_b32_e32 v119, v30, v31, vcc
	v_cmp_eq_u32_e32 vcc, 2, v0
	v_cndmask_b32_e32 v119, v119, v32, vcc
	;; [unrolled: 2-line block ×23, first 2 shown]
	v_cmp_eq_u32_e32 vcc, 24, v0
	ds_read_b32 v120, v118
	v_cndmask_b32_e32 v119, v119, v54, vcc
	v_cmp_eq_u32_e32 vcc, 25, v0
	v_cndmask_b32_e32 v119, v119, v55, vcc
	v_cmp_eq_u32_e32 vcc, 26, v0
	;; [unrolled: 2-line block ×3, first 2 shown]
	v_cndmask_b32_e32 v119, v119, v57, vcc
	s_waitcnt lgkmcnt(0)
	v_mul_f32_e32 v119, v119, v120
	s_cbranch_execz .LBB27_309
	s_branch .LBB27_310
.LBB27_308:
                                        ; implicit-def: $vgpr119
.LBB27_309:
	ds_read_b32 v119, v118
.LBB27_310:
	s_and_saveexec_b64 s[6:7], s[2:3]
	s_cbranch_execz .LBB27_320
; %bb.311:
	v_add_u32_e32 v120, -8, v0
	v_add_u32_e32 v121, -7, v0
	v_cmp_lt_u32_e32 vcc, 6, v120
	v_mov_b32_e32 v120, 7
	s_and_saveexec_b64 s[2:3], vcc
	s_cbranch_execz .LBB27_315
; %bb.312:
	v_and_b32_e32 v120, -8, v121
	v_sub_u32_e32 v122, 0, v120
	s_mov_b64 s[8:9], 14
	s_movk_i32 s12, 0x8c
	s_mov_b64 s[10:11], 0
.LBB27_313:                             ; =>This Inner Loop Header: Depth=1
	s_add_i32 s13, s8, -7
	v_mov_b32_e32 v120, s12
	s_add_i32 s14, s8, -6
	s_set_gpr_idx_on s13, gpr_idx(SRC0)
	v_mov_b32_e32 v129, v30
	s_set_gpr_idx_off
	ds_read2_b32 v[123:124], v120 offset1:1
	s_add_i32 s15, s8, -5
	s_set_gpr_idx_on s14, gpr_idx(SRC0)
	v_mov_b32_e32 v130, v30
	s_set_gpr_idx_off
	s_add_i32 s16, s8, -4
	s_set_gpr_idx_on s15, gpr_idx(SRC0)
	v_mov_b32_e32 v131, v30
	s_set_gpr_idx_off
	ds_read2_b32 v[125:126], v120 offset0:2 offset1:3
	s_add_i32 s17, s8, -3
	s_set_gpr_idx_on s16, gpr_idx(SRC0)
	v_mov_b32_e32 v132, v30
	s_set_gpr_idx_off
	s_add_i32 s18, s8, -2
	s_set_gpr_idx_on s17, gpr_idx(SRC0)
	v_mov_b32_e32 v133, v30
	s_set_gpr_idx_off
	ds_read2_b32 v[127:128], v120 offset0:4 offset1:5
	s_add_i32 s19, s8, -1
	s_waitcnt lgkmcnt(2)
	v_fmac_f32_e32 v119, v129, v123
	s_set_gpr_idx_on s18, gpr_idx(SRC0)
	v_mov_b32_e32 v129, v30
	s_set_gpr_idx_off
	v_fmac_f32_e32 v119, v130, v124
	s_set_gpr_idx_on s19, gpr_idx(SRC0)
	v_mov_b32_e32 v130, v30
	s_set_gpr_idx_off
	ds_read2_b32 v[123:124], v120 offset0:6 offset1:7
	s_waitcnt lgkmcnt(2)
	v_fmac_f32_e32 v119, v131, v125
	s_set_gpr_idx_on s8, gpr_idx(SRC0)
	v_mov_b32_e32 v125, v30
	s_set_gpr_idx_off
	v_fmac_f32_e32 v119, v132, v126
	s_add_u32 s8, s8, 8
	s_waitcnt lgkmcnt(1)
	v_fmac_f32_e32 v119, v133, v127
	v_add_u32_e32 v120, s8, v122
	v_fmac_f32_e32 v119, v129, v128
	s_addc_u32 s9, s9, 0
	s_add_i32 s12, s12, 32
	s_add_i32 s13, s8, -7
	v_cmp_eq_u32_e32 vcc, 14, v120
	s_waitcnt lgkmcnt(0)
	v_fmac_f32_e32 v119, v130, v123
	v_mov_b32_e32 v120, s13
	s_or_b64 s[10:11], vcc, s[10:11]
	v_fmac_f32_e32 v119, v125, v124
	s_andn2_b64 exec, exec, s[10:11]
	s_cbranch_execnz .LBB27_313
; %bb.314:
	s_or_b64 exec, exec, s[10:11]
.LBB27_315:
	s_or_b64 exec, exec, s[2:3]
	v_and_b32_e32 v58, 7, v121
	v_cmp_ne_u32_e32 vcc, 0, v58
	s_and_saveexec_b64 s[8:9], vcc
	s_cbranch_execz .LBB27_319
; %bb.316:
	v_mov_b32_e32 v59, 0x70
	v_lshl_add_u32 v59, v120, 2, v59
	v_mov_b32_e32 v60, 0
	s_mov_b64 s[10:11], 0
.LBB27_317:                             ; =>This Inner Loop Header: Depth=1
	v_cmp_eq_u32_e32 vcc, 1, v120
	v_cndmask_b32_e32 v61, v30, v31, vcc
	v_add_u32_e32 v58, -1, v58
	v_cmp_eq_u32_e32 vcc, 2, v120
	v_cndmask_b32_e32 v61, v61, v32, vcc
	v_cmp_eq_u32_e32 vcc, 0, v58
	v_cmp_eq_u32_e64 s[2:3], 3, v120
	v_cndmask_b32_e64 v61, v61, v33, s[2:3]
	s_or_b64 s[10:11], vcc, s[10:11]
	v_cmp_eq_u32_e32 vcc, 4, v120
	v_cndmask_b32_e32 v61, v61, v34, vcc
	v_cmp_eq_u32_e32 vcc, 5, v120
	v_cndmask_b32_e32 v61, v61, v35, vcc
	;; [unrolled: 2-line block ×19, first 2 shown]
	v_cmp_eq_u32_e32 vcc, 23, v120
	ds_read_b32 v121, v59
	v_cndmask_b32_e32 v61, v61, v53, vcc
	v_cmp_eq_u32_e32 vcc, 24, v120
	v_cndmask_b32_e32 v61, v61, v54, vcc
	v_cmp_eq_u32_e32 vcc, 25, v120
	;; [unrolled: 2-line block ×4, first 2 shown]
	v_add_co_u32_e64 v120, s[2:3], 1, v120
	v_cndmask_b32_e32 v61, v61, v57, vcc
	v_add_u32_e32 v59, 4, v59
	v_addc_co_u32_e64 v60, s[2:3], 0, v60, s[2:3]
	s_waitcnt lgkmcnt(0)
	v_fmac_f32_e32 v119, v61, v121
	s_andn2_b64 exec, exec, s[10:11]
	s_cbranch_execnz .LBB27_317
; %bb.318:
	s_or_b64 exec, exec, s[10:11]
.LBB27_319:
	s_or_b64 exec, exec, s[8:9]
.LBB27_320:
	s_or_b64 exec, exec, s[6:7]
	v_mov_b32_e32 v36, 0
	ds_read_b32 v36, v36 offset:24
	s_waitcnt lgkmcnt(0)
	v_mul_f32_e32 v36, v119, v36
.LBB27_321:
	s_or_b64 exec, exec, s[4:5]
	v_cmp_lt_u32_e64 s[2:3], 5, v0
	ds_write_b32 v118, v35
	s_waitcnt lgkmcnt(0)
	; wave barrier
	s_and_saveexec_b64 s[4:5], s[2:3]
	s_cbranch_execz .LBB27_337
; %bb.322:
	s_andn2_b64 vcc, exec, s[58:59]
	s_cbranch_vccnz .LBB27_324
; %bb.323:
	v_cmp_eq_u32_e32 vcc, 1, v0
	v_cndmask_b32_e32 v119, v30, v31, vcc
	v_cmp_eq_u32_e32 vcc, 2, v0
	v_cndmask_b32_e32 v119, v119, v32, vcc
	;; [unrolled: 2-line block ×23, first 2 shown]
	v_cmp_eq_u32_e32 vcc, 24, v0
	ds_read_b32 v120, v118
	v_cndmask_b32_e32 v119, v119, v54, vcc
	v_cmp_eq_u32_e32 vcc, 25, v0
	v_cndmask_b32_e32 v119, v119, v55, vcc
	v_cmp_eq_u32_e32 vcc, 26, v0
	;; [unrolled: 2-line block ×3, first 2 shown]
	v_cndmask_b32_e32 v119, v119, v57, vcc
	s_waitcnt lgkmcnt(0)
	v_mul_f32_e32 v119, v119, v120
	s_cbranch_execz .LBB27_325
	s_branch .LBB27_326
.LBB27_324:
                                        ; implicit-def: $vgpr119
.LBB27_325:
	ds_read_b32 v119, v118
.LBB27_326:
	s_and_saveexec_b64 s[6:7], s[0:1]
	s_cbranch_execz .LBB27_336
; %bb.327:
	v_add_u32_e32 v122, -7, v0
	v_add_u32_e32 v121, -6, v0
	v_mov_b32_e32 v120, 6
	v_cmp_lt_u32_e32 vcc, 6, v122
	s_and_saveexec_b64 s[0:1], vcc
	s_cbranch_execz .LBB27_331
; %bb.328:
	v_and_b32_e32 v120, -8, v121
	v_sub_u32_e32 v122, 0, v120
	s_mov_b64 s[8:9], 13
	s_movk_i32 s12, 0x88
	s_mov_b64 s[10:11], 0
.LBB27_329:                             ; =>This Inner Loop Header: Depth=1
	s_add_i32 s13, s8, -7
	v_mov_b32_e32 v120, s12
	s_add_i32 s14, s8, -6
	s_set_gpr_idx_on s13, gpr_idx(SRC0)
	v_mov_b32_e32 v131, v30
	s_set_gpr_idx_off
	ds_read2_b64 v[123:126], v120 offset1:1
	s_add_i32 s15, s8, -5
	s_set_gpr_idx_on s14, gpr_idx(SRC0)
	v_mov_b32_e32 v132, v30
	s_set_gpr_idx_off
	s_add_i32 s16, s8, -4
	s_set_gpr_idx_on s15, gpr_idx(SRC0)
	v_mov_b32_e32 v133, v30
	s_set_gpr_idx_off
	s_add_i32 s17, s8, -3
	s_set_gpr_idx_on s16, gpr_idx(SRC0)
	v_mov_b32_e32 v134, v30
	s_set_gpr_idx_off
	s_add_i32 s18, s8, -2
	s_set_gpr_idx_on s17, gpr_idx(SRC0)
	v_mov_b32_e32 v135, v30
	s_set_gpr_idx_off
	ds_read2_b64 v[127:130], v120 offset0:2 offset1:3
	s_add_i32 s19, s8, -1
	s_waitcnt lgkmcnt(1)
	v_fmac_f32_e32 v119, v131, v123
	s_set_gpr_idx_on s18, gpr_idx(SRC0)
	v_mov_b32_e32 v123, v30
	s_set_gpr_idx_off
	v_fmac_f32_e32 v119, v132, v124
	s_set_gpr_idx_on s19, gpr_idx(SRC0)
	v_mov_b32_e32 v124, v30
	s_set_gpr_idx_off
	;; [unrolled: 4-line block ×3, first 2 shown]
	v_fmac_f32_e32 v119, v134, v126
	s_add_u32 s8, s8, 8
	s_waitcnt lgkmcnt(0)
	v_fmac_f32_e32 v119, v135, v127
	v_add_u32_e32 v120, s8, v122
	v_fmac_f32_e32 v119, v123, v128
	s_addc_u32 s9, s9, 0
	s_add_i32 s12, s12, 32
	s_add_i32 s13, s8, -7
	v_cmp_eq_u32_e32 vcc, 13, v120
	v_fmac_f32_e32 v119, v124, v129
	v_mov_b32_e32 v120, s13
	s_or_b64 s[10:11], vcc, s[10:11]
	v_fmac_f32_e32 v119, v125, v130
	s_andn2_b64 exec, exec, s[10:11]
	s_cbranch_execnz .LBB27_329
; %bb.330:
	s_or_b64 exec, exec, s[10:11]
.LBB27_331:
	s_or_b64 exec, exec, s[0:1]
	v_and_b32_e32 v58, 7, v121
	v_cmp_ne_u32_e32 vcc, 0, v58
	s_and_saveexec_b64 s[8:9], vcc
	s_cbranch_execz .LBB27_335
; %bb.332:
	v_mov_b32_e32 v59, 0x70
	v_lshl_add_u32 v59, v120, 2, v59
	v_mov_b32_e32 v60, 0
	s_mov_b64 s[10:11], 0
.LBB27_333:                             ; =>This Inner Loop Header: Depth=1
	v_cmp_eq_u32_e32 vcc, 1, v120
	v_cndmask_b32_e32 v61, v30, v31, vcc
	v_add_u32_e32 v58, -1, v58
	v_cmp_eq_u32_e32 vcc, 2, v120
	v_cndmask_b32_e32 v61, v61, v32, vcc
	v_cmp_eq_u32_e32 vcc, 0, v58
	v_cmp_eq_u32_e64 s[0:1], 3, v120
	v_cndmask_b32_e64 v61, v61, v33, s[0:1]
	s_or_b64 s[10:11], vcc, s[10:11]
	v_cmp_eq_u32_e32 vcc, 4, v120
	v_cndmask_b32_e32 v61, v61, v34, vcc
	v_cmp_eq_u32_e32 vcc, 5, v120
	v_cndmask_b32_e32 v61, v61, v35, vcc
	;; [unrolled: 2-line block ×19, first 2 shown]
	v_cmp_eq_u32_e32 vcc, 23, v120
	ds_read_b32 v121, v59
	v_cndmask_b32_e32 v61, v61, v53, vcc
	v_cmp_eq_u32_e32 vcc, 24, v120
	v_cndmask_b32_e32 v61, v61, v54, vcc
	v_cmp_eq_u32_e32 vcc, 25, v120
	;; [unrolled: 2-line block ×4, first 2 shown]
	v_add_co_u32_e64 v120, s[0:1], 1, v120
	v_cndmask_b32_e32 v61, v61, v57, vcc
	v_add_u32_e32 v59, 4, v59
	v_addc_co_u32_e64 v60, s[0:1], 0, v60, s[0:1]
	s_waitcnt lgkmcnt(0)
	v_fmac_f32_e32 v119, v61, v121
	s_andn2_b64 exec, exec, s[10:11]
	s_cbranch_execnz .LBB27_333
; %bb.334:
	s_or_b64 exec, exec, s[10:11]
.LBB27_335:
	s_or_b64 exec, exec, s[8:9]
.LBB27_336:
	s_or_b64 exec, exec, s[6:7]
	v_mov_b32_e32 v35, 0
	ds_read_b32 v35, v35 offset:20
	s_waitcnt lgkmcnt(0)
	v_mul_f32_e32 v35, v119, v35
.LBB27_337:
	s_or_b64 exec, exec, s[4:5]
	v_cmp_lt_u32_e64 s[0:1], 4, v0
	ds_write_b32 v118, v34
	s_waitcnt lgkmcnt(0)
	; wave barrier
	s_and_saveexec_b64 s[4:5], s[0:1]
	s_cbranch_execz .LBB27_353
; %bb.338:
	s_andn2_b64 vcc, exec, s[58:59]
	s_cbranch_vccnz .LBB27_340
; %bb.339:
	v_cmp_eq_u32_e32 vcc, 1, v0
	v_cndmask_b32_e32 v119, v30, v31, vcc
	v_cmp_eq_u32_e32 vcc, 2, v0
	v_cndmask_b32_e32 v119, v119, v32, vcc
	;; [unrolled: 2-line block ×23, first 2 shown]
	v_cmp_eq_u32_e32 vcc, 24, v0
	ds_read_b32 v120, v118
	v_cndmask_b32_e32 v119, v119, v54, vcc
	v_cmp_eq_u32_e32 vcc, 25, v0
	v_cndmask_b32_e32 v119, v119, v55, vcc
	v_cmp_eq_u32_e32 vcc, 26, v0
	;; [unrolled: 2-line block ×3, first 2 shown]
	v_cndmask_b32_e32 v119, v119, v57, vcc
	s_waitcnt lgkmcnt(0)
	v_mul_f32_e32 v119, v119, v120
	s_cbranch_execz .LBB27_341
	s_branch .LBB27_342
.LBB27_340:
                                        ; implicit-def: $vgpr119
.LBB27_341:
	ds_read_b32 v119, v118
.LBB27_342:
	s_and_saveexec_b64 s[6:7], s[2:3]
	s_cbranch_execz .LBB27_352
; %bb.343:
	v_add_u32_e32 v120, -6, v0
	v_add_u32_e32 v121, -5, v0
	v_cmp_lt_u32_e32 vcc, 6, v120
	v_mov_b32_e32 v120, 5
	s_and_saveexec_b64 s[2:3], vcc
	s_cbranch_execz .LBB27_347
; %bb.344:
	v_and_b32_e32 v120, -8, v121
	v_sub_u32_e32 v122, 0, v120
	s_mov_b64 s[8:9], 12
	s_movk_i32 s12, 0x84
	s_mov_b64 s[10:11], 0
.LBB27_345:                             ; =>This Inner Loop Header: Depth=1
	s_add_i32 s13, s8, -7
	v_mov_b32_e32 v120, s12
	s_add_i32 s14, s8, -6
	s_set_gpr_idx_on s13, gpr_idx(SRC0)
	v_mov_b32_e32 v129, v30
	s_set_gpr_idx_off
	ds_read2_b32 v[123:124], v120 offset1:1
	s_add_i32 s15, s8, -5
	s_set_gpr_idx_on s14, gpr_idx(SRC0)
	v_mov_b32_e32 v130, v30
	s_set_gpr_idx_off
	s_add_i32 s16, s8, -4
	s_set_gpr_idx_on s15, gpr_idx(SRC0)
	v_mov_b32_e32 v131, v30
	s_set_gpr_idx_off
	ds_read2_b32 v[125:126], v120 offset0:2 offset1:3
	s_add_i32 s17, s8, -3
	s_set_gpr_idx_on s16, gpr_idx(SRC0)
	v_mov_b32_e32 v132, v30
	s_set_gpr_idx_off
	s_add_i32 s18, s8, -2
	s_set_gpr_idx_on s17, gpr_idx(SRC0)
	v_mov_b32_e32 v133, v30
	s_set_gpr_idx_off
	ds_read2_b32 v[127:128], v120 offset0:4 offset1:5
	s_add_i32 s19, s8, -1
	s_waitcnt lgkmcnt(2)
	v_fmac_f32_e32 v119, v129, v123
	s_set_gpr_idx_on s18, gpr_idx(SRC0)
	v_mov_b32_e32 v129, v30
	s_set_gpr_idx_off
	v_fmac_f32_e32 v119, v130, v124
	s_set_gpr_idx_on s19, gpr_idx(SRC0)
	v_mov_b32_e32 v130, v30
	s_set_gpr_idx_off
	ds_read2_b32 v[123:124], v120 offset0:6 offset1:7
	s_waitcnt lgkmcnt(2)
	v_fmac_f32_e32 v119, v131, v125
	s_set_gpr_idx_on s8, gpr_idx(SRC0)
	v_mov_b32_e32 v125, v30
	s_set_gpr_idx_off
	v_fmac_f32_e32 v119, v132, v126
	s_add_u32 s8, s8, 8
	s_waitcnt lgkmcnt(1)
	v_fmac_f32_e32 v119, v133, v127
	v_add_u32_e32 v120, s8, v122
	v_fmac_f32_e32 v119, v129, v128
	s_addc_u32 s9, s9, 0
	s_add_i32 s12, s12, 32
	s_add_i32 s13, s8, -7
	v_cmp_eq_u32_e32 vcc, 12, v120
	s_waitcnt lgkmcnt(0)
	v_fmac_f32_e32 v119, v130, v123
	v_mov_b32_e32 v120, s13
	s_or_b64 s[10:11], vcc, s[10:11]
	v_fmac_f32_e32 v119, v125, v124
	s_andn2_b64 exec, exec, s[10:11]
	s_cbranch_execnz .LBB27_345
; %bb.346:
	s_or_b64 exec, exec, s[10:11]
.LBB27_347:
	s_or_b64 exec, exec, s[2:3]
	v_and_b32_e32 v58, 7, v121
	v_cmp_ne_u32_e32 vcc, 0, v58
	s_and_saveexec_b64 s[8:9], vcc
	s_cbranch_execz .LBB27_351
; %bb.348:
	v_mov_b32_e32 v59, 0x70
	v_lshl_add_u32 v59, v120, 2, v59
	v_mov_b32_e32 v60, 0
	s_mov_b64 s[10:11], 0
.LBB27_349:                             ; =>This Inner Loop Header: Depth=1
	v_cmp_eq_u32_e32 vcc, 1, v120
	v_cndmask_b32_e32 v61, v30, v31, vcc
	v_add_u32_e32 v58, -1, v58
	v_cmp_eq_u32_e32 vcc, 2, v120
	v_cndmask_b32_e32 v61, v61, v32, vcc
	v_cmp_eq_u32_e32 vcc, 0, v58
	v_cmp_eq_u32_e64 s[2:3], 3, v120
	v_cndmask_b32_e64 v61, v61, v33, s[2:3]
	s_or_b64 s[10:11], vcc, s[10:11]
	v_cmp_eq_u32_e32 vcc, 4, v120
	v_cndmask_b32_e32 v61, v61, v34, vcc
	v_cmp_eq_u32_e32 vcc, 5, v120
	v_cndmask_b32_e32 v61, v61, v35, vcc
	;; [unrolled: 2-line block ×19, first 2 shown]
	v_cmp_eq_u32_e32 vcc, 23, v120
	ds_read_b32 v121, v59
	v_cndmask_b32_e32 v61, v61, v53, vcc
	v_cmp_eq_u32_e32 vcc, 24, v120
	v_cndmask_b32_e32 v61, v61, v54, vcc
	v_cmp_eq_u32_e32 vcc, 25, v120
	;; [unrolled: 2-line block ×4, first 2 shown]
	v_add_co_u32_e64 v120, s[2:3], 1, v120
	v_cndmask_b32_e32 v61, v61, v57, vcc
	v_add_u32_e32 v59, 4, v59
	v_addc_co_u32_e64 v60, s[2:3], 0, v60, s[2:3]
	s_waitcnt lgkmcnt(0)
	v_fmac_f32_e32 v119, v61, v121
	s_andn2_b64 exec, exec, s[10:11]
	s_cbranch_execnz .LBB27_349
; %bb.350:
	s_or_b64 exec, exec, s[10:11]
.LBB27_351:
	s_or_b64 exec, exec, s[8:9]
.LBB27_352:
	s_or_b64 exec, exec, s[6:7]
	v_mov_b32_e32 v34, 0
	ds_read_b32 v34, v34 offset:16
	s_waitcnt lgkmcnt(0)
	v_mul_f32_e32 v34, v119, v34
.LBB27_353:
	s_or_b64 exec, exec, s[4:5]
	v_cmp_lt_u32_e64 s[2:3], 3, v0
	ds_write_b32 v118, v33
	s_waitcnt lgkmcnt(0)
	; wave barrier
	s_and_saveexec_b64 s[4:5], s[2:3]
	s_cbranch_execz .LBB27_369
; %bb.354:
	s_andn2_b64 vcc, exec, s[58:59]
	s_cbranch_vccnz .LBB27_356
; %bb.355:
	v_cmp_eq_u32_e32 vcc, 1, v0
	v_cndmask_b32_e32 v119, v30, v31, vcc
	v_cmp_eq_u32_e32 vcc, 2, v0
	v_cndmask_b32_e32 v119, v119, v32, vcc
	;; [unrolled: 2-line block ×23, first 2 shown]
	v_cmp_eq_u32_e32 vcc, 24, v0
	ds_read_b32 v120, v118
	v_cndmask_b32_e32 v119, v119, v54, vcc
	v_cmp_eq_u32_e32 vcc, 25, v0
	v_cndmask_b32_e32 v119, v119, v55, vcc
	v_cmp_eq_u32_e32 vcc, 26, v0
	;; [unrolled: 2-line block ×3, first 2 shown]
	v_cndmask_b32_e32 v119, v119, v57, vcc
	s_waitcnt lgkmcnt(0)
	v_mul_f32_e32 v119, v119, v120
	s_cbranch_execz .LBB27_357
	s_branch .LBB27_358
.LBB27_356:
                                        ; implicit-def: $vgpr119
.LBB27_357:
	ds_read_b32 v119, v118
.LBB27_358:
	s_and_saveexec_b64 s[6:7], s[0:1]
	s_cbranch_execz .LBB27_368
; %bb.359:
	v_add_u32_e32 v120, -5, v0
	v_add_u32_e32 v121, -4, v0
	v_cmp_lt_u32_e32 vcc, 6, v120
	v_mov_b32_e32 v120, 4
	s_and_saveexec_b64 s[0:1], vcc
	s_cbranch_execz .LBB27_363
; %bb.360:
	v_and_b32_e32 v120, -8, v121
	v_sub_u32_e32 v122, 0, v120
	s_mov_b64 s[8:9], 5
	s_movk_i32 s12, 0x80
	s_mov_b64 s[10:11], 0
.LBB27_361:                             ; =>This Inner Loop Header: Depth=1
	s_add_i32 s13, s8, -1
	v_mov_b32_e32 v120, s12
	s_set_gpr_idx_on s13, gpr_idx(SRC0)
	v_mov_b32_e32 v131, v30
	s_set_gpr_idx_off
	s_add_i32 s14, s8, 1
	ds_read_b128 v[123:126], v120
	ds_read_b128 v[127:130], v120 offset:16
	s_set_gpr_idx_on s8, gpr_idx(SRC0)
	v_mov_b32_e32 v132, v30
	s_set_gpr_idx_off
	s_add_i32 s15, s8, 2
	s_set_gpr_idx_on s14, gpr_idx(SRC0)
	v_mov_b32_e32 v133, v30
	s_set_gpr_idx_off
	s_add_i32 s16, s8, 3
	;; [unrolled: 4-line block ×4, first 2 shown]
	s_waitcnt lgkmcnt(1)
	v_fmac_f32_e32 v119, v131, v123
	s_set_gpr_idx_on s17, gpr_idx(SRC0)
	v_mov_b32_e32 v123, v30
	s_set_gpr_idx_off
	s_add_i32 s19, s8, 6
	v_fmac_f32_e32 v119, v132, v124
	s_set_gpr_idx_on s18, gpr_idx(SRC0)
	v_mov_b32_e32 v124, v30
	s_set_gpr_idx_off
	v_fmac_f32_e32 v119, v133, v125
	s_set_gpr_idx_on s19, gpr_idx(SRC0)
	v_mov_b32_e32 v125, v30
	s_set_gpr_idx_off
	v_fmac_f32_e32 v119, v134, v126
	s_add_u32 s8, s8, 8
	s_waitcnt lgkmcnt(0)
	v_fmac_f32_e32 v119, v135, v127
	v_add_u32_e32 v120, s8, v122
	v_fmac_f32_e32 v119, v123, v128
	s_addc_u32 s9, s9, 0
	s_add_i32 s12, s12, 32
	s_add_i32 s13, s8, -1
	v_cmp_eq_u32_e32 vcc, 5, v120
	v_fmac_f32_e32 v119, v124, v129
	v_mov_b32_e32 v120, s13
	s_or_b64 s[10:11], vcc, s[10:11]
	v_fmac_f32_e32 v119, v125, v130
	s_andn2_b64 exec, exec, s[10:11]
	s_cbranch_execnz .LBB27_361
; %bb.362:
	s_or_b64 exec, exec, s[10:11]
.LBB27_363:
	s_or_b64 exec, exec, s[0:1]
	v_and_b32_e32 v58, 7, v121
	v_cmp_ne_u32_e32 vcc, 0, v58
	s_and_saveexec_b64 s[8:9], vcc
	s_cbranch_execz .LBB27_367
; %bb.364:
	v_mov_b32_e32 v59, 0x70
	v_lshl_add_u32 v59, v120, 2, v59
	v_mov_b32_e32 v60, 0
	s_mov_b64 s[10:11], 0
.LBB27_365:                             ; =>This Inner Loop Header: Depth=1
	v_cmp_eq_u32_e32 vcc, 1, v120
	v_cndmask_b32_e32 v61, v30, v31, vcc
	v_add_u32_e32 v58, -1, v58
	v_cmp_eq_u32_e32 vcc, 2, v120
	v_cndmask_b32_e32 v61, v61, v32, vcc
	v_cmp_eq_u32_e32 vcc, 0, v58
	v_cmp_eq_u32_e64 s[0:1], 3, v120
	v_cndmask_b32_e64 v61, v61, v33, s[0:1]
	s_or_b64 s[10:11], vcc, s[10:11]
	v_cmp_eq_u32_e32 vcc, 4, v120
	v_cndmask_b32_e32 v61, v61, v34, vcc
	v_cmp_eq_u32_e32 vcc, 5, v120
	v_cndmask_b32_e32 v61, v61, v35, vcc
	;; [unrolled: 2-line block ×19, first 2 shown]
	v_cmp_eq_u32_e32 vcc, 23, v120
	ds_read_b32 v121, v59
	v_cndmask_b32_e32 v61, v61, v53, vcc
	v_cmp_eq_u32_e32 vcc, 24, v120
	v_cndmask_b32_e32 v61, v61, v54, vcc
	v_cmp_eq_u32_e32 vcc, 25, v120
	;; [unrolled: 2-line block ×4, first 2 shown]
	v_add_co_u32_e64 v120, s[0:1], 1, v120
	v_cndmask_b32_e32 v61, v61, v57, vcc
	v_add_u32_e32 v59, 4, v59
	v_addc_co_u32_e64 v60, s[0:1], 0, v60, s[0:1]
	s_waitcnt lgkmcnt(0)
	v_fmac_f32_e32 v119, v61, v121
	s_andn2_b64 exec, exec, s[10:11]
	s_cbranch_execnz .LBB27_365
; %bb.366:
	s_or_b64 exec, exec, s[10:11]
.LBB27_367:
	s_or_b64 exec, exec, s[8:9]
.LBB27_368:
	s_or_b64 exec, exec, s[6:7]
	v_mov_b32_e32 v33, 0
	ds_read_b32 v33, v33 offset:12
	s_waitcnt lgkmcnt(0)
	v_mul_f32_e32 v33, v119, v33
.LBB27_369:
	s_or_b64 exec, exec, s[4:5]
	v_cmp_lt_u32_e64 s[0:1], 2, v0
	ds_write_b32 v118, v32
	s_waitcnt lgkmcnt(0)
	; wave barrier
	s_and_saveexec_b64 s[4:5], s[0:1]
	s_cbranch_execz .LBB27_385
; %bb.370:
	s_andn2_b64 vcc, exec, s[58:59]
	s_cbranch_vccnz .LBB27_372
; %bb.371:
	v_cmp_eq_u32_e32 vcc, 1, v0
	v_cndmask_b32_e32 v119, v30, v31, vcc
	v_cmp_eq_u32_e32 vcc, 2, v0
	v_cndmask_b32_e32 v119, v119, v32, vcc
	;; [unrolled: 2-line block ×23, first 2 shown]
	v_cmp_eq_u32_e32 vcc, 24, v0
	ds_read_b32 v120, v118
	v_cndmask_b32_e32 v119, v119, v54, vcc
	v_cmp_eq_u32_e32 vcc, 25, v0
	v_cndmask_b32_e32 v119, v119, v55, vcc
	v_cmp_eq_u32_e32 vcc, 26, v0
	;; [unrolled: 2-line block ×3, first 2 shown]
	v_cndmask_b32_e32 v119, v119, v57, vcc
	s_waitcnt lgkmcnt(0)
	v_mul_f32_e32 v119, v119, v120
	s_cbranch_execz .LBB27_373
	s_branch .LBB27_374
.LBB27_372:
                                        ; implicit-def: $vgpr119
.LBB27_373:
	ds_read_b32 v119, v118
.LBB27_374:
	s_and_saveexec_b64 s[6:7], s[2:3]
	s_cbranch_execz .LBB27_384
; %bb.375:
	v_add_u32_e32 v120, -4, v0
	v_add_u32_e32 v121, -3, v0
	v_cmp_lt_u32_e32 vcc, 6, v120
	v_mov_b32_e32 v120, 3
	s_and_saveexec_b64 s[2:3], vcc
	s_cbranch_execz .LBB27_379
; %bb.376:
	v_and_b32_e32 v120, -8, v121
	v_sub_u32_e32 v122, 0, v120
	s_mov_b64 s[8:9], 10
	s_movk_i32 s12, 0x7c
	s_mov_b64 s[10:11], 0
.LBB27_377:                             ; =>This Inner Loop Header: Depth=1
	s_add_i32 s13, s8, -7
	v_mov_b32_e32 v120, s12
	s_add_i32 s14, s8, -6
	s_set_gpr_idx_on s13, gpr_idx(SRC0)
	v_mov_b32_e32 v129, v30
	s_set_gpr_idx_off
	ds_read2_b32 v[123:124], v120 offset1:1
	s_add_i32 s15, s8, -5
	s_set_gpr_idx_on s14, gpr_idx(SRC0)
	v_mov_b32_e32 v130, v30
	s_set_gpr_idx_off
	s_add_i32 s16, s8, -4
	s_set_gpr_idx_on s15, gpr_idx(SRC0)
	v_mov_b32_e32 v131, v30
	s_set_gpr_idx_off
	ds_read2_b32 v[125:126], v120 offset0:2 offset1:3
	s_add_i32 s17, s8, -3
	s_set_gpr_idx_on s16, gpr_idx(SRC0)
	v_mov_b32_e32 v132, v30
	s_set_gpr_idx_off
	s_add_i32 s18, s8, -2
	s_set_gpr_idx_on s17, gpr_idx(SRC0)
	v_mov_b32_e32 v133, v30
	s_set_gpr_idx_off
	ds_read2_b32 v[127:128], v120 offset0:4 offset1:5
	s_add_i32 s19, s8, -1
	s_waitcnt lgkmcnt(2)
	v_fmac_f32_e32 v119, v129, v123
	s_set_gpr_idx_on s18, gpr_idx(SRC0)
	v_mov_b32_e32 v129, v30
	s_set_gpr_idx_off
	v_fmac_f32_e32 v119, v130, v124
	s_set_gpr_idx_on s19, gpr_idx(SRC0)
	v_mov_b32_e32 v130, v30
	s_set_gpr_idx_off
	ds_read2_b32 v[123:124], v120 offset0:6 offset1:7
	s_waitcnt lgkmcnt(2)
	v_fmac_f32_e32 v119, v131, v125
	s_set_gpr_idx_on s8, gpr_idx(SRC0)
	v_mov_b32_e32 v125, v30
	s_set_gpr_idx_off
	v_fmac_f32_e32 v119, v132, v126
	s_add_u32 s8, s8, 8
	s_waitcnt lgkmcnt(1)
	v_fmac_f32_e32 v119, v133, v127
	v_add_u32_e32 v120, s8, v122
	v_fmac_f32_e32 v119, v129, v128
	s_addc_u32 s9, s9, 0
	s_add_i32 s12, s12, 32
	s_add_i32 s13, s8, -7
	v_cmp_eq_u32_e32 vcc, 10, v120
	s_waitcnt lgkmcnt(0)
	v_fmac_f32_e32 v119, v130, v123
	v_mov_b32_e32 v120, s13
	s_or_b64 s[10:11], vcc, s[10:11]
	v_fmac_f32_e32 v119, v125, v124
	s_andn2_b64 exec, exec, s[10:11]
	s_cbranch_execnz .LBB27_377
; %bb.378:
	s_or_b64 exec, exec, s[10:11]
.LBB27_379:
	s_or_b64 exec, exec, s[2:3]
	v_and_b32_e32 v58, 7, v121
	v_cmp_ne_u32_e32 vcc, 0, v58
	s_and_saveexec_b64 s[8:9], vcc
	s_cbranch_execz .LBB27_383
; %bb.380:
	v_mov_b32_e32 v59, 0x70
	v_lshl_add_u32 v59, v120, 2, v59
	v_mov_b32_e32 v60, 0
	s_mov_b64 s[10:11], 0
.LBB27_381:                             ; =>This Inner Loop Header: Depth=1
	v_cmp_eq_u32_e32 vcc, 1, v120
	v_cndmask_b32_e32 v61, v30, v31, vcc
	v_add_u32_e32 v58, -1, v58
	v_cmp_eq_u32_e32 vcc, 2, v120
	v_cndmask_b32_e32 v61, v61, v32, vcc
	v_cmp_eq_u32_e32 vcc, 0, v58
	v_cmp_eq_u32_e64 s[2:3], 3, v120
	v_cndmask_b32_e64 v61, v61, v33, s[2:3]
	s_or_b64 s[10:11], vcc, s[10:11]
	v_cmp_eq_u32_e32 vcc, 4, v120
	v_cndmask_b32_e32 v61, v61, v34, vcc
	v_cmp_eq_u32_e32 vcc, 5, v120
	v_cndmask_b32_e32 v61, v61, v35, vcc
	v_cmp_eq_u32_e32 vcc, 6, v120
	v_cndmask_b32_e32 v61, v61, v36, vcc
	v_cmp_eq_u32_e32 vcc, 7, v120
	v_cndmask_b32_e32 v61, v61, v37, vcc
	v_cmp_eq_u32_e32 vcc, 8, v120
	v_cndmask_b32_e32 v61, v61, v38, vcc
	v_cmp_eq_u32_e32 vcc, 9, v120
	v_cndmask_b32_e32 v61, v61, v39, vcc
	v_cmp_eq_u32_e32 vcc, 10, v120
	v_cndmask_b32_e32 v61, v61, v40, vcc
	v_cmp_eq_u32_e32 vcc, 11, v120
	v_cndmask_b32_e32 v61, v61, v41, vcc
	v_cmp_eq_u32_e32 vcc, 12, v120
	v_cndmask_b32_e32 v61, v61, v42, vcc
	v_cmp_eq_u32_e32 vcc, 13, v120
	v_cndmask_b32_e32 v61, v61, v43, vcc
	v_cmp_eq_u32_e32 vcc, 14, v120
	v_cndmask_b32_e32 v61, v61, v44, vcc
	v_cmp_eq_u32_e32 vcc, 15, v120
	v_cndmask_b32_e32 v61, v61, v45, vcc
	v_cmp_eq_u32_e32 vcc, 16, v120
	v_cndmask_b32_e32 v61, v61, v46, vcc
	v_cmp_eq_u32_e32 vcc, 17, v120
	v_cndmask_b32_e32 v61, v61, v47, vcc
	v_cmp_eq_u32_e32 vcc, 18, v120
	v_cndmask_b32_e32 v61, v61, v48, vcc
	v_cmp_eq_u32_e32 vcc, 19, v120
	v_cndmask_b32_e32 v61, v61, v49, vcc
	v_cmp_eq_u32_e32 vcc, 20, v120
	v_cndmask_b32_e32 v61, v61, v50, vcc
	v_cmp_eq_u32_e32 vcc, 21, v120
	v_cndmask_b32_e32 v61, v61, v51, vcc
	v_cmp_eq_u32_e32 vcc, 22, v120
	v_cndmask_b32_e32 v61, v61, v52, vcc
	v_cmp_eq_u32_e32 vcc, 23, v120
	ds_read_b32 v121, v59
	v_cndmask_b32_e32 v61, v61, v53, vcc
	v_cmp_eq_u32_e32 vcc, 24, v120
	v_cndmask_b32_e32 v61, v61, v54, vcc
	v_cmp_eq_u32_e32 vcc, 25, v120
	;; [unrolled: 2-line block ×4, first 2 shown]
	v_add_co_u32_e64 v120, s[2:3], 1, v120
	v_cndmask_b32_e32 v61, v61, v57, vcc
	v_add_u32_e32 v59, 4, v59
	v_addc_co_u32_e64 v60, s[2:3], 0, v60, s[2:3]
	s_waitcnt lgkmcnt(0)
	v_fmac_f32_e32 v119, v61, v121
	s_andn2_b64 exec, exec, s[10:11]
	s_cbranch_execnz .LBB27_381
; %bb.382:
	s_or_b64 exec, exec, s[10:11]
.LBB27_383:
	s_or_b64 exec, exec, s[8:9]
.LBB27_384:
	s_or_b64 exec, exec, s[6:7]
	v_mov_b32_e32 v32, 0
	ds_read_b32 v32, v32 offset:8
	s_waitcnt lgkmcnt(0)
	v_mul_f32_e32 v32, v119, v32
.LBB27_385:
	s_or_b64 exec, exec, s[4:5]
	v_cmp_lt_u32_e64 s[2:3], 1, v0
	ds_write_b32 v118, v31
	s_waitcnt lgkmcnt(0)
	; wave barrier
	s_and_saveexec_b64 s[4:5], s[2:3]
	s_cbranch_execz .LBB27_401
; %bb.386:
	s_andn2_b64 vcc, exec, s[58:59]
	s_cbranch_vccnz .LBB27_388
; %bb.387:
	v_cmp_eq_u32_e32 vcc, 1, v0
	v_cndmask_b32_e32 v119, v30, v31, vcc
	v_cmp_eq_u32_e32 vcc, 2, v0
	v_cndmask_b32_e32 v119, v119, v32, vcc
	;; [unrolled: 2-line block ×23, first 2 shown]
	v_cmp_eq_u32_e32 vcc, 24, v0
	ds_read_b32 v120, v118
	v_cndmask_b32_e32 v119, v119, v54, vcc
	v_cmp_eq_u32_e32 vcc, 25, v0
	v_cndmask_b32_e32 v119, v119, v55, vcc
	v_cmp_eq_u32_e32 vcc, 26, v0
	;; [unrolled: 2-line block ×3, first 2 shown]
	v_cndmask_b32_e32 v119, v119, v57, vcc
	s_waitcnt lgkmcnt(0)
	v_mul_f32_e32 v119, v119, v120
	s_cbranch_execz .LBB27_389
	s_branch .LBB27_390
.LBB27_388:
                                        ; implicit-def: $vgpr119
.LBB27_389:
	ds_read_b32 v119, v118
.LBB27_390:
	s_and_saveexec_b64 s[6:7], s[0:1]
	s_cbranch_execz .LBB27_400
; %bb.391:
	v_add_u32_e32 v120, -3, v0
	v_add_u32_e32 v121, -2, v0
	v_cmp_lt_u32_e32 vcc, 6, v120
	v_mov_b32_e32 v120, 2
	s_and_saveexec_b64 s[0:1], vcc
	s_cbranch_execz .LBB27_395
; %bb.392:
	v_and_b32_e32 v120, -8, v121
	v_sub_u32_e32 v122, 0, v120
	s_mov_b64 s[8:9], 9
	s_movk_i32 s12, 0x78
	s_mov_b64 s[10:11], 0
.LBB27_393:                             ; =>This Inner Loop Header: Depth=1
	s_add_i32 s13, s8, -7
	v_mov_b32_e32 v120, s12
	s_add_i32 s14, s8, -6
	s_set_gpr_idx_on s13, gpr_idx(SRC0)
	v_mov_b32_e32 v131, v30
	s_set_gpr_idx_off
	ds_read2_b64 v[123:126], v120 offset1:1
	s_add_i32 s15, s8, -5
	s_set_gpr_idx_on s14, gpr_idx(SRC0)
	v_mov_b32_e32 v132, v30
	s_set_gpr_idx_off
	s_add_i32 s16, s8, -4
	s_set_gpr_idx_on s15, gpr_idx(SRC0)
	v_mov_b32_e32 v133, v30
	s_set_gpr_idx_off
	;; [unrolled: 4-line block ×4, first 2 shown]
	ds_read2_b64 v[127:130], v120 offset0:2 offset1:3
	s_add_i32 s19, s8, -1
	s_waitcnt lgkmcnt(1)
	v_fmac_f32_e32 v119, v131, v123
	s_set_gpr_idx_on s18, gpr_idx(SRC0)
	v_mov_b32_e32 v123, v30
	s_set_gpr_idx_off
	v_fmac_f32_e32 v119, v132, v124
	s_set_gpr_idx_on s19, gpr_idx(SRC0)
	v_mov_b32_e32 v124, v30
	s_set_gpr_idx_off
	;; [unrolled: 4-line block ×3, first 2 shown]
	v_fmac_f32_e32 v119, v134, v126
	s_add_u32 s8, s8, 8
	s_waitcnt lgkmcnt(0)
	v_fmac_f32_e32 v119, v135, v127
	v_add_u32_e32 v120, s8, v122
	v_fmac_f32_e32 v119, v123, v128
	s_addc_u32 s9, s9, 0
	s_add_i32 s12, s12, 32
	s_add_i32 s13, s8, -7
	v_cmp_eq_u32_e32 vcc, 9, v120
	v_fmac_f32_e32 v119, v124, v129
	v_mov_b32_e32 v120, s13
	s_or_b64 s[10:11], vcc, s[10:11]
	v_fmac_f32_e32 v119, v125, v130
	s_andn2_b64 exec, exec, s[10:11]
	s_cbranch_execnz .LBB27_393
; %bb.394:
	s_or_b64 exec, exec, s[10:11]
.LBB27_395:
	s_or_b64 exec, exec, s[0:1]
	v_and_b32_e32 v58, 7, v121
	v_cmp_ne_u32_e32 vcc, 0, v58
	s_and_saveexec_b64 s[8:9], vcc
	s_cbranch_execz .LBB27_399
; %bb.396:
	v_mov_b32_e32 v59, 0x70
	v_lshl_add_u32 v59, v120, 2, v59
	v_mov_b32_e32 v60, 0
	s_mov_b64 s[10:11], 0
.LBB27_397:                             ; =>This Inner Loop Header: Depth=1
	v_cmp_eq_u32_e32 vcc, 1, v120
	v_cndmask_b32_e32 v61, v30, v31, vcc
	v_add_u32_e32 v58, -1, v58
	v_cmp_eq_u32_e32 vcc, 2, v120
	v_cndmask_b32_e32 v61, v61, v32, vcc
	v_cmp_eq_u32_e32 vcc, 0, v58
	v_cmp_eq_u32_e64 s[0:1], 3, v120
	v_cndmask_b32_e64 v61, v61, v33, s[0:1]
	s_or_b64 s[10:11], vcc, s[10:11]
	v_cmp_eq_u32_e32 vcc, 4, v120
	v_cndmask_b32_e32 v61, v61, v34, vcc
	v_cmp_eq_u32_e32 vcc, 5, v120
	v_cndmask_b32_e32 v61, v61, v35, vcc
	;; [unrolled: 2-line block ×19, first 2 shown]
	v_cmp_eq_u32_e32 vcc, 23, v120
	ds_read_b32 v121, v59
	v_cndmask_b32_e32 v61, v61, v53, vcc
	v_cmp_eq_u32_e32 vcc, 24, v120
	v_cndmask_b32_e32 v61, v61, v54, vcc
	v_cmp_eq_u32_e32 vcc, 25, v120
	;; [unrolled: 2-line block ×4, first 2 shown]
	v_add_co_u32_e64 v120, s[0:1], 1, v120
	v_cndmask_b32_e32 v61, v61, v57, vcc
	v_add_u32_e32 v59, 4, v59
	v_addc_co_u32_e64 v60, s[0:1], 0, v60, s[0:1]
	s_waitcnt lgkmcnt(0)
	v_fmac_f32_e32 v119, v61, v121
	s_andn2_b64 exec, exec, s[10:11]
	s_cbranch_execnz .LBB27_397
; %bb.398:
	s_or_b64 exec, exec, s[10:11]
.LBB27_399:
	s_or_b64 exec, exec, s[8:9]
.LBB27_400:
	s_or_b64 exec, exec, s[6:7]
	v_mov_b32_e32 v31, 0
	ds_read_b32 v31, v31 offset:4
	s_waitcnt lgkmcnt(0)
	v_mul_f32_e32 v31, v119, v31
.LBB27_401:
	s_or_b64 exec, exec, s[4:5]
	v_cmp_ne_u32_e32 vcc, 0, v0
	ds_write_b32 v118, v30
	s_waitcnt lgkmcnt(0)
	; wave barrier
	s_and_saveexec_b64 s[4:5], vcc
	s_cbranch_execz .LBB27_417
; %bb.402:
	s_andn2_b64 vcc, exec, s[58:59]
	s_cbranch_vccnz .LBB27_404
; %bb.403:
	v_cmp_eq_u32_e32 vcc, 1, v0
	v_cndmask_b32_e32 v119, v30, v31, vcc
	v_cmp_eq_u32_e32 vcc, 2, v0
	v_cndmask_b32_e32 v119, v119, v32, vcc
	;; [unrolled: 2-line block ×23, first 2 shown]
	v_cmp_eq_u32_e32 vcc, 24, v0
	ds_read_b32 v120, v118
	v_cndmask_b32_e32 v119, v119, v54, vcc
	v_cmp_eq_u32_e32 vcc, 25, v0
	v_cndmask_b32_e32 v119, v119, v55, vcc
	v_cmp_eq_u32_e32 vcc, 26, v0
	;; [unrolled: 2-line block ×3, first 2 shown]
	v_cndmask_b32_e32 v119, v119, v57, vcc
	s_waitcnt lgkmcnt(0)
	v_mul_f32_e32 v119, v119, v120
	s_cbranch_execz .LBB27_405
	s_branch .LBB27_406
.LBB27_404:
                                        ; implicit-def: $vgpr119
.LBB27_405:
	ds_read_b32 v119, v118
.LBB27_406:
	s_and_saveexec_b64 s[6:7], s[2:3]
	s_cbranch_execz .LBB27_416
; %bb.407:
	v_add_u32_e32 v120, -2, v0
	v_add_u32_e32 v121, -1, v0
	v_cmp_lt_u32_e32 vcc, 6, v120
	v_mov_b32_e32 v120, 1
	s_and_saveexec_b64 s[0:1], vcc
	s_cbranch_execz .LBB27_411
; %bb.408:
	v_and_b32_e32 v120, -8, v121
	v_sub_u32_e32 v122, 0, v120
	s_mov_b64 s[2:3], 8
	s_movk_i32 s10, 0x74
	s_mov_b64 s[8:9], 0
.LBB27_409:                             ; =>This Inner Loop Header: Depth=1
	s_add_i32 s11, s2, -7
	v_mov_b32_e32 v120, s10
	s_add_i32 s12, s2, -6
	s_set_gpr_idx_on s11, gpr_idx(SRC0)
	v_mov_b32_e32 v129, v30
	s_set_gpr_idx_off
	ds_read2_b32 v[123:124], v120 offset1:1
	s_add_i32 s13, s2, -5
	s_set_gpr_idx_on s12, gpr_idx(SRC0)
	v_mov_b32_e32 v130, v30
	s_set_gpr_idx_off
	s_add_i32 s14, s2, -4
	s_set_gpr_idx_on s13, gpr_idx(SRC0)
	v_mov_b32_e32 v131, v30
	s_set_gpr_idx_off
	ds_read2_b32 v[125:126], v120 offset0:2 offset1:3
	s_add_i32 s15, s2, -3
	s_set_gpr_idx_on s14, gpr_idx(SRC0)
	v_mov_b32_e32 v132, v30
	s_set_gpr_idx_off
	s_add_i32 s16, s2, -2
	s_set_gpr_idx_on s15, gpr_idx(SRC0)
	v_mov_b32_e32 v133, v30
	s_set_gpr_idx_off
	ds_read2_b32 v[127:128], v120 offset0:4 offset1:5
	s_add_i32 s17, s2, -1
	s_waitcnt lgkmcnt(2)
	v_fmac_f32_e32 v119, v129, v123
	s_set_gpr_idx_on s16, gpr_idx(SRC0)
	v_mov_b32_e32 v129, v30
	s_set_gpr_idx_off
	v_fmac_f32_e32 v119, v130, v124
	s_set_gpr_idx_on s17, gpr_idx(SRC0)
	v_mov_b32_e32 v130, v30
	s_set_gpr_idx_off
	ds_read2_b32 v[123:124], v120 offset0:6 offset1:7
	s_waitcnt lgkmcnt(2)
	v_fmac_f32_e32 v119, v131, v125
	s_set_gpr_idx_on s2, gpr_idx(SRC0)
	v_mov_b32_e32 v125, v30
	s_set_gpr_idx_off
	v_fmac_f32_e32 v119, v132, v126
	s_add_u32 s2, s2, 8
	s_waitcnt lgkmcnt(1)
	v_fmac_f32_e32 v119, v133, v127
	v_add_u32_e32 v120, s2, v122
	v_fmac_f32_e32 v119, v129, v128
	s_addc_u32 s3, s3, 0
	s_add_i32 s10, s10, 32
	s_add_i32 s11, s2, -7
	v_cmp_eq_u32_e32 vcc, 8, v120
	s_waitcnt lgkmcnt(0)
	v_fmac_f32_e32 v119, v130, v123
	v_mov_b32_e32 v120, s11
	s_or_b64 s[8:9], vcc, s[8:9]
	v_fmac_f32_e32 v119, v125, v124
	s_andn2_b64 exec, exec, s[8:9]
	s_cbranch_execnz .LBB27_409
; %bb.410:
	s_or_b64 exec, exec, s[8:9]
.LBB27_411:
	s_or_b64 exec, exec, s[0:1]
	v_and_b32_e32 v58, 7, v121
	v_cmp_ne_u32_e32 vcc, 0, v58
	s_and_saveexec_b64 s[2:3], vcc
	s_cbranch_execz .LBB27_415
; %bb.412:
	v_mov_b32_e32 v59, 0x70
	v_lshl_add_u32 v59, v120, 2, v59
	v_mov_b32_e32 v60, 0
	s_mov_b64 s[8:9], 0
.LBB27_413:                             ; =>This Inner Loop Header: Depth=1
	v_cmp_eq_u32_e32 vcc, 1, v120
	v_cndmask_b32_e32 v61, v30, v31, vcc
	v_add_u32_e32 v58, -1, v58
	v_cmp_eq_u32_e32 vcc, 2, v120
	v_cndmask_b32_e32 v61, v61, v32, vcc
	v_cmp_eq_u32_e32 vcc, 0, v58
	v_cmp_eq_u32_e64 s[0:1], 3, v120
	v_cndmask_b32_e64 v61, v61, v33, s[0:1]
	s_or_b64 s[8:9], vcc, s[8:9]
	v_cmp_eq_u32_e32 vcc, 4, v120
	v_cndmask_b32_e32 v61, v61, v34, vcc
	v_cmp_eq_u32_e32 vcc, 5, v120
	v_cndmask_b32_e32 v61, v61, v35, vcc
	;; [unrolled: 2-line block ×19, first 2 shown]
	v_cmp_eq_u32_e32 vcc, 23, v120
	ds_read_b32 v121, v59
	v_cndmask_b32_e32 v61, v61, v53, vcc
	v_cmp_eq_u32_e32 vcc, 24, v120
	v_cndmask_b32_e32 v61, v61, v54, vcc
	v_cmp_eq_u32_e32 vcc, 25, v120
	;; [unrolled: 2-line block ×4, first 2 shown]
	v_add_co_u32_e64 v120, s[0:1], 1, v120
	v_cndmask_b32_e32 v61, v61, v57, vcc
	v_add_u32_e32 v59, 4, v59
	v_addc_co_u32_e64 v60, s[0:1], 0, v60, s[0:1]
	s_waitcnt lgkmcnt(0)
	v_fmac_f32_e32 v119, v61, v121
	s_andn2_b64 exec, exec, s[8:9]
	s_cbranch_execnz .LBB27_413
; %bb.414:
	s_or_b64 exec, exec, s[8:9]
.LBB27_415:
	s_or_b64 exec, exec, s[2:3]
.LBB27_416:
	s_or_b64 exec, exec, s[6:7]
	v_mov_b32_e32 v30, 0
	ds_read_b32 v30, v30
	s_waitcnt lgkmcnt(0)
	v_mul_f32_e32 v30, v119, v30
.LBB27_417:
	s_or_b64 exec, exec, s[4:5]
	s_branch .LBB27_691
.LBB27_418:
	v_cmp_eq_u32_e64 s[2:3], 0, v0
	s_waitcnt vmcnt(27)
	ds_write_b32 v118, v3
	s_waitcnt lgkmcnt(0)
	; wave barrier
	s_and_saveexec_b64 s[0:1], s[2:3]
	s_cbranch_execz .LBB27_424
; %bb.419:
	s_and_b64 vcc, exec, s[58:59]
	s_cbranch_vccz .LBB27_421
; %bb.420:
	v_cmp_eq_u32_e32 vcc, 1, v0
	s_waitcnt vmcnt(3)
	v_cndmask_b32_e32 v3, v2, v3, vcc
	v_cmp_eq_u32_e32 vcc, 2, v0
	v_cndmask_b32_e32 v3, v3, v4, vcc
	v_cmp_eq_u32_e32 vcc, 3, v0
	;; [unrolled: 2-line block ×23, first 2 shown]
	ds_read_b32 v30, v118
	v_cndmask_b32_e32 v3, v3, v26, vcc
	v_cmp_eq_u32_e32 vcc, 25, v0
	s_waitcnt vmcnt(2)
	v_cndmask_b32_e32 v3, v3, v27, vcc
	v_cmp_eq_u32_e32 vcc, 26, v0
	s_waitcnt vmcnt(1)
	;; [unrolled: 3-line block ×3, first 2 shown]
	v_cndmask_b32_e32 v3, v3, v29, vcc
	s_waitcnt lgkmcnt(0)
	v_mul_f32_e32 v3, v3, v30
	s_cbranch_execz .LBB27_422
	s_branch .LBB27_423
.LBB27_421:
                                        ; implicit-def: $vgpr3
.LBB27_422:
	ds_read_b32 v3, v118
.LBB27_423:
	v_mov_b32_e32 v30, 0
	ds_read_b32 v30, v30 offset:4
	s_waitcnt lgkmcnt(0)
	v_mul_f32_e32 v3, v3, v30
.LBB27_424:
	s_or_b64 exec, exec, s[0:1]
	v_cndmask_b32_e64 v30, 0, 1, s[58:59]
	v_cmp_gt_u32_e32 vcc, 2, v0
	v_cmp_ne_u32_e64 s[0:1], 1, v30
	s_waitcnt vmcnt(26)
	ds_write_b32 v118, v4
	s_waitcnt lgkmcnt(0)
	; wave barrier
	s_and_saveexec_b64 s[4:5], vcc
	s_cbranch_execz .LBB27_430
; %bb.425:
	s_and_b64 vcc, exec, s[0:1]
	s_cbranch_vccnz .LBB27_427
; %bb.426:
	v_cmp_eq_u32_e32 vcc, 1, v0
	s_waitcnt vmcnt(3)
	v_cndmask_b32_e32 v30, v2, v3, vcc
	v_cmp_eq_u32_e32 vcc, 2, v0
	v_cndmask_b32_e32 v4, v30, v4, vcc
	v_cmp_eq_u32_e32 vcc, 3, v0
	;; [unrolled: 2-line block ×23, first 2 shown]
	ds_read_b32 v30, v118
	v_cndmask_b32_e32 v4, v4, v26, vcc
	v_cmp_eq_u32_e32 vcc, 25, v0
	s_waitcnt vmcnt(2)
	v_cndmask_b32_e32 v4, v4, v27, vcc
	v_cmp_eq_u32_e32 vcc, 26, v0
	s_waitcnt vmcnt(1)
	;; [unrolled: 3-line block ×3, first 2 shown]
	v_cndmask_b32_e32 v4, v4, v29, vcc
	s_waitcnt lgkmcnt(0)
	v_mul_f32_e32 v4, v4, v30
	s_cbranch_execz .LBB27_428
	s_branch .LBB27_429
.LBB27_427:
                                        ; implicit-def: $vgpr4
.LBB27_428:
	ds_read_b32 v4, v118
.LBB27_429:
	v_mov_b32_e32 v30, 0
	ds_read2_b32 v[30:31], v30 offset0:2 offset1:29
	s_waitcnt lgkmcnt(0)
	v_fma_f32 v31, v3, v31, v4
	v_cndmask_b32_e64 v4, v4, v31, s[2:3]
	v_mul_f32_e32 v4, v4, v30
.LBB27_430:
	s_or_b64 exec, exec, s[4:5]
	v_add_u32_e32 v32, 1, v0
	v_cmp_gt_u32_e64 s[4:5], 3, v0
	s_waitcnt vmcnt(25)
	ds_write_b32 v118, v5
	s_waitcnt lgkmcnt(0)
	; wave barrier
	s_and_saveexec_b64 s[6:7], s[4:5]
	s_cbranch_execz .LBB27_438
; %bb.431:
	s_and_b64 vcc, exec, s[0:1]
	s_cbranch_vccnz .LBB27_433
; %bb.432:
	v_cmp_eq_u32_e32 vcc, 1, v0
	s_waitcnt vmcnt(3)
	v_cndmask_b32_e32 v30, v2, v3, vcc
	v_cmp_eq_u32_e32 vcc, 2, v0
	v_cndmask_b32_e32 v30, v30, v4, vcc
	v_cmp_eq_u32_e32 vcc, 3, v0
	;; [unrolled: 2-line block ×23, first 2 shown]
	ds_read_b32 v31, v118
	v_cndmask_b32_e32 v30, v30, v26, vcc
	v_cmp_eq_u32_e32 vcc, 25, v0
	s_waitcnt vmcnt(2)
	v_cndmask_b32_e32 v30, v30, v27, vcc
	v_cmp_eq_u32_e32 vcc, 26, v0
	s_waitcnt vmcnt(1)
	;; [unrolled: 3-line block ×3, first 2 shown]
	v_cndmask_b32_e32 v30, v30, v29, vcc
	s_waitcnt lgkmcnt(0)
	v_mul_f32_e32 v30, v30, v31
	s_cbranch_execz .LBB27_434
	s_branch .LBB27_435
.LBB27_433:
                                        ; implicit-def: $vgpr30
.LBB27_434:
	ds_read_b32 v30, v118
.LBB27_435:
	v_cmp_ne_u32_e32 vcc, 2, v0
	s_and_saveexec_b64 s[8:9], vcc
	s_cbranch_execz .LBB27_437
; %bb.436:
	v_cmp_eq_u32_e32 vcc, 1, v32
	s_waitcnt vmcnt(3)
	v_cndmask_b32_e32 v31, v2, v3, vcc
	v_cmp_eq_u32_e32 vcc, 2, v32
	v_cndmask_b32_e32 v31, v31, v4, vcc
	v_cmp_eq_u32_e32 vcc, 3, v32
	;; [unrolled: 2-line block ×23, first 2 shown]
	v_mov_b32_e32 v31, 0
	v_cndmask_b32_e32 v5, v5, v26, vcc
	v_cmp_eq_u32_e32 vcc, 25, v32
	ds_read_b32 v33, v118 offset:4
	ds_read_b32 v31, v31 offset:120
	s_waitcnt vmcnt(2)
	v_cndmask_b32_e32 v5, v5, v27, vcc
	v_cmp_eq_u32_e32 vcc, 26, v32
	s_waitcnt vmcnt(1)
	v_cndmask_b32_e32 v5, v5, v28, vcc
	v_cmp_eq_u32_e32 vcc, 27, v32
	s_waitcnt vmcnt(0)
	v_cndmask_b32_e32 v5, v5, v29, vcc
	s_waitcnt lgkmcnt(1)
	v_fmac_f32_e32 v30, v5, v33
	s_waitcnt lgkmcnt(0)
	v_fma_f32 v5, v4, v31, v30
	v_cndmask_b32_e64 v30, v30, v5, s[2:3]
.LBB27_437:
	s_or_b64 exec, exec, s[8:9]
	v_mov_b32_e32 v5, 0
	ds_read_b32 v5, v5 offset:12
	s_waitcnt lgkmcnt(0)
	v_mul_f32_e32 v5, v30, v5
.LBB27_438:
	s_or_b64 exec, exec, s[6:7]
	v_cmp_gt_u32_e32 vcc, 4, v0
	s_waitcnt vmcnt(24)
	ds_write_b32 v118, v6
	s_waitcnt lgkmcnt(0)
	; wave barrier
	s_and_saveexec_b64 s[8:9], vcc
	s_cbranch_execz .LBB27_448
; %bb.439:
	s_and_b64 vcc, exec, s[0:1]
	s_cbranch_vccnz .LBB27_441
; %bb.440:
	v_cmp_eq_u32_e32 vcc, 1, v0
	s_waitcnt vmcnt(3)
	v_cndmask_b32_e32 v30, v2, v3, vcc
	v_cmp_eq_u32_e32 vcc, 2, v0
	v_cndmask_b32_e32 v30, v30, v4, vcc
	v_cmp_eq_u32_e32 vcc, 3, v0
	v_cndmask_b32_e32 v30, v30, v5, vcc
	v_cmp_eq_u32_e32 vcc, 4, v0
	v_cndmask_b32_e32 v30, v30, v6, vcc
	v_cmp_eq_u32_e32 vcc, 5, v0
	v_cndmask_b32_e32 v30, v30, v7, vcc
	v_cmp_eq_u32_e32 vcc, 6, v0
	v_cndmask_b32_e32 v30, v30, v8, vcc
	v_cmp_eq_u32_e32 vcc, 7, v0
	v_cndmask_b32_e32 v30, v30, v9, vcc
	v_cmp_eq_u32_e32 vcc, 8, v0
	v_cndmask_b32_e32 v30, v30, v10, vcc
	v_cmp_eq_u32_e32 vcc, 9, v0
	v_cndmask_b32_e32 v30, v30, v11, vcc
	v_cmp_eq_u32_e32 vcc, 10, v0
	v_cndmask_b32_e32 v30, v30, v12, vcc
	v_cmp_eq_u32_e32 vcc, 11, v0
	v_cndmask_b32_e32 v30, v30, v13, vcc
	v_cmp_eq_u32_e32 vcc, 12, v0
	v_cndmask_b32_e32 v30, v30, v14, vcc
	v_cmp_eq_u32_e32 vcc, 13, v0
	v_cndmask_b32_e32 v30, v30, v15, vcc
	v_cmp_eq_u32_e32 vcc, 14, v0
	v_cndmask_b32_e32 v30, v30, v16, vcc
	v_cmp_eq_u32_e32 vcc, 15, v0
	v_cndmask_b32_e32 v30, v30, v17, vcc
	v_cmp_eq_u32_e32 vcc, 16, v0
	v_cndmask_b32_e32 v30, v30, v18, vcc
	v_cmp_eq_u32_e32 vcc, 17, v0
	v_cndmask_b32_e32 v30, v30, v19, vcc
	v_cmp_eq_u32_e32 vcc, 18, v0
	v_cndmask_b32_e32 v30, v30, v20, vcc
	v_cmp_eq_u32_e32 vcc, 19, v0
	v_cndmask_b32_e32 v30, v30, v21, vcc
	v_cmp_eq_u32_e32 vcc, 20, v0
	v_cndmask_b32_e32 v30, v30, v22, vcc
	v_cmp_eq_u32_e32 vcc, 21, v0
	v_cndmask_b32_e32 v30, v30, v23, vcc
	v_cmp_eq_u32_e32 vcc, 22, v0
	v_cndmask_b32_e32 v30, v30, v24, vcc
	v_cmp_eq_u32_e32 vcc, 23, v0
	v_cndmask_b32_e32 v30, v30, v25, vcc
	v_cmp_eq_u32_e32 vcc, 24, v0
	ds_read_b32 v31, v118
	v_cndmask_b32_e32 v30, v30, v26, vcc
	v_cmp_eq_u32_e32 vcc, 25, v0
	s_waitcnt vmcnt(2)
	v_cndmask_b32_e32 v30, v30, v27, vcc
	v_cmp_eq_u32_e32 vcc, 26, v0
	s_waitcnt vmcnt(1)
	;; [unrolled: 3-line block ×3, first 2 shown]
	v_cndmask_b32_e32 v30, v30, v29, vcc
	s_waitcnt lgkmcnt(0)
	v_mul_f32_e32 v33, v30, v31
	s_cbranch_execz .LBB27_442
	s_branch .LBB27_443
.LBB27_441:
                                        ; implicit-def: $vgpr33
.LBB27_442:
	ds_read_b32 v33, v118
.LBB27_443:
	v_cmp_ne_u32_e32 vcc, 3, v0
	s_and_saveexec_b64 s[10:11], vcc
	s_cbranch_execz .LBB27_447
; %bb.444:
	v_mov_b32_e32 v30, 0x74
	v_lshl_add_u32 v34, v0, 2, v30
	v_mov_b32_e32 v31, v1
	s_mov_b64 s[12:13], 0
	v_mov_b32_e32 v30, v0
.LBB27_445:                             ; =>This Inner Loop Header: Depth=1
	v_add_co_u32_e32 v30, vcc, 1, v30
	v_addc_co_u32_e32 v31, vcc, 0, v31, vcc
	v_cmp_eq_u32_e32 vcc, 1, v30
	s_waitcnt vmcnt(3)
	v_cndmask_b32_e32 v36, v2, v3, vcc
	v_cmp_lt_u32_e32 vcc, 2, v30
	v_cmp_eq_u32_e64 s[6:7], 2, v30
	v_cndmask_b32_e64 v36, v36, v4, s[6:7]
	s_or_b64 s[12:13], vcc, s[12:13]
	v_cmp_eq_u32_e32 vcc, 3, v30
	v_cndmask_b32_e32 v36, v36, v5, vcc
	v_cmp_eq_u32_e32 vcc, 4, v30
	v_cndmask_b32_e32 v36, v36, v6, vcc
	;; [unrolled: 2-line block ×20, first 2 shown]
	v_cmp_eq_u32_e32 vcc, 23, v30
	ds_read_b32 v35, v34
	v_cndmask_b32_e32 v36, v36, v25, vcc
	v_cmp_eq_u32_e32 vcc, 24, v30
	v_cndmask_b32_e32 v36, v36, v26, vcc
	v_cmp_eq_u32_e32 vcc, 25, v30
	s_waitcnt vmcnt(2)
	v_cndmask_b32_e32 v36, v36, v27, vcc
	v_cmp_eq_u32_e32 vcc, 26, v30
	s_waitcnt vmcnt(1)
	;; [unrolled: 3-line block ×3, first 2 shown]
	v_cndmask_b32_e32 v36, v36, v29, vcc
	v_add_u32_e32 v34, 4, v34
	s_waitcnt lgkmcnt(0)
	v_fmac_f32_e32 v33, v36, v35
	s_andn2_b64 exec, exec, s[12:13]
	s_cbranch_execnz .LBB27_445
; %bb.446:
	s_or_b64 exec, exec, s[12:13]
.LBB27_447:
	s_or_b64 exec, exec, s[10:11]
	v_mov_b32_e32 v6, 0
	ds_read_b32 v6, v6 offset:16
	s_waitcnt lgkmcnt(0)
	v_mul_f32_e32 v6, v33, v6
.LBB27_448:
	s_or_b64 exec, exec, s[8:9]
	v_cmp_gt_u32_e64 s[6:7], 5, v0
	s_waitcnt vmcnt(23)
	ds_write_b32 v118, v7
	s_waitcnt lgkmcnt(0)
	; wave barrier
	s_and_saveexec_b64 s[10:11], s[6:7]
	s_cbranch_execz .LBB27_458
; %bb.449:
	s_and_b64 vcc, exec, s[0:1]
	s_cbranch_vccnz .LBB27_451
; %bb.450:
	v_cmp_eq_u32_e32 vcc, 1, v0
	s_waitcnt vmcnt(3)
	v_cndmask_b32_e32 v30, v2, v3, vcc
	v_cmp_eq_u32_e32 vcc, 2, v0
	v_cndmask_b32_e32 v30, v30, v4, vcc
	v_cmp_eq_u32_e32 vcc, 3, v0
	;; [unrolled: 2-line block ×23, first 2 shown]
	ds_read_b32 v31, v118
	v_cndmask_b32_e32 v30, v30, v26, vcc
	v_cmp_eq_u32_e32 vcc, 25, v0
	s_waitcnt vmcnt(2)
	v_cndmask_b32_e32 v30, v30, v27, vcc
	v_cmp_eq_u32_e32 vcc, 26, v0
	s_waitcnt vmcnt(1)
	;; [unrolled: 3-line block ×3, first 2 shown]
	v_cndmask_b32_e32 v30, v30, v29, vcc
	s_waitcnt lgkmcnt(0)
	v_mul_f32_e32 v33, v30, v31
	s_cbranch_execz .LBB27_452
	s_branch .LBB27_453
.LBB27_451:
                                        ; implicit-def: $vgpr33
.LBB27_452:
	ds_read_b32 v33, v118
.LBB27_453:
	v_cmp_ne_u32_e32 vcc, 4, v0
	s_and_saveexec_b64 s[12:13], vcc
	s_cbranch_execz .LBB27_457
; %bb.454:
	v_mov_b32_e32 v30, 0x74
	v_lshl_add_u32 v34, v0, 2, v30
	v_mov_b32_e32 v31, v1
	s_mov_b64 s[14:15], 0
	v_mov_b32_e32 v30, v0
.LBB27_455:                             ; =>This Inner Loop Header: Depth=1
	v_add_co_u32_e32 v30, vcc, 1, v30
	v_addc_co_u32_e32 v31, vcc, 0, v31, vcc
	v_cmp_eq_u32_e32 vcc, 1, v30
	s_waitcnt vmcnt(3)
	v_cndmask_b32_e32 v36, v2, v3, vcc
	v_cmp_lt_u32_e32 vcc, 3, v30
	v_cmp_eq_u32_e64 s[8:9], 2, v30
	v_cndmask_b32_e64 v36, v36, v4, s[8:9]
	s_or_b64 s[14:15], vcc, s[14:15]
	v_cmp_eq_u32_e32 vcc, 3, v30
	v_cndmask_b32_e32 v36, v36, v5, vcc
	v_cmp_eq_u32_e32 vcc, 4, v30
	v_cndmask_b32_e32 v36, v36, v6, vcc
	;; [unrolled: 2-line block ×20, first 2 shown]
	v_cmp_eq_u32_e32 vcc, 23, v30
	ds_read_b32 v35, v34
	v_cndmask_b32_e32 v36, v36, v25, vcc
	v_cmp_eq_u32_e32 vcc, 24, v30
	v_cndmask_b32_e32 v36, v36, v26, vcc
	v_cmp_eq_u32_e32 vcc, 25, v30
	s_waitcnt vmcnt(2)
	v_cndmask_b32_e32 v36, v36, v27, vcc
	v_cmp_eq_u32_e32 vcc, 26, v30
	s_waitcnt vmcnt(1)
	;; [unrolled: 3-line block ×3, first 2 shown]
	v_cndmask_b32_e32 v36, v36, v29, vcc
	v_add_u32_e32 v34, 4, v34
	s_waitcnt lgkmcnt(0)
	v_fmac_f32_e32 v33, v36, v35
	s_andn2_b64 exec, exec, s[14:15]
	s_cbranch_execnz .LBB27_455
; %bb.456:
	s_or_b64 exec, exec, s[14:15]
.LBB27_457:
	s_or_b64 exec, exec, s[12:13]
	v_mov_b32_e32 v7, 0
	ds_read_b32 v7, v7 offset:20
	s_waitcnt lgkmcnt(0)
	v_mul_f32_e32 v7, v33, v7
.LBB27_458:
	s_or_b64 exec, exec, s[10:11]
	v_cmp_gt_u32_e32 vcc, 6, v0
	s_waitcnt vmcnt(22)
	ds_write_b32 v118, v8
	s_waitcnt lgkmcnt(0)
	; wave barrier
	s_and_saveexec_b64 s[10:11], vcc
	s_cbranch_execz .LBB27_468
; %bb.459:
	s_and_b64 vcc, exec, s[0:1]
	s_cbranch_vccnz .LBB27_461
; %bb.460:
	v_cmp_eq_u32_e32 vcc, 1, v0
	s_waitcnt vmcnt(3)
	v_cndmask_b32_e32 v30, v2, v3, vcc
	v_cmp_eq_u32_e32 vcc, 2, v0
	v_cndmask_b32_e32 v30, v30, v4, vcc
	v_cmp_eq_u32_e32 vcc, 3, v0
	;; [unrolled: 2-line block ×23, first 2 shown]
	ds_read_b32 v31, v118
	v_cndmask_b32_e32 v30, v30, v26, vcc
	v_cmp_eq_u32_e32 vcc, 25, v0
	s_waitcnt vmcnt(2)
	v_cndmask_b32_e32 v30, v30, v27, vcc
	v_cmp_eq_u32_e32 vcc, 26, v0
	s_waitcnt vmcnt(1)
	;; [unrolled: 3-line block ×3, first 2 shown]
	v_cndmask_b32_e32 v30, v30, v29, vcc
	s_waitcnt lgkmcnt(0)
	v_mul_f32_e32 v33, v30, v31
	s_cbranch_execz .LBB27_462
	s_branch .LBB27_463
.LBB27_461:
                                        ; implicit-def: $vgpr33
.LBB27_462:
	ds_read_b32 v33, v118
.LBB27_463:
	v_cmp_ne_u32_e32 vcc, 5, v0
	s_and_saveexec_b64 s[12:13], vcc
	s_cbranch_execz .LBB27_467
; %bb.464:
	v_mov_b32_e32 v30, 0x74
	v_lshl_add_u32 v34, v0, 2, v30
	v_mov_b32_e32 v31, v1
	s_mov_b64 s[14:15], 0
	v_mov_b32_e32 v30, v0
.LBB27_465:                             ; =>This Inner Loop Header: Depth=1
	v_add_co_u32_e32 v30, vcc, 1, v30
	v_addc_co_u32_e32 v31, vcc, 0, v31, vcc
	v_cmp_eq_u32_e32 vcc, 1, v30
	s_waitcnt vmcnt(3)
	v_cndmask_b32_e32 v36, v2, v3, vcc
	v_cmp_lt_u32_e32 vcc, 4, v30
	v_cmp_eq_u32_e64 s[8:9], 2, v30
	v_cndmask_b32_e64 v36, v36, v4, s[8:9]
	s_or_b64 s[14:15], vcc, s[14:15]
	v_cmp_eq_u32_e32 vcc, 3, v30
	v_cndmask_b32_e32 v36, v36, v5, vcc
	v_cmp_eq_u32_e32 vcc, 4, v30
	v_cndmask_b32_e32 v36, v36, v6, vcc
	;; [unrolled: 2-line block ×20, first 2 shown]
	v_cmp_eq_u32_e32 vcc, 23, v30
	ds_read_b32 v35, v34
	v_cndmask_b32_e32 v36, v36, v25, vcc
	v_cmp_eq_u32_e32 vcc, 24, v30
	v_cndmask_b32_e32 v36, v36, v26, vcc
	v_cmp_eq_u32_e32 vcc, 25, v30
	s_waitcnt vmcnt(2)
	v_cndmask_b32_e32 v36, v36, v27, vcc
	v_cmp_eq_u32_e32 vcc, 26, v30
	s_waitcnt vmcnt(1)
	v_cndmask_b32_e32 v36, v36, v28, vcc
	v_cmp_eq_u32_e32 vcc, 27, v30
	s_waitcnt vmcnt(0)
	v_cndmask_b32_e32 v36, v36, v29, vcc
	v_add_u32_e32 v34, 4, v34
	s_waitcnt lgkmcnt(0)
	v_fmac_f32_e32 v33, v36, v35
	s_andn2_b64 exec, exec, s[14:15]
	s_cbranch_execnz .LBB27_465
; %bb.466:
	s_or_b64 exec, exec, s[14:15]
.LBB27_467:
	s_or_b64 exec, exec, s[12:13]
	v_mov_b32_e32 v8, 0
	ds_read_b32 v8, v8 offset:24
	s_waitcnt lgkmcnt(0)
	v_mul_f32_e32 v8, v33, v8
.LBB27_468:
	s_or_b64 exec, exec, s[10:11]
	v_cmp_gt_u32_e64 s[8:9], 7, v0
	s_waitcnt vmcnt(21)
	ds_write_b32 v118, v9
	s_waitcnt lgkmcnt(0)
	; wave barrier
	s_and_saveexec_b64 s[12:13], s[8:9]
	s_cbranch_execz .LBB27_478
; %bb.469:
	s_and_b64 vcc, exec, s[0:1]
	s_cbranch_vccnz .LBB27_471
; %bb.470:
	v_cmp_eq_u32_e32 vcc, 1, v0
	s_waitcnt vmcnt(3)
	v_cndmask_b32_e32 v30, v2, v3, vcc
	v_cmp_eq_u32_e32 vcc, 2, v0
	v_cndmask_b32_e32 v30, v30, v4, vcc
	v_cmp_eq_u32_e32 vcc, 3, v0
	v_cndmask_b32_e32 v30, v30, v5, vcc
	v_cmp_eq_u32_e32 vcc, 4, v0
	v_cndmask_b32_e32 v30, v30, v6, vcc
	v_cmp_eq_u32_e32 vcc, 5, v0
	v_cndmask_b32_e32 v30, v30, v7, vcc
	v_cmp_eq_u32_e32 vcc, 6, v0
	v_cndmask_b32_e32 v30, v30, v8, vcc
	v_cmp_eq_u32_e32 vcc, 7, v0
	v_cndmask_b32_e32 v30, v30, v9, vcc
	v_cmp_eq_u32_e32 vcc, 8, v0
	v_cndmask_b32_e32 v30, v30, v10, vcc
	v_cmp_eq_u32_e32 vcc, 9, v0
	v_cndmask_b32_e32 v30, v30, v11, vcc
	v_cmp_eq_u32_e32 vcc, 10, v0
	v_cndmask_b32_e32 v30, v30, v12, vcc
	v_cmp_eq_u32_e32 vcc, 11, v0
	v_cndmask_b32_e32 v30, v30, v13, vcc
	v_cmp_eq_u32_e32 vcc, 12, v0
	v_cndmask_b32_e32 v30, v30, v14, vcc
	v_cmp_eq_u32_e32 vcc, 13, v0
	v_cndmask_b32_e32 v30, v30, v15, vcc
	v_cmp_eq_u32_e32 vcc, 14, v0
	v_cndmask_b32_e32 v30, v30, v16, vcc
	v_cmp_eq_u32_e32 vcc, 15, v0
	v_cndmask_b32_e32 v30, v30, v17, vcc
	v_cmp_eq_u32_e32 vcc, 16, v0
	v_cndmask_b32_e32 v30, v30, v18, vcc
	v_cmp_eq_u32_e32 vcc, 17, v0
	v_cndmask_b32_e32 v30, v30, v19, vcc
	v_cmp_eq_u32_e32 vcc, 18, v0
	v_cndmask_b32_e32 v30, v30, v20, vcc
	v_cmp_eq_u32_e32 vcc, 19, v0
	v_cndmask_b32_e32 v30, v30, v21, vcc
	v_cmp_eq_u32_e32 vcc, 20, v0
	v_cndmask_b32_e32 v30, v30, v22, vcc
	v_cmp_eq_u32_e32 vcc, 21, v0
	v_cndmask_b32_e32 v30, v30, v23, vcc
	v_cmp_eq_u32_e32 vcc, 22, v0
	v_cndmask_b32_e32 v30, v30, v24, vcc
	v_cmp_eq_u32_e32 vcc, 23, v0
	v_cndmask_b32_e32 v30, v30, v25, vcc
	v_cmp_eq_u32_e32 vcc, 24, v0
	ds_read_b32 v31, v118
	v_cndmask_b32_e32 v30, v30, v26, vcc
	v_cmp_eq_u32_e32 vcc, 25, v0
	s_waitcnt vmcnt(2)
	v_cndmask_b32_e32 v30, v30, v27, vcc
	v_cmp_eq_u32_e32 vcc, 26, v0
	s_waitcnt vmcnt(1)
	;; [unrolled: 3-line block ×3, first 2 shown]
	v_cndmask_b32_e32 v30, v30, v29, vcc
	s_waitcnt lgkmcnt(0)
	v_mul_f32_e32 v33, v30, v31
	s_cbranch_execz .LBB27_472
	s_branch .LBB27_473
.LBB27_471:
                                        ; implicit-def: $vgpr33
.LBB27_472:
	ds_read_b32 v33, v118
.LBB27_473:
	v_cmp_ne_u32_e32 vcc, 6, v0
	s_and_saveexec_b64 s[14:15], vcc
	s_cbranch_execz .LBB27_477
; %bb.474:
	v_mov_b32_e32 v30, 0x74
	v_lshl_add_u32 v34, v0, 2, v30
	v_mov_b32_e32 v31, v1
	s_mov_b64 s[16:17], 0
	v_mov_b32_e32 v30, v0
.LBB27_475:                             ; =>This Inner Loop Header: Depth=1
	v_add_co_u32_e32 v30, vcc, 1, v30
	v_addc_co_u32_e32 v31, vcc, 0, v31, vcc
	v_cmp_eq_u32_e32 vcc, 1, v30
	s_waitcnt vmcnt(3)
	v_cndmask_b32_e32 v36, v2, v3, vcc
	v_cmp_lt_u32_e32 vcc, 5, v30
	v_cmp_eq_u32_e64 s[10:11], 2, v30
	v_cndmask_b32_e64 v36, v36, v4, s[10:11]
	s_or_b64 s[16:17], vcc, s[16:17]
	v_cmp_eq_u32_e32 vcc, 3, v30
	v_cndmask_b32_e32 v36, v36, v5, vcc
	v_cmp_eq_u32_e32 vcc, 4, v30
	v_cndmask_b32_e32 v36, v36, v6, vcc
	v_cmp_eq_u32_e32 vcc, 5, v30
	v_cndmask_b32_e32 v36, v36, v7, vcc
	v_cmp_eq_u32_e32 vcc, 6, v30
	v_cndmask_b32_e32 v36, v36, v8, vcc
	v_cmp_eq_u32_e32 vcc, 7, v30
	v_cndmask_b32_e32 v36, v36, v9, vcc
	v_cmp_eq_u32_e32 vcc, 8, v30
	v_cndmask_b32_e32 v36, v36, v10, vcc
	v_cmp_eq_u32_e32 vcc, 9, v30
	v_cndmask_b32_e32 v36, v36, v11, vcc
	v_cmp_eq_u32_e32 vcc, 10, v30
	v_cndmask_b32_e32 v36, v36, v12, vcc
	v_cmp_eq_u32_e32 vcc, 11, v30
	v_cndmask_b32_e32 v36, v36, v13, vcc
	v_cmp_eq_u32_e32 vcc, 12, v30
	v_cndmask_b32_e32 v36, v36, v14, vcc
	v_cmp_eq_u32_e32 vcc, 13, v30
	v_cndmask_b32_e32 v36, v36, v15, vcc
	v_cmp_eq_u32_e32 vcc, 14, v30
	v_cndmask_b32_e32 v36, v36, v16, vcc
	v_cmp_eq_u32_e32 vcc, 15, v30
	v_cndmask_b32_e32 v36, v36, v17, vcc
	v_cmp_eq_u32_e32 vcc, 16, v30
	v_cndmask_b32_e32 v36, v36, v18, vcc
	v_cmp_eq_u32_e32 vcc, 17, v30
	v_cndmask_b32_e32 v36, v36, v19, vcc
	v_cmp_eq_u32_e32 vcc, 18, v30
	v_cndmask_b32_e32 v36, v36, v20, vcc
	v_cmp_eq_u32_e32 vcc, 19, v30
	v_cndmask_b32_e32 v36, v36, v21, vcc
	v_cmp_eq_u32_e32 vcc, 20, v30
	v_cndmask_b32_e32 v36, v36, v22, vcc
	v_cmp_eq_u32_e32 vcc, 21, v30
	v_cndmask_b32_e32 v36, v36, v23, vcc
	v_cmp_eq_u32_e32 vcc, 22, v30
	v_cndmask_b32_e32 v36, v36, v24, vcc
	v_cmp_eq_u32_e32 vcc, 23, v30
	ds_read_b32 v35, v34
	v_cndmask_b32_e32 v36, v36, v25, vcc
	v_cmp_eq_u32_e32 vcc, 24, v30
	v_cndmask_b32_e32 v36, v36, v26, vcc
	v_cmp_eq_u32_e32 vcc, 25, v30
	s_waitcnt vmcnt(2)
	v_cndmask_b32_e32 v36, v36, v27, vcc
	v_cmp_eq_u32_e32 vcc, 26, v30
	s_waitcnt vmcnt(1)
	;; [unrolled: 3-line block ×3, first 2 shown]
	v_cndmask_b32_e32 v36, v36, v29, vcc
	v_add_u32_e32 v34, 4, v34
	s_waitcnt lgkmcnt(0)
	v_fmac_f32_e32 v33, v36, v35
	s_andn2_b64 exec, exec, s[16:17]
	s_cbranch_execnz .LBB27_475
; %bb.476:
	s_or_b64 exec, exec, s[16:17]
.LBB27_477:
	s_or_b64 exec, exec, s[14:15]
	v_mov_b32_e32 v9, 0
	ds_read_b32 v9, v9 offset:28
	s_waitcnt lgkmcnt(0)
	v_mul_f32_e32 v9, v33, v9
.LBB27_478:
	s_or_b64 exec, exec, s[12:13]
	v_cmp_gt_u32_e32 vcc, 8, v0
	s_waitcnt vmcnt(20)
	ds_write_b32 v118, v10
	s_waitcnt lgkmcnt(0)
	; wave barrier
	s_and_saveexec_b64 s[12:13], vcc
	s_cbranch_execz .LBB27_488
; %bb.479:
	s_and_b64 vcc, exec, s[0:1]
	s_cbranch_vccnz .LBB27_481
; %bb.480:
	v_cmp_eq_u32_e32 vcc, 1, v0
	s_waitcnt vmcnt(3)
	v_cndmask_b32_e32 v30, v2, v3, vcc
	v_cmp_eq_u32_e32 vcc, 2, v0
	v_cndmask_b32_e32 v30, v30, v4, vcc
	v_cmp_eq_u32_e32 vcc, 3, v0
	;; [unrolled: 2-line block ×23, first 2 shown]
	ds_read_b32 v31, v118
	v_cndmask_b32_e32 v30, v30, v26, vcc
	v_cmp_eq_u32_e32 vcc, 25, v0
	s_waitcnt vmcnt(2)
	v_cndmask_b32_e32 v30, v30, v27, vcc
	v_cmp_eq_u32_e32 vcc, 26, v0
	s_waitcnt vmcnt(1)
	;; [unrolled: 3-line block ×3, first 2 shown]
	v_cndmask_b32_e32 v30, v30, v29, vcc
	s_waitcnt lgkmcnt(0)
	v_mul_f32_e32 v33, v30, v31
	s_cbranch_execz .LBB27_482
	s_branch .LBB27_483
.LBB27_481:
                                        ; implicit-def: $vgpr33
.LBB27_482:
	ds_read_b32 v33, v118
.LBB27_483:
	v_cmp_ne_u32_e32 vcc, 7, v0
	s_and_saveexec_b64 s[14:15], vcc
	s_cbranch_execz .LBB27_487
; %bb.484:
	v_mov_b32_e32 v30, 0x74
	v_lshl_add_u32 v34, v0, 2, v30
	v_mov_b32_e32 v31, v1
	s_mov_b64 s[16:17], 0
	v_mov_b32_e32 v30, v0
.LBB27_485:                             ; =>This Inner Loop Header: Depth=1
	v_add_co_u32_e32 v30, vcc, 1, v30
	v_addc_co_u32_e32 v31, vcc, 0, v31, vcc
	v_cmp_eq_u32_e32 vcc, 1, v30
	s_waitcnt vmcnt(3)
	v_cndmask_b32_e32 v36, v2, v3, vcc
	v_cmp_lt_u32_e32 vcc, 6, v30
	v_cmp_eq_u32_e64 s[10:11], 2, v30
	v_cndmask_b32_e64 v36, v36, v4, s[10:11]
	s_or_b64 s[16:17], vcc, s[16:17]
	v_cmp_eq_u32_e32 vcc, 3, v30
	v_cndmask_b32_e32 v36, v36, v5, vcc
	v_cmp_eq_u32_e32 vcc, 4, v30
	v_cndmask_b32_e32 v36, v36, v6, vcc
	v_cmp_eq_u32_e32 vcc, 5, v30
	v_cndmask_b32_e32 v36, v36, v7, vcc
	v_cmp_eq_u32_e32 vcc, 6, v30
	v_cndmask_b32_e32 v36, v36, v8, vcc
	v_cmp_eq_u32_e32 vcc, 7, v30
	v_cndmask_b32_e32 v36, v36, v9, vcc
	v_cmp_eq_u32_e32 vcc, 8, v30
	v_cndmask_b32_e32 v36, v36, v10, vcc
	v_cmp_eq_u32_e32 vcc, 9, v30
	v_cndmask_b32_e32 v36, v36, v11, vcc
	v_cmp_eq_u32_e32 vcc, 10, v30
	v_cndmask_b32_e32 v36, v36, v12, vcc
	v_cmp_eq_u32_e32 vcc, 11, v30
	v_cndmask_b32_e32 v36, v36, v13, vcc
	v_cmp_eq_u32_e32 vcc, 12, v30
	v_cndmask_b32_e32 v36, v36, v14, vcc
	v_cmp_eq_u32_e32 vcc, 13, v30
	v_cndmask_b32_e32 v36, v36, v15, vcc
	v_cmp_eq_u32_e32 vcc, 14, v30
	v_cndmask_b32_e32 v36, v36, v16, vcc
	v_cmp_eq_u32_e32 vcc, 15, v30
	v_cndmask_b32_e32 v36, v36, v17, vcc
	v_cmp_eq_u32_e32 vcc, 16, v30
	v_cndmask_b32_e32 v36, v36, v18, vcc
	v_cmp_eq_u32_e32 vcc, 17, v30
	v_cndmask_b32_e32 v36, v36, v19, vcc
	v_cmp_eq_u32_e32 vcc, 18, v30
	v_cndmask_b32_e32 v36, v36, v20, vcc
	v_cmp_eq_u32_e32 vcc, 19, v30
	v_cndmask_b32_e32 v36, v36, v21, vcc
	v_cmp_eq_u32_e32 vcc, 20, v30
	v_cndmask_b32_e32 v36, v36, v22, vcc
	v_cmp_eq_u32_e32 vcc, 21, v30
	v_cndmask_b32_e32 v36, v36, v23, vcc
	v_cmp_eq_u32_e32 vcc, 22, v30
	v_cndmask_b32_e32 v36, v36, v24, vcc
	v_cmp_eq_u32_e32 vcc, 23, v30
	ds_read_b32 v35, v34
	v_cndmask_b32_e32 v36, v36, v25, vcc
	v_cmp_eq_u32_e32 vcc, 24, v30
	v_cndmask_b32_e32 v36, v36, v26, vcc
	v_cmp_eq_u32_e32 vcc, 25, v30
	s_waitcnt vmcnt(2)
	v_cndmask_b32_e32 v36, v36, v27, vcc
	v_cmp_eq_u32_e32 vcc, 26, v30
	s_waitcnt vmcnt(1)
	;; [unrolled: 3-line block ×3, first 2 shown]
	v_cndmask_b32_e32 v36, v36, v29, vcc
	v_add_u32_e32 v34, 4, v34
	s_waitcnt lgkmcnt(0)
	v_fmac_f32_e32 v33, v36, v35
	s_andn2_b64 exec, exec, s[16:17]
	s_cbranch_execnz .LBB27_485
; %bb.486:
	s_or_b64 exec, exec, s[16:17]
.LBB27_487:
	s_or_b64 exec, exec, s[14:15]
	v_mov_b32_e32 v10, 0
	ds_read_b32 v10, v10 offset:32
	s_waitcnt lgkmcnt(0)
	v_mul_f32_e32 v10, v33, v10
.LBB27_488:
	s_or_b64 exec, exec, s[12:13]
	v_cmp_gt_u32_e32 vcc, 9, v0
	s_waitcnt vmcnt(19)
	ds_write_b32 v118, v11
	s_waitcnt lgkmcnt(0)
	; wave barrier
	s_and_saveexec_b64 s[10:11], vcc
	s_cbranch_execz .LBB27_510
; %bb.489:
	s_and_b64 vcc, exec, s[0:1]
	s_cbranch_vccnz .LBB27_491
; %bb.490:
	v_cmp_eq_u32_e32 vcc, 1, v0
	s_waitcnt vmcnt(3)
	v_cndmask_b32_e32 v30, v2, v3, vcc
	v_cmp_eq_u32_e32 vcc, 2, v0
	v_cndmask_b32_e32 v30, v30, v4, vcc
	v_cmp_eq_u32_e32 vcc, 3, v0
	;; [unrolled: 2-line block ×23, first 2 shown]
	ds_read_b32 v31, v118
	v_cndmask_b32_e32 v30, v30, v26, vcc
	v_cmp_eq_u32_e32 vcc, 25, v0
	s_waitcnt vmcnt(2)
	v_cndmask_b32_e32 v30, v30, v27, vcc
	v_cmp_eq_u32_e32 vcc, 26, v0
	s_waitcnt vmcnt(1)
	;; [unrolled: 3-line block ×3, first 2 shown]
	v_cndmask_b32_e32 v30, v30, v29, vcc
	s_waitcnt lgkmcnt(0)
	v_mul_f32_e32 v30, v30, v31
	s_cbranch_execz .LBB27_492
	s_branch .LBB27_493
.LBB27_491:
                                        ; implicit-def: $vgpr30
.LBB27_492:
	ds_read_b32 v30, v118
.LBB27_493:
	v_cmp_ne_u32_e32 vcc, 8, v0
	s_and_saveexec_b64 s[12:13], vcc
	s_cbranch_execz .LBB27_509
; %bb.494:
	v_cmp_eq_u32_e32 vcc, 1, v32
	s_waitcnt vmcnt(3)
	v_cndmask_b32_e32 v31, v2, v3, vcc
	v_cmp_eq_u32_e32 vcc, 2, v32
	v_cndmask_b32_e32 v31, v31, v4, vcc
	v_cmp_eq_u32_e32 vcc, 3, v32
	;; [unrolled: 2-line block ×23, first 2 shown]
	ds_read_b32 v33, v118 offset:4
	v_cndmask_b32_e32 v31, v31, v26, vcc
	v_cmp_eq_u32_e32 vcc, 25, v32
	s_waitcnt vmcnt(2)
	v_cndmask_b32_e32 v31, v31, v27, vcc
	v_cmp_eq_u32_e32 vcc, 26, v32
	s_waitcnt vmcnt(1)
	;; [unrolled: 3-line block ×3, first 2 shown]
	v_cndmask_b32_e32 v31, v31, v29, vcc
	s_waitcnt lgkmcnt(0)
	v_fmac_f32_e32 v30, v31, v33
	s_and_saveexec_b64 s[14:15], s[8:9]
	s_cbranch_execz .LBB27_508
; %bb.495:
	v_add_u32_e32 v31, 2, v0
	v_cmp_eq_u32_e32 vcc, 1, v31
	v_cndmask_b32_e32 v32, v2, v3, vcc
	v_cmp_eq_u32_e32 vcc, 2, v31
	v_cndmask_b32_e32 v32, v32, v4, vcc
	;; [unrolled: 2-line block ×23, first 2 shown]
	v_cmp_eq_u32_e32 vcc, 24, v31
	ds_read_b32 v33, v118 offset:8
	v_cndmask_b32_e32 v32, v32, v26, vcc
	v_cmp_eq_u32_e32 vcc, 25, v31
	v_cndmask_b32_e32 v32, v32, v27, vcc
	v_cmp_eq_u32_e32 vcc, 26, v31
	;; [unrolled: 2-line block ×3, first 2 shown]
	v_cndmask_b32_e32 v31, v32, v29, vcc
	s_waitcnt lgkmcnt(0)
	v_fmac_f32_e32 v30, v31, v33
	v_cmp_ne_u32_e32 vcc, 6, v0
	s_and_saveexec_b64 s[8:9], vcc
	s_cbranch_execz .LBB27_507
; %bb.496:
	v_add_u32_e32 v31, 3, v0
	v_cmp_eq_u32_e32 vcc, 1, v31
	v_cndmask_b32_e32 v32, v2, v3, vcc
	v_cmp_eq_u32_e32 vcc, 2, v31
	v_cndmask_b32_e32 v32, v32, v4, vcc
	v_cmp_eq_u32_e32 vcc, 3, v31
	v_cndmask_b32_e32 v32, v32, v5, vcc
	v_cmp_eq_u32_e32 vcc, 4, v31
	v_cndmask_b32_e32 v32, v32, v6, vcc
	v_cmp_eq_u32_e32 vcc, 5, v31
	v_cndmask_b32_e32 v32, v32, v7, vcc
	v_cmp_eq_u32_e32 vcc, 6, v31
	v_cndmask_b32_e32 v32, v32, v8, vcc
	v_cmp_eq_u32_e32 vcc, 7, v31
	v_cndmask_b32_e32 v32, v32, v9, vcc
	v_cmp_eq_u32_e32 vcc, 8, v31
	v_cndmask_b32_e32 v32, v32, v10, vcc
	v_cmp_eq_u32_e32 vcc, 9, v31
	v_cndmask_b32_e32 v32, v32, v11, vcc
	v_cmp_eq_u32_e32 vcc, 10, v31
	v_cndmask_b32_e32 v32, v32, v12, vcc
	v_cmp_eq_u32_e32 vcc, 11, v31
	v_cndmask_b32_e32 v32, v32, v13, vcc
	v_cmp_eq_u32_e32 vcc, 12, v31
	v_cndmask_b32_e32 v32, v32, v14, vcc
	v_cmp_eq_u32_e32 vcc, 13, v31
	v_cndmask_b32_e32 v32, v32, v15, vcc
	v_cmp_eq_u32_e32 vcc, 14, v31
	v_cndmask_b32_e32 v32, v32, v16, vcc
	v_cmp_eq_u32_e32 vcc, 15, v31
	v_cndmask_b32_e32 v32, v32, v17, vcc
	v_cmp_eq_u32_e32 vcc, 16, v31
	v_cndmask_b32_e32 v32, v32, v18, vcc
	v_cmp_eq_u32_e32 vcc, 17, v31
	v_cndmask_b32_e32 v32, v32, v19, vcc
	v_cmp_eq_u32_e32 vcc, 18, v31
	v_cndmask_b32_e32 v32, v32, v20, vcc
	v_cmp_eq_u32_e32 vcc, 19, v31
	v_cndmask_b32_e32 v32, v32, v21, vcc
	v_cmp_eq_u32_e32 vcc, 20, v31
	v_cndmask_b32_e32 v32, v32, v22, vcc
	v_cmp_eq_u32_e32 vcc, 21, v31
	v_cndmask_b32_e32 v32, v32, v23, vcc
	v_cmp_eq_u32_e32 vcc, 22, v31
	v_cndmask_b32_e32 v32, v32, v24, vcc
	v_cmp_eq_u32_e32 vcc, 23, v31
	v_cndmask_b32_e32 v32, v32, v25, vcc
	v_cmp_eq_u32_e32 vcc, 24, v31
	ds_read_b32 v33, v118 offset:12
	v_cndmask_b32_e32 v32, v32, v26, vcc
	v_cmp_eq_u32_e32 vcc, 25, v31
	v_cndmask_b32_e32 v32, v32, v27, vcc
	v_cmp_eq_u32_e32 vcc, 26, v31
	;; [unrolled: 2-line block ×3, first 2 shown]
	v_cndmask_b32_e32 v31, v32, v29, vcc
	s_waitcnt lgkmcnt(0)
	v_fmac_f32_e32 v30, v31, v33
	s_and_saveexec_b64 s[16:17], s[6:7]
	s_cbranch_execz .LBB27_506
; %bb.497:
	v_add_u32_e32 v31, 4, v0
	v_cmp_eq_u32_e32 vcc, 1, v31
	v_cndmask_b32_e32 v32, v2, v3, vcc
	v_cmp_eq_u32_e32 vcc, 2, v31
	v_cndmask_b32_e32 v32, v32, v4, vcc
	;; [unrolled: 2-line block ×23, first 2 shown]
	v_cmp_eq_u32_e32 vcc, 24, v31
	ds_read_b32 v33, v118 offset:16
	v_cndmask_b32_e32 v32, v32, v26, vcc
	v_cmp_eq_u32_e32 vcc, 25, v31
	v_cndmask_b32_e32 v32, v32, v27, vcc
	v_cmp_eq_u32_e32 vcc, 26, v31
	;; [unrolled: 2-line block ×3, first 2 shown]
	v_cndmask_b32_e32 v31, v32, v29, vcc
	s_waitcnt lgkmcnt(0)
	v_fmac_f32_e32 v30, v31, v33
	v_cmp_ne_u32_e32 vcc, 4, v0
	s_and_saveexec_b64 s[6:7], vcc
	s_cbranch_execz .LBB27_505
; %bb.498:
	v_add_u32_e32 v31, 5, v0
	v_cmp_eq_u32_e32 vcc, 1, v31
	v_cndmask_b32_e32 v32, v2, v3, vcc
	v_cmp_eq_u32_e32 vcc, 2, v31
	v_cndmask_b32_e32 v32, v32, v4, vcc
	;; [unrolled: 2-line block ×23, first 2 shown]
	v_cmp_eq_u32_e32 vcc, 24, v31
	ds_read_b32 v33, v118 offset:20
	v_cndmask_b32_e32 v32, v32, v26, vcc
	v_cmp_eq_u32_e32 vcc, 25, v31
	v_cndmask_b32_e32 v32, v32, v27, vcc
	v_cmp_eq_u32_e32 vcc, 26, v31
	;; [unrolled: 2-line block ×3, first 2 shown]
	v_cndmask_b32_e32 v31, v32, v29, vcc
	s_waitcnt lgkmcnt(0)
	v_fmac_f32_e32 v30, v31, v33
	s_and_saveexec_b64 s[18:19], s[4:5]
	s_cbranch_execz .LBB27_504
; %bb.499:
	v_add_u32_e32 v31, 6, v0
	v_cmp_eq_u32_e32 vcc, 1, v31
	v_cndmask_b32_e32 v32, v2, v3, vcc
	v_cmp_eq_u32_e32 vcc, 2, v31
	v_cndmask_b32_e32 v32, v32, v4, vcc
	;; [unrolled: 2-line block ×23, first 2 shown]
	v_cmp_eq_u32_e32 vcc, 24, v31
	ds_read_b32 v33, v118 offset:24
	v_cndmask_b32_e32 v32, v32, v26, vcc
	v_cmp_eq_u32_e32 vcc, 25, v31
	v_cndmask_b32_e32 v32, v32, v27, vcc
	v_cmp_eq_u32_e32 vcc, 26, v31
	;; [unrolled: 2-line block ×3, first 2 shown]
	v_cndmask_b32_e32 v31, v32, v29, vcc
	s_waitcnt lgkmcnt(0)
	v_fmac_f32_e32 v30, v31, v33
	v_cmp_ne_u32_e32 vcc, 2, v0
	s_and_saveexec_b64 s[4:5], vcc
	s_cbranch_execz .LBB27_503
; %bb.500:
	v_add_u32_e32 v31, 7, v0
	v_cmp_eq_u32_e32 vcc, 1, v31
	v_cndmask_b32_e32 v32, v2, v3, vcc
	v_cmp_eq_u32_e32 vcc, 2, v31
	v_cndmask_b32_e32 v32, v32, v4, vcc
	;; [unrolled: 2-line block ×23, first 2 shown]
	v_cmp_eq_u32_e32 vcc, 24, v31
	ds_read_b32 v32, v118 offset:28
	v_cndmask_b32_e32 v11, v11, v26, vcc
	v_cmp_eq_u32_e32 vcc, 25, v31
	v_cndmask_b32_e32 v11, v11, v27, vcc
	v_cmp_eq_u32_e32 vcc, 26, v31
	;; [unrolled: 2-line block ×3, first 2 shown]
	v_cndmask_b32_e32 v11, v11, v29, vcc
	s_waitcnt lgkmcnt(0)
	v_fmac_f32_e32 v30, v11, v32
	s_and_saveexec_b64 s[20:21], s[2:3]
	s_cbranch_execz .LBB27_502
; %bb.501:
	ds_read_b32 v11, v118 offset:32
	s_waitcnt lgkmcnt(0)
	v_fmac_f32_e32 v30, v10, v11
.LBB27_502:
	s_or_b64 exec, exec, s[20:21]
.LBB27_503:
	s_or_b64 exec, exec, s[4:5]
.LBB27_504:
	s_or_b64 exec, exec, s[18:19]
.LBB27_505:
	s_or_b64 exec, exec, s[6:7]
.LBB27_506:
	s_or_b64 exec, exec, s[16:17]
.LBB27_507:
	s_or_b64 exec, exec, s[8:9]
.LBB27_508:
	s_or_b64 exec, exec, s[14:15]
.LBB27_509:
	s_or_b64 exec, exec, s[12:13]
	v_mov_b32_e32 v11, 0
	ds_read_b32 v11, v11 offset:36
	s_waitcnt lgkmcnt(0)
	v_mul_f32_e32 v11, v30, v11
.LBB27_510:
	s_or_b64 exec, exec, s[10:11]
	v_cmp_gt_u32_e32 vcc, 10, v0
	s_waitcnt vmcnt(18)
	ds_write_b32 v118, v12
	s_waitcnt lgkmcnt(0)
	; wave barrier
	s_and_saveexec_b64 s[4:5], vcc
	s_cbranch_execz .LBB27_520
; %bb.511:
	s_and_b64 vcc, exec, s[0:1]
	s_cbranch_vccnz .LBB27_513
; %bb.512:
	v_cmp_eq_u32_e32 vcc, 1, v0
	s_waitcnt vmcnt(3)
	v_cndmask_b32_e32 v30, v2, v3, vcc
	v_cmp_eq_u32_e32 vcc, 2, v0
	v_cndmask_b32_e32 v30, v30, v4, vcc
	v_cmp_eq_u32_e32 vcc, 3, v0
	;; [unrolled: 2-line block ×23, first 2 shown]
	ds_read_b32 v31, v118
	v_cndmask_b32_e32 v30, v30, v26, vcc
	v_cmp_eq_u32_e32 vcc, 25, v0
	s_waitcnt vmcnt(2)
	v_cndmask_b32_e32 v30, v30, v27, vcc
	v_cmp_eq_u32_e32 vcc, 26, v0
	s_waitcnt vmcnt(1)
	;; [unrolled: 3-line block ×3, first 2 shown]
	v_cndmask_b32_e32 v30, v30, v29, vcc
	s_waitcnt lgkmcnt(0)
	v_mul_f32_e32 v32, v30, v31
	s_cbranch_execz .LBB27_514
	s_branch .LBB27_515
.LBB27_513:
                                        ; implicit-def: $vgpr32
.LBB27_514:
	ds_read_b32 v32, v118
.LBB27_515:
	v_cmp_ne_u32_e32 vcc, 9, v0
	s_and_saveexec_b64 s[6:7], vcc
	s_cbranch_execz .LBB27_519
; %bb.516:
	v_mov_b32_e32 v30, 0x74
	v_lshl_add_u32 v33, v0, 2, v30
	v_mov_b32_e32 v31, v1
	s_mov_b64 s[8:9], 0
	v_mov_b32_e32 v30, v0
.LBB27_517:                             ; =>This Inner Loop Header: Depth=1
	v_add_co_u32_e32 v30, vcc, 1, v30
	v_addc_co_u32_e32 v31, vcc, 0, v31, vcc
	v_cmp_eq_u32_e32 vcc, 1, v30
	s_waitcnt vmcnt(3)
	v_cndmask_b32_e32 v35, v2, v3, vcc
	v_cmp_lt_u32_e32 vcc, 8, v30
	v_cmp_eq_u32_e64 s[2:3], 2, v30
	v_cndmask_b32_e64 v35, v35, v4, s[2:3]
	s_or_b64 s[8:9], vcc, s[8:9]
	v_cmp_eq_u32_e32 vcc, 3, v30
	v_cndmask_b32_e32 v35, v35, v5, vcc
	v_cmp_eq_u32_e32 vcc, 4, v30
	v_cndmask_b32_e32 v35, v35, v6, vcc
	;; [unrolled: 2-line block ×20, first 2 shown]
	v_cmp_eq_u32_e32 vcc, 23, v30
	ds_read_b32 v34, v33
	v_cndmask_b32_e32 v35, v35, v25, vcc
	v_cmp_eq_u32_e32 vcc, 24, v30
	v_cndmask_b32_e32 v35, v35, v26, vcc
	v_cmp_eq_u32_e32 vcc, 25, v30
	s_waitcnt vmcnt(2)
	v_cndmask_b32_e32 v35, v35, v27, vcc
	v_cmp_eq_u32_e32 vcc, 26, v30
	s_waitcnt vmcnt(1)
	;; [unrolled: 3-line block ×3, first 2 shown]
	v_cndmask_b32_e32 v35, v35, v29, vcc
	v_add_u32_e32 v33, 4, v33
	s_waitcnt lgkmcnt(0)
	v_fmac_f32_e32 v32, v35, v34
	s_andn2_b64 exec, exec, s[8:9]
	s_cbranch_execnz .LBB27_517
; %bb.518:
	s_or_b64 exec, exec, s[8:9]
.LBB27_519:
	s_or_b64 exec, exec, s[6:7]
	v_mov_b32_e32 v12, 0
	ds_read_b32 v12, v12 offset:40
	s_waitcnt lgkmcnt(0)
	v_mul_f32_e32 v12, v32, v12
.LBB27_520:
	s_or_b64 exec, exec, s[4:5]
	v_cmp_gt_u32_e32 vcc, 11, v0
	s_waitcnt vmcnt(17)
	ds_write_b32 v118, v13
	s_waitcnt lgkmcnt(0)
	; wave barrier
	s_and_saveexec_b64 s[4:5], vcc
	s_cbranch_execz .LBB27_530
; %bb.521:
	s_and_b64 vcc, exec, s[0:1]
	s_cbranch_vccnz .LBB27_523
; %bb.522:
	v_cmp_eq_u32_e32 vcc, 1, v0
	s_waitcnt vmcnt(3)
	v_cndmask_b32_e32 v30, v2, v3, vcc
	v_cmp_eq_u32_e32 vcc, 2, v0
	v_cndmask_b32_e32 v30, v30, v4, vcc
	v_cmp_eq_u32_e32 vcc, 3, v0
	;; [unrolled: 2-line block ×23, first 2 shown]
	ds_read_b32 v31, v118
	v_cndmask_b32_e32 v30, v30, v26, vcc
	v_cmp_eq_u32_e32 vcc, 25, v0
	s_waitcnt vmcnt(2)
	v_cndmask_b32_e32 v30, v30, v27, vcc
	v_cmp_eq_u32_e32 vcc, 26, v0
	s_waitcnt vmcnt(1)
	v_cndmask_b32_e32 v30, v30, v28, vcc
	v_cmp_eq_u32_e32 vcc, 27, v0
	s_waitcnt vmcnt(0)
	v_cndmask_b32_e32 v30, v30, v29, vcc
	s_waitcnt lgkmcnt(0)
	v_mul_f32_e32 v32, v30, v31
	s_cbranch_execz .LBB27_524
	s_branch .LBB27_525
.LBB27_523:
                                        ; implicit-def: $vgpr32
.LBB27_524:
	ds_read_b32 v32, v118
.LBB27_525:
	v_cmp_ne_u32_e32 vcc, 10, v0
	s_and_saveexec_b64 s[6:7], vcc
	s_cbranch_execz .LBB27_529
; %bb.526:
	v_mov_b32_e32 v30, 0x74
	v_lshl_add_u32 v33, v0, 2, v30
	v_mov_b32_e32 v31, v1
	s_mov_b64 s[8:9], 0
	v_mov_b32_e32 v30, v0
.LBB27_527:                             ; =>This Inner Loop Header: Depth=1
	v_add_co_u32_e32 v30, vcc, 1, v30
	v_addc_co_u32_e32 v31, vcc, 0, v31, vcc
	v_cmp_eq_u32_e32 vcc, 1, v30
	s_waitcnt vmcnt(3)
	v_cndmask_b32_e32 v35, v2, v3, vcc
	v_cmp_lt_u32_e32 vcc, 9, v30
	v_cmp_eq_u32_e64 s[2:3], 2, v30
	v_cndmask_b32_e64 v35, v35, v4, s[2:3]
	s_or_b64 s[8:9], vcc, s[8:9]
	v_cmp_eq_u32_e32 vcc, 3, v30
	v_cndmask_b32_e32 v35, v35, v5, vcc
	v_cmp_eq_u32_e32 vcc, 4, v30
	v_cndmask_b32_e32 v35, v35, v6, vcc
	;; [unrolled: 2-line block ×20, first 2 shown]
	v_cmp_eq_u32_e32 vcc, 23, v30
	ds_read_b32 v34, v33
	v_cndmask_b32_e32 v35, v35, v25, vcc
	v_cmp_eq_u32_e32 vcc, 24, v30
	v_cndmask_b32_e32 v35, v35, v26, vcc
	v_cmp_eq_u32_e32 vcc, 25, v30
	s_waitcnt vmcnt(2)
	v_cndmask_b32_e32 v35, v35, v27, vcc
	v_cmp_eq_u32_e32 vcc, 26, v30
	s_waitcnt vmcnt(1)
	;; [unrolled: 3-line block ×3, first 2 shown]
	v_cndmask_b32_e32 v35, v35, v29, vcc
	v_add_u32_e32 v33, 4, v33
	s_waitcnt lgkmcnt(0)
	v_fmac_f32_e32 v32, v35, v34
	s_andn2_b64 exec, exec, s[8:9]
	s_cbranch_execnz .LBB27_527
; %bb.528:
	s_or_b64 exec, exec, s[8:9]
.LBB27_529:
	s_or_b64 exec, exec, s[6:7]
	v_mov_b32_e32 v13, 0
	ds_read_b32 v13, v13 offset:44
	s_waitcnt lgkmcnt(0)
	v_mul_f32_e32 v13, v32, v13
.LBB27_530:
	s_or_b64 exec, exec, s[4:5]
	v_cmp_gt_u32_e32 vcc, 12, v0
	s_waitcnt vmcnt(16)
	ds_write_b32 v118, v14
	s_waitcnt lgkmcnt(0)
	; wave barrier
	s_and_saveexec_b64 s[4:5], vcc
	s_cbranch_execz .LBB27_540
; %bb.531:
	s_and_b64 vcc, exec, s[0:1]
	s_cbranch_vccnz .LBB27_533
; %bb.532:
	v_cmp_eq_u32_e32 vcc, 1, v0
	s_waitcnt vmcnt(3)
	v_cndmask_b32_e32 v30, v2, v3, vcc
	v_cmp_eq_u32_e32 vcc, 2, v0
	v_cndmask_b32_e32 v30, v30, v4, vcc
	v_cmp_eq_u32_e32 vcc, 3, v0
	;; [unrolled: 2-line block ×23, first 2 shown]
	ds_read_b32 v31, v118
	v_cndmask_b32_e32 v30, v30, v26, vcc
	v_cmp_eq_u32_e32 vcc, 25, v0
	s_waitcnt vmcnt(2)
	v_cndmask_b32_e32 v30, v30, v27, vcc
	v_cmp_eq_u32_e32 vcc, 26, v0
	s_waitcnt vmcnt(1)
	v_cndmask_b32_e32 v30, v30, v28, vcc
	v_cmp_eq_u32_e32 vcc, 27, v0
	s_waitcnt vmcnt(0)
	v_cndmask_b32_e32 v30, v30, v29, vcc
	s_waitcnt lgkmcnt(0)
	v_mul_f32_e32 v32, v30, v31
	s_cbranch_execz .LBB27_534
	s_branch .LBB27_535
.LBB27_533:
                                        ; implicit-def: $vgpr32
.LBB27_534:
	ds_read_b32 v32, v118
.LBB27_535:
	v_cmp_ne_u32_e32 vcc, 11, v0
	s_and_saveexec_b64 s[6:7], vcc
	s_cbranch_execz .LBB27_539
; %bb.536:
	v_mov_b32_e32 v30, 0x74
	v_lshl_add_u32 v33, v0, 2, v30
	v_mov_b32_e32 v31, v1
	s_mov_b64 s[8:9], 0
	v_mov_b32_e32 v30, v0
.LBB27_537:                             ; =>This Inner Loop Header: Depth=1
	v_add_co_u32_e32 v30, vcc, 1, v30
	v_addc_co_u32_e32 v31, vcc, 0, v31, vcc
	v_cmp_eq_u32_e32 vcc, 1, v30
	s_waitcnt vmcnt(3)
	v_cndmask_b32_e32 v35, v2, v3, vcc
	v_cmp_lt_u32_e32 vcc, 10, v30
	v_cmp_eq_u32_e64 s[2:3], 2, v30
	v_cndmask_b32_e64 v35, v35, v4, s[2:3]
	s_or_b64 s[8:9], vcc, s[8:9]
	v_cmp_eq_u32_e32 vcc, 3, v30
	v_cndmask_b32_e32 v35, v35, v5, vcc
	v_cmp_eq_u32_e32 vcc, 4, v30
	v_cndmask_b32_e32 v35, v35, v6, vcc
	;; [unrolled: 2-line block ×20, first 2 shown]
	v_cmp_eq_u32_e32 vcc, 23, v30
	ds_read_b32 v34, v33
	v_cndmask_b32_e32 v35, v35, v25, vcc
	v_cmp_eq_u32_e32 vcc, 24, v30
	v_cndmask_b32_e32 v35, v35, v26, vcc
	v_cmp_eq_u32_e32 vcc, 25, v30
	s_waitcnt vmcnt(2)
	v_cndmask_b32_e32 v35, v35, v27, vcc
	v_cmp_eq_u32_e32 vcc, 26, v30
	s_waitcnt vmcnt(1)
	;; [unrolled: 3-line block ×3, first 2 shown]
	v_cndmask_b32_e32 v35, v35, v29, vcc
	v_add_u32_e32 v33, 4, v33
	s_waitcnt lgkmcnt(0)
	v_fmac_f32_e32 v32, v35, v34
	s_andn2_b64 exec, exec, s[8:9]
	s_cbranch_execnz .LBB27_537
; %bb.538:
	s_or_b64 exec, exec, s[8:9]
.LBB27_539:
	s_or_b64 exec, exec, s[6:7]
	v_mov_b32_e32 v14, 0
	ds_read_b32 v14, v14 offset:48
	s_waitcnt lgkmcnt(0)
	v_mul_f32_e32 v14, v32, v14
.LBB27_540:
	s_or_b64 exec, exec, s[4:5]
	v_cmp_gt_u32_e32 vcc, 13, v0
	s_waitcnt vmcnt(15)
	ds_write_b32 v118, v15
	s_waitcnt lgkmcnt(0)
	; wave barrier
	s_and_saveexec_b64 s[4:5], vcc
	s_cbranch_execz .LBB27_550
; %bb.541:
	s_and_b64 vcc, exec, s[0:1]
	s_cbranch_vccnz .LBB27_543
; %bb.542:
	v_cmp_eq_u32_e32 vcc, 1, v0
	s_waitcnt vmcnt(3)
	v_cndmask_b32_e32 v30, v2, v3, vcc
	v_cmp_eq_u32_e32 vcc, 2, v0
	v_cndmask_b32_e32 v30, v30, v4, vcc
	v_cmp_eq_u32_e32 vcc, 3, v0
	;; [unrolled: 2-line block ×23, first 2 shown]
	ds_read_b32 v31, v118
	v_cndmask_b32_e32 v30, v30, v26, vcc
	v_cmp_eq_u32_e32 vcc, 25, v0
	s_waitcnt vmcnt(2)
	v_cndmask_b32_e32 v30, v30, v27, vcc
	v_cmp_eq_u32_e32 vcc, 26, v0
	s_waitcnt vmcnt(1)
	;; [unrolled: 3-line block ×3, first 2 shown]
	v_cndmask_b32_e32 v30, v30, v29, vcc
	s_waitcnt lgkmcnt(0)
	v_mul_f32_e32 v32, v30, v31
	s_cbranch_execz .LBB27_544
	s_branch .LBB27_545
.LBB27_543:
                                        ; implicit-def: $vgpr32
.LBB27_544:
	ds_read_b32 v32, v118
.LBB27_545:
	v_cmp_ne_u32_e32 vcc, 12, v0
	s_and_saveexec_b64 s[6:7], vcc
	s_cbranch_execz .LBB27_549
; %bb.546:
	v_mov_b32_e32 v30, 0x74
	v_lshl_add_u32 v33, v0, 2, v30
	v_mov_b32_e32 v31, v1
	s_mov_b64 s[8:9], 0
	v_mov_b32_e32 v30, v0
.LBB27_547:                             ; =>This Inner Loop Header: Depth=1
	v_add_co_u32_e32 v30, vcc, 1, v30
	v_addc_co_u32_e32 v31, vcc, 0, v31, vcc
	v_cmp_eq_u32_e32 vcc, 1, v30
	s_waitcnt vmcnt(3)
	v_cndmask_b32_e32 v35, v2, v3, vcc
	v_cmp_lt_u32_e32 vcc, 11, v30
	v_cmp_eq_u32_e64 s[2:3], 2, v30
	v_cndmask_b32_e64 v35, v35, v4, s[2:3]
	s_or_b64 s[8:9], vcc, s[8:9]
	v_cmp_eq_u32_e32 vcc, 3, v30
	v_cndmask_b32_e32 v35, v35, v5, vcc
	v_cmp_eq_u32_e32 vcc, 4, v30
	v_cndmask_b32_e32 v35, v35, v6, vcc
	;; [unrolled: 2-line block ×20, first 2 shown]
	v_cmp_eq_u32_e32 vcc, 23, v30
	ds_read_b32 v34, v33
	v_cndmask_b32_e32 v35, v35, v25, vcc
	v_cmp_eq_u32_e32 vcc, 24, v30
	v_cndmask_b32_e32 v35, v35, v26, vcc
	v_cmp_eq_u32_e32 vcc, 25, v30
	s_waitcnt vmcnt(2)
	v_cndmask_b32_e32 v35, v35, v27, vcc
	v_cmp_eq_u32_e32 vcc, 26, v30
	s_waitcnt vmcnt(1)
	;; [unrolled: 3-line block ×3, first 2 shown]
	v_cndmask_b32_e32 v35, v35, v29, vcc
	v_add_u32_e32 v33, 4, v33
	s_waitcnt lgkmcnt(0)
	v_fmac_f32_e32 v32, v35, v34
	s_andn2_b64 exec, exec, s[8:9]
	s_cbranch_execnz .LBB27_547
; %bb.548:
	s_or_b64 exec, exec, s[8:9]
.LBB27_549:
	s_or_b64 exec, exec, s[6:7]
	v_mov_b32_e32 v15, 0
	ds_read_b32 v15, v15 offset:52
	s_waitcnt lgkmcnt(0)
	v_mul_f32_e32 v15, v32, v15
.LBB27_550:
	s_or_b64 exec, exec, s[4:5]
	v_cmp_gt_u32_e32 vcc, 14, v0
	s_waitcnt vmcnt(14)
	ds_write_b32 v118, v16
	s_waitcnt lgkmcnt(0)
	; wave barrier
	s_and_saveexec_b64 s[4:5], vcc
	s_cbranch_execz .LBB27_560
; %bb.551:
	s_and_b64 vcc, exec, s[0:1]
	s_cbranch_vccnz .LBB27_553
; %bb.552:
	v_cmp_eq_u32_e32 vcc, 1, v0
	s_waitcnt vmcnt(3)
	v_cndmask_b32_e32 v30, v2, v3, vcc
	v_cmp_eq_u32_e32 vcc, 2, v0
	v_cndmask_b32_e32 v30, v30, v4, vcc
	v_cmp_eq_u32_e32 vcc, 3, v0
	;; [unrolled: 2-line block ×23, first 2 shown]
	ds_read_b32 v31, v118
	v_cndmask_b32_e32 v30, v30, v26, vcc
	v_cmp_eq_u32_e32 vcc, 25, v0
	s_waitcnt vmcnt(2)
	v_cndmask_b32_e32 v30, v30, v27, vcc
	v_cmp_eq_u32_e32 vcc, 26, v0
	s_waitcnt vmcnt(1)
	;; [unrolled: 3-line block ×3, first 2 shown]
	v_cndmask_b32_e32 v30, v30, v29, vcc
	s_waitcnt lgkmcnt(0)
	v_mul_f32_e32 v32, v30, v31
	s_cbranch_execz .LBB27_554
	s_branch .LBB27_555
.LBB27_553:
                                        ; implicit-def: $vgpr32
.LBB27_554:
	ds_read_b32 v32, v118
.LBB27_555:
	v_cmp_ne_u32_e32 vcc, 13, v0
	s_and_saveexec_b64 s[6:7], vcc
	s_cbranch_execz .LBB27_559
; %bb.556:
	v_mov_b32_e32 v30, 0x74
	v_lshl_add_u32 v33, v0, 2, v30
	v_mov_b32_e32 v31, v1
	s_mov_b64 s[8:9], 0
	v_mov_b32_e32 v30, v0
.LBB27_557:                             ; =>This Inner Loop Header: Depth=1
	v_add_co_u32_e32 v30, vcc, 1, v30
	v_addc_co_u32_e32 v31, vcc, 0, v31, vcc
	v_cmp_eq_u32_e32 vcc, 1, v30
	s_waitcnt vmcnt(3)
	v_cndmask_b32_e32 v35, v2, v3, vcc
	v_cmp_lt_u32_e32 vcc, 12, v30
	v_cmp_eq_u32_e64 s[2:3], 2, v30
	v_cndmask_b32_e64 v35, v35, v4, s[2:3]
	s_or_b64 s[8:9], vcc, s[8:9]
	v_cmp_eq_u32_e32 vcc, 3, v30
	v_cndmask_b32_e32 v35, v35, v5, vcc
	v_cmp_eq_u32_e32 vcc, 4, v30
	v_cndmask_b32_e32 v35, v35, v6, vcc
	;; [unrolled: 2-line block ×20, first 2 shown]
	v_cmp_eq_u32_e32 vcc, 23, v30
	ds_read_b32 v34, v33
	v_cndmask_b32_e32 v35, v35, v25, vcc
	v_cmp_eq_u32_e32 vcc, 24, v30
	v_cndmask_b32_e32 v35, v35, v26, vcc
	v_cmp_eq_u32_e32 vcc, 25, v30
	s_waitcnt vmcnt(2)
	v_cndmask_b32_e32 v35, v35, v27, vcc
	v_cmp_eq_u32_e32 vcc, 26, v30
	s_waitcnt vmcnt(1)
	;; [unrolled: 3-line block ×3, first 2 shown]
	v_cndmask_b32_e32 v35, v35, v29, vcc
	v_add_u32_e32 v33, 4, v33
	s_waitcnt lgkmcnt(0)
	v_fmac_f32_e32 v32, v35, v34
	s_andn2_b64 exec, exec, s[8:9]
	s_cbranch_execnz .LBB27_557
; %bb.558:
	s_or_b64 exec, exec, s[8:9]
.LBB27_559:
	s_or_b64 exec, exec, s[6:7]
	v_mov_b32_e32 v16, 0
	ds_read_b32 v16, v16 offset:56
	s_waitcnt lgkmcnt(0)
	v_mul_f32_e32 v16, v32, v16
.LBB27_560:
	s_or_b64 exec, exec, s[4:5]
	v_cmp_gt_u32_e32 vcc, 15, v0
	s_waitcnt vmcnt(13)
	ds_write_b32 v118, v17
	s_waitcnt lgkmcnt(0)
	; wave barrier
	s_and_saveexec_b64 s[4:5], vcc
	s_cbranch_execz .LBB27_570
; %bb.561:
	s_and_b64 vcc, exec, s[0:1]
	s_cbranch_vccnz .LBB27_563
; %bb.562:
	v_cmp_eq_u32_e32 vcc, 1, v0
	s_waitcnt vmcnt(3)
	v_cndmask_b32_e32 v30, v2, v3, vcc
	v_cmp_eq_u32_e32 vcc, 2, v0
	v_cndmask_b32_e32 v30, v30, v4, vcc
	v_cmp_eq_u32_e32 vcc, 3, v0
	;; [unrolled: 2-line block ×23, first 2 shown]
	ds_read_b32 v31, v118
	v_cndmask_b32_e32 v30, v30, v26, vcc
	v_cmp_eq_u32_e32 vcc, 25, v0
	s_waitcnt vmcnt(2)
	v_cndmask_b32_e32 v30, v30, v27, vcc
	v_cmp_eq_u32_e32 vcc, 26, v0
	s_waitcnt vmcnt(1)
	;; [unrolled: 3-line block ×3, first 2 shown]
	v_cndmask_b32_e32 v30, v30, v29, vcc
	s_waitcnt lgkmcnt(0)
	v_mul_f32_e32 v32, v30, v31
	s_cbranch_execz .LBB27_564
	s_branch .LBB27_565
.LBB27_563:
                                        ; implicit-def: $vgpr32
.LBB27_564:
	ds_read_b32 v32, v118
.LBB27_565:
	v_cmp_ne_u32_e32 vcc, 14, v0
	s_and_saveexec_b64 s[6:7], vcc
	s_cbranch_execz .LBB27_569
; %bb.566:
	v_mov_b32_e32 v30, 0x74
	v_lshl_add_u32 v33, v0, 2, v30
	v_mov_b32_e32 v31, v1
	s_mov_b64 s[8:9], 0
	v_mov_b32_e32 v30, v0
.LBB27_567:                             ; =>This Inner Loop Header: Depth=1
	v_add_co_u32_e32 v30, vcc, 1, v30
	v_addc_co_u32_e32 v31, vcc, 0, v31, vcc
	v_cmp_eq_u32_e32 vcc, 1, v30
	s_waitcnt vmcnt(3)
	v_cndmask_b32_e32 v35, v2, v3, vcc
	v_cmp_lt_u32_e32 vcc, 13, v30
	v_cmp_eq_u32_e64 s[2:3], 2, v30
	v_cndmask_b32_e64 v35, v35, v4, s[2:3]
	s_or_b64 s[8:9], vcc, s[8:9]
	v_cmp_eq_u32_e32 vcc, 3, v30
	v_cndmask_b32_e32 v35, v35, v5, vcc
	v_cmp_eq_u32_e32 vcc, 4, v30
	v_cndmask_b32_e32 v35, v35, v6, vcc
	;; [unrolled: 2-line block ×20, first 2 shown]
	v_cmp_eq_u32_e32 vcc, 23, v30
	ds_read_b32 v34, v33
	v_cndmask_b32_e32 v35, v35, v25, vcc
	v_cmp_eq_u32_e32 vcc, 24, v30
	v_cndmask_b32_e32 v35, v35, v26, vcc
	v_cmp_eq_u32_e32 vcc, 25, v30
	s_waitcnt vmcnt(2)
	v_cndmask_b32_e32 v35, v35, v27, vcc
	v_cmp_eq_u32_e32 vcc, 26, v30
	s_waitcnt vmcnt(1)
	;; [unrolled: 3-line block ×3, first 2 shown]
	v_cndmask_b32_e32 v35, v35, v29, vcc
	v_add_u32_e32 v33, 4, v33
	s_waitcnt lgkmcnt(0)
	v_fmac_f32_e32 v32, v35, v34
	s_andn2_b64 exec, exec, s[8:9]
	s_cbranch_execnz .LBB27_567
; %bb.568:
	s_or_b64 exec, exec, s[8:9]
.LBB27_569:
	s_or_b64 exec, exec, s[6:7]
	v_mov_b32_e32 v17, 0
	ds_read_b32 v17, v17 offset:60
	s_waitcnt lgkmcnt(0)
	v_mul_f32_e32 v17, v32, v17
.LBB27_570:
	s_or_b64 exec, exec, s[4:5]
	v_cmp_gt_u32_e32 vcc, 16, v0
	s_waitcnt vmcnt(12)
	ds_write_b32 v118, v18
	s_waitcnt lgkmcnt(0)
	; wave barrier
	s_and_saveexec_b64 s[4:5], vcc
	s_cbranch_execz .LBB27_580
; %bb.571:
	s_and_b64 vcc, exec, s[0:1]
	s_cbranch_vccnz .LBB27_573
; %bb.572:
	v_cmp_eq_u32_e32 vcc, 1, v0
	s_waitcnt vmcnt(3)
	v_cndmask_b32_e32 v30, v2, v3, vcc
	v_cmp_eq_u32_e32 vcc, 2, v0
	v_cndmask_b32_e32 v30, v30, v4, vcc
	v_cmp_eq_u32_e32 vcc, 3, v0
	;; [unrolled: 2-line block ×23, first 2 shown]
	ds_read_b32 v31, v118
	v_cndmask_b32_e32 v30, v30, v26, vcc
	v_cmp_eq_u32_e32 vcc, 25, v0
	s_waitcnt vmcnt(2)
	v_cndmask_b32_e32 v30, v30, v27, vcc
	v_cmp_eq_u32_e32 vcc, 26, v0
	s_waitcnt vmcnt(1)
	;; [unrolled: 3-line block ×3, first 2 shown]
	v_cndmask_b32_e32 v30, v30, v29, vcc
	s_waitcnt lgkmcnt(0)
	v_mul_f32_e32 v32, v30, v31
	s_cbranch_execz .LBB27_574
	s_branch .LBB27_575
.LBB27_573:
                                        ; implicit-def: $vgpr32
.LBB27_574:
	ds_read_b32 v32, v118
.LBB27_575:
	v_cmp_ne_u32_e32 vcc, 15, v0
	s_and_saveexec_b64 s[6:7], vcc
	s_cbranch_execz .LBB27_579
; %bb.576:
	v_mov_b32_e32 v30, 0x74
	v_lshl_add_u32 v33, v0, 2, v30
	v_mov_b32_e32 v31, v1
	s_mov_b64 s[8:9], 0
	v_mov_b32_e32 v30, v0
.LBB27_577:                             ; =>This Inner Loop Header: Depth=1
	v_add_co_u32_e32 v30, vcc, 1, v30
	v_addc_co_u32_e32 v31, vcc, 0, v31, vcc
	v_cmp_eq_u32_e32 vcc, 1, v30
	s_waitcnt vmcnt(3)
	v_cndmask_b32_e32 v35, v2, v3, vcc
	v_cmp_lt_u32_e32 vcc, 14, v30
	v_cmp_eq_u32_e64 s[2:3], 2, v30
	v_cndmask_b32_e64 v35, v35, v4, s[2:3]
	s_or_b64 s[8:9], vcc, s[8:9]
	v_cmp_eq_u32_e32 vcc, 3, v30
	v_cndmask_b32_e32 v35, v35, v5, vcc
	v_cmp_eq_u32_e32 vcc, 4, v30
	v_cndmask_b32_e32 v35, v35, v6, vcc
	;; [unrolled: 2-line block ×20, first 2 shown]
	v_cmp_eq_u32_e32 vcc, 23, v30
	ds_read_b32 v34, v33
	v_cndmask_b32_e32 v35, v35, v25, vcc
	v_cmp_eq_u32_e32 vcc, 24, v30
	v_cndmask_b32_e32 v35, v35, v26, vcc
	v_cmp_eq_u32_e32 vcc, 25, v30
	s_waitcnt vmcnt(2)
	v_cndmask_b32_e32 v35, v35, v27, vcc
	v_cmp_eq_u32_e32 vcc, 26, v30
	s_waitcnt vmcnt(1)
	;; [unrolled: 3-line block ×3, first 2 shown]
	v_cndmask_b32_e32 v35, v35, v29, vcc
	v_add_u32_e32 v33, 4, v33
	s_waitcnt lgkmcnt(0)
	v_fmac_f32_e32 v32, v35, v34
	s_andn2_b64 exec, exec, s[8:9]
	s_cbranch_execnz .LBB27_577
; %bb.578:
	s_or_b64 exec, exec, s[8:9]
.LBB27_579:
	s_or_b64 exec, exec, s[6:7]
	v_mov_b32_e32 v18, 0
	ds_read_b32 v18, v18 offset:64
	s_waitcnt lgkmcnt(0)
	v_mul_f32_e32 v18, v32, v18
.LBB27_580:
	s_or_b64 exec, exec, s[4:5]
	v_cmp_gt_u32_e32 vcc, 17, v0
	s_waitcnt vmcnt(11)
	ds_write_b32 v118, v19
	s_waitcnt lgkmcnt(0)
	; wave barrier
	s_and_saveexec_b64 s[4:5], vcc
	s_cbranch_execz .LBB27_590
; %bb.581:
	s_and_b64 vcc, exec, s[0:1]
	s_cbranch_vccnz .LBB27_583
; %bb.582:
	v_cmp_eq_u32_e32 vcc, 1, v0
	s_waitcnt vmcnt(3)
	v_cndmask_b32_e32 v30, v2, v3, vcc
	v_cmp_eq_u32_e32 vcc, 2, v0
	v_cndmask_b32_e32 v30, v30, v4, vcc
	v_cmp_eq_u32_e32 vcc, 3, v0
	;; [unrolled: 2-line block ×23, first 2 shown]
	ds_read_b32 v31, v118
	v_cndmask_b32_e32 v30, v30, v26, vcc
	v_cmp_eq_u32_e32 vcc, 25, v0
	s_waitcnt vmcnt(2)
	v_cndmask_b32_e32 v30, v30, v27, vcc
	v_cmp_eq_u32_e32 vcc, 26, v0
	s_waitcnt vmcnt(1)
	;; [unrolled: 3-line block ×3, first 2 shown]
	v_cndmask_b32_e32 v30, v30, v29, vcc
	s_waitcnt lgkmcnt(0)
	v_mul_f32_e32 v32, v30, v31
	s_cbranch_execz .LBB27_584
	s_branch .LBB27_585
.LBB27_583:
                                        ; implicit-def: $vgpr32
.LBB27_584:
	ds_read_b32 v32, v118
.LBB27_585:
	v_cmp_ne_u32_e32 vcc, 16, v0
	s_and_saveexec_b64 s[6:7], vcc
	s_cbranch_execz .LBB27_589
; %bb.586:
	v_mov_b32_e32 v30, 0x74
	v_lshl_add_u32 v33, v0, 2, v30
	v_mov_b32_e32 v31, v1
	s_mov_b64 s[8:9], 0
	v_mov_b32_e32 v30, v0
.LBB27_587:                             ; =>This Inner Loop Header: Depth=1
	v_add_co_u32_e32 v30, vcc, 1, v30
	v_addc_co_u32_e32 v31, vcc, 0, v31, vcc
	v_cmp_eq_u32_e32 vcc, 1, v30
	s_waitcnt vmcnt(3)
	v_cndmask_b32_e32 v35, v2, v3, vcc
	v_cmp_lt_u32_e32 vcc, 15, v30
	v_cmp_eq_u32_e64 s[2:3], 2, v30
	v_cndmask_b32_e64 v35, v35, v4, s[2:3]
	s_or_b64 s[8:9], vcc, s[8:9]
	v_cmp_eq_u32_e32 vcc, 3, v30
	v_cndmask_b32_e32 v35, v35, v5, vcc
	v_cmp_eq_u32_e32 vcc, 4, v30
	v_cndmask_b32_e32 v35, v35, v6, vcc
	;; [unrolled: 2-line block ×20, first 2 shown]
	v_cmp_eq_u32_e32 vcc, 23, v30
	ds_read_b32 v34, v33
	v_cndmask_b32_e32 v35, v35, v25, vcc
	v_cmp_eq_u32_e32 vcc, 24, v30
	v_cndmask_b32_e32 v35, v35, v26, vcc
	v_cmp_eq_u32_e32 vcc, 25, v30
	s_waitcnt vmcnt(2)
	v_cndmask_b32_e32 v35, v35, v27, vcc
	v_cmp_eq_u32_e32 vcc, 26, v30
	s_waitcnt vmcnt(1)
	;; [unrolled: 3-line block ×3, first 2 shown]
	v_cndmask_b32_e32 v35, v35, v29, vcc
	v_add_u32_e32 v33, 4, v33
	s_waitcnt lgkmcnt(0)
	v_fmac_f32_e32 v32, v35, v34
	s_andn2_b64 exec, exec, s[8:9]
	s_cbranch_execnz .LBB27_587
; %bb.588:
	s_or_b64 exec, exec, s[8:9]
.LBB27_589:
	s_or_b64 exec, exec, s[6:7]
	v_mov_b32_e32 v19, 0
	ds_read_b32 v19, v19 offset:68
	s_waitcnt lgkmcnt(0)
	v_mul_f32_e32 v19, v32, v19
.LBB27_590:
	s_or_b64 exec, exec, s[4:5]
	v_cmp_gt_u32_e32 vcc, 18, v0
	s_waitcnt vmcnt(10)
	ds_write_b32 v118, v20
	s_waitcnt lgkmcnt(0)
	; wave barrier
	s_and_saveexec_b64 s[4:5], vcc
	s_cbranch_execz .LBB27_600
; %bb.591:
	s_and_b64 vcc, exec, s[0:1]
	s_cbranch_vccnz .LBB27_593
; %bb.592:
	v_cmp_eq_u32_e32 vcc, 1, v0
	s_waitcnt vmcnt(3)
	v_cndmask_b32_e32 v30, v2, v3, vcc
	v_cmp_eq_u32_e32 vcc, 2, v0
	v_cndmask_b32_e32 v30, v30, v4, vcc
	v_cmp_eq_u32_e32 vcc, 3, v0
	;; [unrolled: 2-line block ×23, first 2 shown]
	ds_read_b32 v31, v118
	v_cndmask_b32_e32 v30, v30, v26, vcc
	v_cmp_eq_u32_e32 vcc, 25, v0
	s_waitcnt vmcnt(2)
	v_cndmask_b32_e32 v30, v30, v27, vcc
	v_cmp_eq_u32_e32 vcc, 26, v0
	s_waitcnt vmcnt(1)
	;; [unrolled: 3-line block ×3, first 2 shown]
	v_cndmask_b32_e32 v30, v30, v29, vcc
	s_waitcnt lgkmcnt(0)
	v_mul_f32_e32 v32, v30, v31
	s_cbranch_execz .LBB27_594
	s_branch .LBB27_595
.LBB27_593:
                                        ; implicit-def: $vgpr32
.LBB27_594:
	ds_read_b32 v32, v118
.LBB27_595:
	v_cmp_ne_u32_e32 vcc, 17, v0
	s_and_saveexec_b64 s[6:7], vcc
	s_cbranch_execz .LBB27_599
; %bb.596:
	v_mov_b32_e32 v30, 0x74
	v_lshl_add_u32 v33, v0, 2, v30
	v_mov_b32_e32 v31, v1
	s_mov_b64 s[8:9], 0
	v_mov_b32_e32 v30, v0
.LBB27_597:                             ; =>This Inner Loop Header: Depth=1
	v_add_co_u32_e32 v30, vcc, 1, v30
	v_addc_co_u32_e32 v31, vcc, 0, v31, vcc
	v_cmp_eq_u32_e32 vcc, 1, v30
	s_waitcnt vmcnt(3)
	v_cndmask_b32_e32 v35, v2, v3, vcc
	v_cmp_lt_u32_e32 vcc, 16, v30
	v_cmp_eq_u32_e64 s[2:3], 2, v30
	v_cndmask_b32_e64 v35, v35, v4, s[2:3]
	s_or_b64 s[8:9], vcc, s[8:9]
	v_cmp_eq_u32_e32 vcc, 3, v30
	v_cndmask_b32_e32 v35, v35, v5, vcc
	v_cmp_eq_u32_e32 vcc, 4, v30
	v_cndmask_b32_e32 v35, v35, v6, vcc
	;; [unrolled: 2-line block ×20, first 2 shown]
	v_cmp_eq_u32_e32 vcc, 23, v30
	ds_read_b32 v34, v33
	v_cndmask_b32_e32 v35, v35, v25, vcc
	v_cmp_eq_u32_e32 vcc, 24, v30
	v_cndmask_b32_e32 v35, v35, v26, vcc
	v_cmp_eq_u32_e32 vcc, 25, v30
	s_waitcnt vmcnt(2)
	v_cndmask_b32_e32 v35, v35, v27, vcc
	v_cmp_eq_u32_e32 vcc, 26, v30
	s_waitcnt vmcnt(1)
	;; [unrolled: 3-line block ×3, first 2 shown]
	v_cndmask_b32_e32 v35, v35, v29, vcc
	v_add_u32_e32 v33, 4, v33
	s_waitcnt lgkmcnt(0)
	v_fmac_f32_e32 v32, v35, v34
	s_andn2_b64 exec, exec, s[8:9]
	s_cbranch_execnz .LBB27_597
; %bb.598:
	s_or_b64 exec, exec, s[8:9]
.LBB27_599:
	s_or_b64 exec, exec, s[6:7]
	v_mov_b32_e32 v20, 0
	ds_read_b32 v20, v20 offset:72
	s_waitcnt lgkmcnt(0)
	v_mul_f32_e32 v20, v32, v20
.LBB27_600:
	s_or_b64 exec, exec, s[4:5]
	v_cmp_gt_u32_e32 vcc, 19, v0
	s_waitcnt vmcnt(9)
	ds_write_b32 v118, v21
	s_waitcnt lgkmcnt(0)
	; wave barrier
	s_and_saveexec_b64 s[4:5], vcc
	s_cbranch_execz .LBB27_610
; %bb.601:
	s_and_b64 vcc, exec, s[0:1]
	s_cbranch_vccnz .LBB27_603
; %bb.602:
	v_cmp_eq_u32_e32 vcc, 1, v0
	s_waitcnt vmcnt(3)
	v_cndmask_b32_e32 v30, v2, v3, vcc
	v_cmp_eq_u32_e32 vcc, 2, v0
	v_cndmask_b32_e32 v30, v30, v4, vcc
	v_cmp_eq_u32_e32 vcc, 3, v0
	v_cndmask_b32_e32 v30, v30, v5, vcc
	v_cmp_eq_u32_e32 vcc, 4, v0
	v_cndmask_b32_e32 v30, v30, v6, vcc
	v_cmp_eq_u32_e32 vcc, 5, v0
	v_cndmask_b32_e32 v30, v30, v7, vcc
	v_cmp_eq_u32_e32 vcc, 6, v0
	v_cndmask_b32_e32 v30, v30, v8, vcc
	v_cmp_eq_u32_e32 vcc, 7, v0
	v_cndmask_b32_e32 v30, v30, v9, vcc
	v_cmp_eq_u32_e32 vcc, 8, v0
	v_cndmask_b32_e32 v30, v30, v10, vcc
	v_cmp_eq_u32_e32 vcc, 9, v0
	v_cndmask_b32_e32 v30, v30, v11, vcc
	v_cmp_eq_u32_e32 vcc, 10, v0
	v_cndmask_b32_e32 v30, v30, v12, vcc
	v_cmp_eq_u32_e32 vcc, 11, v0
	v_cndmask_b32_e32 v30, v30, v13, vcc
	v_cmp_eq_u32_e32 vcc, 12, v0
	v_cndmask_b32_e32 v30, v30, v14, vcc
	v_cmp_eq_u32_e32 vcc, 13, v0
	v_cndmask_b32_e32 v30, v30, v15, vcc
	v_cmp_eq_u32_e32 vcc, 14, v0
	v_cndmask_b32_e32 v30, v30, v16, vcc
	v_cmp_eq_u32_e32 vcc, 15, v0
	v_cndmask_b32_e32 v30, v30, v17, vcc
	v_cmp_eq_u32_e32 vcc, 16, v0
	v_cndmask_b32_e32 v30, v30, v18, vcc
	v_cmp_eq_u32_e32 vcc, 17, v0
	v_cndmask_b32_e32 v30, v30, v19, vcc
	v_cmp_eq_u32_e32 vcc, 18, v0
	v_cndmask_b32_e32 v30, v30, v20, vcc
	v_cmp_eq_u32_e32 vcc, 19, v0
	v_cndmask_b32_e32 v30, v30, v21, vcc
	v_cmp_eq_u32_e32 vcc, 20, v0
	v_cndmask_b32_e32 v30, v30, v22, vcc
	v_cmp_eq_u32_e32 vcc, 21, v0
	v_cndmask_b32_e32 v30, v30, v23, vcc
	v_cmp_eq_u32_e32 vcc, 22, v0
	v_cndmask_b32_e32 v30, v30, v24, vcc
	v_cmp_eq_u32_e32 vcc, 23, v0
	v_cndmask_b32_e32 v30, v30, v25, vcc
	v_cmp_eq_u32_e32 vcc, 24, v0
	ds_read_b32 v31, v118
	v_cndmask_b32_e32 v30, v30, v26, vcc
	v_cmp_eq_u32_e32 vcc, 25, v0
	s_waitcnt vmcnt(2)
	v_cndmask_b32_e32 v30, v30, v27, vcc
	v_cmp_eq_u32_e32 vcc, 26, v0
	s_waitcnt vmcnt(1)
	;; [unrolled: 3-line block ×3, first 2 shown]
	v_cndmask_b32_e32 v30, v30, v29, vcc
	s_waitcnt lgkmcnt(0)
	v_mul_f32_e32 v32, v30, v31
	s_cbranch_execz .LBB27_604
	s_branch .LBB27_605
.LBB27_603:
                                        ; implicit-def: $vgpr32
.LBB27_604:
	ds_read_b32 v32, v118
.LBB27_605:
	v_cmp_ne_u32_e32 vcc, 18, v0
	s_and_saveexec_b64 s[6:7], vcc
	s_cbranch_execz .LBB27_609
; %bb.606:
	v_mov_b32_e32 v30, 0x74
	v_lshl_add_u32 v33, v0, 2, v30
	v_mov_b32_e32 v31, v1
	s_mov_b64 s[8:9], 0
	v_mov_b32_e32 v30, v0
.LBB27_607:                             ; =>This Inner Loop Header: Depth=1
	v_add_co_u32_e32 v30, vcc, 1, v30
	v_addc_co_u32_e32 v31, vcc, 0, v31, vcc
	v_cmp_eq_u32_e32 vcc, 1, v30
	s_waitcnt vmcnt(3)
	v_cndmask_b32_e32 v35, v2, v3, vcc
	v_cmp_lt_u32_e32 vcc, 17, v30
	v_cmp_eq_u32_e64 s[2:3], 2, v30
	v_cndmask_b32_e64 v35, v35, v4, s[2:3]
	s_or_b64 s[8:9], vcc, s[8:9]
	v_cmp_eq_u32_e32 vcc, 3, v30
	v_cndmask_b32_e32 v35, v35, v5, vcc
	v_cmp_eq_u32_e32 vcc, 4, v30
	v_cndmask_b32_e32 v35, v35, v6, vcc
	;; [unrolled: 2-line block ×20, first 2 shown]
	v_cmp_eq_u32_e32 vcc, 23, v30
	ds_read_b32 v34, v33
	v_cndmask_b32_e32 v35, v35, v25, vcc
	v_cmp_eq_u32_e32 vcc, 24, v30
	v_cndmask_b32_e32 v35, v35, v26, vcc
	v_cmp_eq_u32_e32 vcc, 25, v30
	s_waitcnt vmcnt(2)
	v_cndmask_b32_e32 v35, v35, v27, vcc
	v_cmp_eq_u32_e32 vcc, 26, v30
	s_waitcnt vmcnt(1)
	;; [unrolled: 3-line block ×3, first 2 shown]
	v_cndmask_b32_e32 v35, v35, v29, vcc
	v_add_u32_e32 v33, 4, v33
	s_waitcnt lgkmcnt(0)
	v_fmac_f32_e32 v32, v35, v34
	s_andn2_b64 exec, exec, s[8:9]
	s_cbranch_execnz .LBB27_607
; %bb.608:
	s_or_b64 exec, exec, s[8:9]
.LBB27_609:
	s_or_b64 exec, exec, s[6:7]
	v_mov_b32_e32 v21, 0
	ds_read_b32 v21, v21 offset:76
	s_waitcnt lgkmcnt(0)
	v_mul_f32_e32 v21, v32, v21
.LBB27_610:
	s_or_b64 exec, exec, s[4:5]
	v_cmp_gt_u32_e32 vcc, 20, v0
	s_waitcnt vmcnt(8)
	ds_write_b32 v118, v22
	s_waitcnt lgkmcnt(0)
	; wave barrier
	s_and_saveexec_b64 s[4:5], vcc
	s_cbranch_execz .LBB27_620
; %bb.611:
	s_and_b64 vcc, exec, s[0:1]
	s_cbranch_vccnz .LBB27_613
; %bb.612:
	v_cmp_eq_u32_e32 vcc, 1, v0
	s_waitcnt vmcnt(3)
	v_cndmask_b32_e32 v30, v2, v3, vcc
	v_cmp_eq_u32_e32 vcc, 2, v0
	v_cndmask_b32_e32 v30, v30, v4, vcc
	v_cmp_eq_u32_e32 vcc, 3, v0
	;; [unrolled: 2-line block ×23, first 2 shown]
	ds_read_b32 v31, v118
	v_cndmask_b32_e32 v30, v30, v26, vcc
	v_cmp_eq_u32_e32 vcc, 25, v0
	s_waitcnt vmcnt(2)
	v_cndmask_b32_e32 v30, v30, v27, vcc
	v_cmp_eq_u32_e32 vcc, 26, v0
	s_waitcnt vmcnt(1)
	;; [unrolled: 3-line block ×3, first 2 shown]
	v_cndmask_b32_e32 v30, v30, v29, vcc
	s_waitcnt lgkmcnt(0)
	v_mul_f32_e32 v32, v30, v31
	s_cbranch_execz .LBB27_614
	s_branch .LBB27_615
.LBB27_613:
                                        ; implicit-def: $vgpr32
.LBB27_614:
	ds_read_b32 v32, v118
.LBB27_615:
	v_cmp_ne_u32_e32 vcc, 19, v0
	s_and_saveexec_b64 s[6:7], vcc
	s_cbranch_execz .LBB27_619
; %bb.616:
	v_mov_b32_e32 v30, 0x74
	v_lshl_add_u32 v33, v0, 2, v30
	v_mov_b32_e32 v31, v1
	s_mov_b64 s[8:9], 0
	v_mov_b32_e32 v30, v0
.LBB27_617:                             ; =>This Inner Loop Header: Depth=1
	v_add_co_u32_e32 v30, vcc, 1, v30
	v_addc_co_u32_e32 v31, vcc, 0, v31, vcc
	v_cmp_eq_u32_e32 vcc, 1, v30
	s_waitcnt vmcnt(3)
	v_cndmask_b32_e32 v35, v2, v3, vcc
	v_cmp_lt_u32_e32 vcc, 18, v30
	v_cmp_eq_u32_e64 s[2:3], 2, v30
	v_cndmask_b32_e64 v35, v35, v4, s[2:3]
	s_or_b64 s[8:9], vcc, s[8:9]
	v_cmp_eq_u32_e32 vcc, 3, v30
	v_cndmask_b32_e32 v35, v35, v5, vcc
	v_cmp_eq_u32_e32 vcc, 4, v30
	v_cndmask_b32_e32 v35, v35, v6, vcc
	;; [unrolled: 2-line block ×20, first 2 shown]
	v_cmp_eq_u32_e32 vcc, 23, v30
	ds_read_b32 v34, v33
	v_cndmask_b32_e32 v35, v35, v25, vcc
	v_cmp_eq_u32_e32 vcc, 24, v30
	v_cndmask_b32_e32 v35, v35, v26, vcc
	v_cmp_eq_u32_e32 vcc, 25, v30
	s_waitcnt vmcnt(2)
	v_cndmask_b32_e32 v35, v35, v27, vcc
	v_cmp_eq_u32_e32 vcc, 26, v30
	s_waitcnt vmcnt(1)
	;; [unrolled: 3-line block ×3, first 2 shown]
	v_cndmask_b32_e32 v35, v35, v29, vcc
	v_add_u32_e32 v33, 4, v33
	s_waitcnt lgkmcnt(0)
	v_fmac_f32_e32 v32, v35, v34
	s_andn2_b64 exec, exec, s[8:9]
	s_cbranch_execnz .LBB27_617
; %bb.618:
	s_or_b64 exec, exec, s[8:9]
.LBB27_619:
	s_or_b64 exec, exec, s[6:7]
	v_mov_b32_e32 v22, 0
	ds_read_b32 v22, v22 offset:80
	s_waitcnt lgkmcnt(0)
	v_mul_f32_e32 v22, v32, v22
.LBB27_620:
	s_or_b64 exec, exec, s[4:5]
	v_cmp_gt_u32_e32 vcc, 21, v0
	s_waitcnt vmcnt(7)
	ds_write_b32 v118, v23
	s_waitcnt lgkmcnt(0)
	; wave barrier
	s_and_saveexec_b64 s[4:5], vcc
	s_cbranch_execz .LBB27_630
; %bb.621:
	s_and_b64 vcc, exec, s[0:1]
	s_cbranch_vccnz .LBB27_623
; %bb.622:
	v_cmp_eq_u32_e32 vcc, 1, v0
	s_waitcnt vmcnt(3)
	v_cndmask_b32_e32 v30, v2, v3, vcc
	v_cmp_eq_u32_e32 vcc, 2, v0
	v_cndmask_b32_e32 v30, v30, v4, vcc
	v_cmp_eq_u32_e32 vcc, 3, v0
	;; [unrolled: 2-line block ×23, first 2 shown]
	ds_read_b32 v31, v118
	v_cndmask_b32_e32 v30, v30, v26, vcc
	v_cmp_eq_u32_e32 vcc, 25, v0
	s_waitcnt vmcnt(2)
	v_cndmask_b32_e32 v30, v30, v27, vcc
	v_cmp_eq_u32_e32 vcc, 26, v0
	s_waitcnt vmcnt(1)
	v_cndmask_b32_e32 v30, v30, v28, vcc
	v_cmp_eq_u32_e32 vcc, 27, v0
	s_waitcnt vmcnt(0)
	v_cndmask_b32_e32 v30, v30, v29, vcc
	s_waitcnt lgkmcnt(0)
	v_mul_f32_e32 v32, v30, v31
	s_cbranch_execz .LBB27_624
	s_branch .LBB27_625
.LBB27_623:
                                        ; implicit-def: $vgpr32
.LBB27_624:
	ds_read_b32 v32, v118
.LBB27_625:
	v_cmp_ne_u32_e32 vcc, 20, v0
	s_and_saveexec_b64 s[6:7], vcc
	s_cbranch_execz .LBB27_629
; %bb.626:
	v_mov_b32_e32 v30, 0x74
	v_lshl_add_u32 v33, v0, 2, v30
	v_mov_b32_e32 v31, v1
	s_mov_b64 s[8:9], 0
	v_mov_b32_e32 v30, v0
.LBB27_627:                             ; =>This Inner Loop Header: Depth=1
	v_add_co_u32_e32 v30, vcc, 1, v30
	v_addc_co_u32_e32 v31, vcc, 0, v31, vcc
	v_cmp_eq_u32_e32 vcc, 1, v30
	s_waitcnt vmcnt(3)
	v_cndmask_b32_e32 v35, v2, v3, vcc
	v_cmp_lt_u32_e32 vcc, 19, v30
	v_cmp_eq_u32_e64 s[2:3], 2, v30
	v_cndmask_b32_e64 v35, v35, v4, s[2:3]
	s_or_b64 s[8:9], vcc, s[8:9]
	v_cmp_eq_u32_e32 vcc, 3, v30
	v_cndmask_b32_e32 v35, v35, v5, vcc
	v_cmp_eq_u32_e32 vcc, 4, v30
	v_cndmask_b32_e32 v35, v35, v6, vcc
	;; [unrolled: 2-line block ×20, first 2 shown]
	v_cmp_eq_u32_e32 vcc, 23, v30
	ds_read_b32 v34, v33
	v_cndmask_b32_e32 v35, v35, v25, vcc
	v_cmp_eq_u32_e32 vcc, 24, v30
	v_cndmask_b32_e32 v35, v35, v26, vcc
	v_cmp_eq_u32_e32 vcc, 25, v30
	s_waitcnt vmcnt(2)
	v_cndmask_b32_e32 v35, v35, v27, vcc
	v_cmp_eq_u32_e32 vcc, 26, v30
	s_waitcnt vmcnt(1)
	;; [unrolled: 3-line block ×3, first 2 shown]
	v_cndmask_b32_e32 v35, v35, v29, vcc
	v_add_u32_e32 v33, 4, v33
	s_waitcnt lgkmcnt(0)
	v_fmac_f32_e32 v32, v35, v34
	s_andn2_b64 exec, exec, s[8:9]
	s_cbranch_execnz .LBB27_627
; %bb.628:
	s_or_b64 exec, exec, s[8:9]
.LBB27_629:
	s_or_b64 exec, exec, s[6:7]
	v_mov_b32_e32 v23, 0
	ds_read_b32 v23, v23 offset:84
	s_waitcnt lgkmcnt(0)
	v_mul_f32_e32 v23, v32, v23
.LBB27_630:
	s_or_b64 exec, exec, s[4:5]
	v_cmp_gt_u32_e32 vcc, 22, v0
	s_waitcnt vmcnt(6)
	ds_write_b32 v118, v24
	s_waitcnt lgkmcnt(0)
	; wave barrier
	s_and_saveexec_b64 s[4:5], vcc
	s_cbranch_execz .LBB27_640
; %bb.631:
	s_and_b64 vcc, exec, s[0:1]
	s_cbranch_vccnz .LBB27_633
; %bb.632:
	v_cmp_eq_u32_e32 vcc, 1, v0
	s_waitcnt vmcnt(3)
	v_cndmask_b32_e32 v30, v2, v3, vcc
	v_cmp_eq_u32_e32 vcc, 2, v0
	v_cndmask_b32_e32 v30, v30, v4, vcc
	v_cmp_eq_u32_e32 vcc, 3, v0
	;; [unrolled: 2-line block ×23, first 2 shown]
	ds_read_b32 v31, v118
	v_cndmask_b32_e32 v30, v30, v26, vcc
	v_cmp_eq_u32_e32 vcc, 25, v0
	s_waitcnt vmcnt(2)
	v_cndmask_b32_e32 v30, v30, v27, vcc
	v_cmp_eq_u32_e32 vcc, 26, v0
	s_waitcnt vmcnt(1)
	;; [unrolled: 3-line block ×3, first 2 shown]
	v_cndmask_b32_e32 v30, v30, v29, vcc
	s_waitcnt lgkmcnt(0)
	v_mul_f32_e32 v32, v30, v31
	s_cbranch_execz .LBB27_634
	s_branch .LBB27_635
.LBB27_633:
                                        ; implicit-def: $vgpr32
.LBB27_634:
	ds_read_b32 v32, v118
.LBB27_635:
	v_cmp_ne_u32_e32 vcc, 21, v0
	s_and_saveexec_b64 s[6:7], vcc
	s_cbranch_execz .LBB27_639
; %bb.636:
	v_mov_b32_e32 v30, 0x74
	v_lshl_add_u32 v33, v0, 2, v30
	v_mov_b32_e32 v31, v1
	s_mov_b64 s[8:9], 0
	v_mov_b32_e32 v30, v0
.LBB27_637:                             ; =>This Inner Loop Header: Depth=1
	v_add_co_u32_e32 v30, vcc, 1, v30
	v_addc_co_u32_e32 v31, vcc, 0, v31, vcc
	v_cmp_eq_u32_e32 vcc, 1, v30
	s_waitcnt vmcnt(3)
	v_cndmask_b32_e32 v35, v2, v3, vcc
	v_cmp_lt_u32_e32 vcc, 20, v30
	v_cmp_eq_u32_e64 s[2:3], 2, v30
	v_cndmask_b32_e64 v35, v35, v4, s[2:3]
	s_or_b64 s[8:9], vcc, s[8:9]
	v_cmp_eq_u32_e32 vcc, 3, v30
	v_cndmask_b32_e32 v35, v35, v5, vcc
	v_cmp_eq_u32_e32 vcc, 4, v30
	v_cndmask_b32_e32 v35, v35, v6, vcc
	;; [unrolled: 2-line block ×20, first 2 shown]
	v_cmp_eq_u32_e32 vcc, 23, v30
	ds_read_b32 v34, v33
	v_cndmask_b32_e32 v35, v35, v25, vcc
	v_cmp_eq_u32_e32 vcc, 24, v30
	v_cndmask_b32_e32 v35, v35, v26, vcc
	v_cmp_eq_u32_e32 vcc, 25, v30
	s_waitcnt vmcnt(2)
	v_cndmask_b32_e32 v35, v35, v27, vcc
	v_cmp_eq_u32_e32 vcc, 26, v30
	s_waitcnt vmcnt(1)
	;; [unrolled: 3-line block ×3, first 2 shown]
	v_cndmask_b32_e32 v35, v35, v29, vcc
	v_add_u32_e32 v33, 4, v33
	s_waitcnt lgkmcnt(0)
	v_fmac_f32_e32 v32, v35, v34
	s_andn2_b64 exec, exec, s[8:9]
	s_cbranch_execnz .LBB27_637
; %bb.638:
	s_or_b64 exec, exec, s[8:9]
.LBB27_639:
	s_or_b64 exec, exec, s[6:7]
	v_mov_b32_e32 v24, 0
	ds_read_b32 v24, v24 offset:88
	s_waitcnt lgkmcnt(0)
	v_mul_f32_e32 v24, v32, v24
.LBB27_640:
	s_or_b64 exec, exec, s[4:5]
	v_cmp_gt_u32_e32 vcc, 23, v0
	s_waitcnt vmcnt(5)
	ds_write_b32 v118, v25
	s_waitcnt lgkmcnt(0)
	; wave barrier
	s_and_saveexec_b64 s[4:5], vcc
	s_cbranch_execz .LBB27_650
; %bb.641:
	s_and_b64 vcc, exec, s[0:1]
	s_cbranch_vccnz .LBB27_643
; %bb.642:
	v_cmp_eq_u32_e32 vcc, 1, v0
	s_waitcnt vmcnt(3)
	v_cndmask_b32_e32 v30, v2, v3, vcc
	v_cmp_eq_u32_e32 vcc, 2, v0
	v_cndmask_b32_e32 v30, v30, v4, vcc
	v_cmp_eq_u32_e32 vcc, 3, v0
	v_cndmask_b32_e32 v30, v30, v5, vcc
	v_cmp_eq_u32_e32 vcc, 4, v0
	v_cndmask_b32_e32 v30, v30, v6, vcc
	v_cmp_eq_u32_e32 vcc, 5, v0
	v_cndmask_b32_e32 v30, v30, v7, vcc
	v_cmp_eq_u32_e32 vcc, 6, v0
	v_cndmask_b32_e32 v30, v30, v8, vcc
	v_cmp_eq_u32_e32 vcc, 7, v0
	v_cndmask_b32_e32 v30, v30, v9, vcc
	v_cmp_eq_u32_e32 vcc, 8, v0
	v_cndmask_b32_e32 v30, v30, v10, vcc
	v_cmp_eq_u32_e32 vcc, 9, v0
	v_cndmask_b32_e32 v30, v30, v11, vcc
	v_cmp_eq_u32_e32 vcc, 10, v0
	v_cndmask_b32_e32 v30, v30, v12, vcc
	v_cmp_eq_u32_e32 vcc, 11, v0
	v_cndmask_b32_e32 v30, v30, v13, vcc
	v_cmp_eq_u32_e32 vcc, 12, v0
	v_cndmask_b32_e32 v30, v30, v14, vcc
	v_cmp_eq_u32_e32 vcc, 13, v0
	v_cndmask_b32_e32 v30, v30, v15, vcc
	v_cmp_eq_u32_e32 vcc, 14, v0
	v_cndmask_b32_e32 v30, v30, v16, vcc
	v_cmp_eq_u32_e32 vcc, 15, v0
	v_cndmask_b32_e32 v30, v30, v17, vcc
	v_cmp_eq_u32_e32 vcc, 16, v0
	v_cndmask_b32_e32 v30, v30, v18, vcc
	v_cmp_eq_u32_e32 vcc, 17, v0
	v_cndmask_b32_e32 v30, v30, v19, vcc
	v_cmp_eq_u32_e32 vcc, 18, v0
	v_cndmask_b32_e32 v30, v30, v20, vcc
	v_cmp_eq_u32_e32 vcc, 19, v0
	v_cndmask_b32_e32 v30, v30, v21, vcc
	v_cmp_eq_u32_e32 vcc, 20, v0
	v_cndmask_b32_e32 v30, v30, v22, vcc
	v_cmp_eq_u32_e32 vcc, 21, v0
	v_cndmask_b32_e32 v30, v30, v23, vcc
	v_cmp_eq_u32_e32 vcc, 22, v0
	v_cndmask_b32_e32 v30, v30, v24, vcc
	v_cmp_eq_u32_e32 vcc, 23, v0
	v_cndmask_b32_e32 v30, v30, v25, vcc
	v_cmp_eq_u32_e32 vcc, 24, v0
	ds_read_b32 v31, v118
	v_cndmask_b32_e32 v30, v30, v26, vcc
	v_cmp_eq_u32_e32 vcc, 25, v0
	s_waitcnt vmcnt(2)
	v_cndmask_b32_e32 v30, v30, v27, vcc
	v_cmp_eq_u32_e32 vcc, 26, v0
	s_waitcnt vmcnt(1)
	;; [unrolled: 3-line block ×3, first 2 shown]
	v_cndmask_b32_e32 v30, v30, v29, vcc
	s_waitcnt lgkmcnt(0)
	v_mul_f32_e32 v32, v30, v31
	s_cbranch_execz .LBB27_644
	s_branch .LBB27_645
.LBB27_643:
                                        ; implicit-def: $vgpr32
.LBB27_644:
	ds_read_b32 v32, v118
.LBB27_645:
	v_cmp_ne_u32_e32 vcc, 22, v0
	s_and_saveexec_b64 s[6:7], vcc
	s_cbranch_execz .LBB27_649
; %bb.646:
	v_mov_b32_e32 v30, 0x74
	v_lshl_add_u32 v33, v0, 2, v30
	v_mov_b32_e32 v31, v1
	s_mov_b64 s[8:9], 0
	v_mov_b32_e32 v30, v0
.LBB27_647:                             ; =>This Inner Loop Header: Depth=1
	v_add_co_u32_e32 v30, vcc, 1, v30
	v_addc_co_u32_e32 v31, vcc, 0, v31, vcc
	v_cmp_eq_u32_e32 vcc, 1, v30
	s_waitcnt vmcnt(3)
	v_cndmask_b32_e32 v35, v2, v3, vcc
	v_cmp_lt_u32_e32 vcc, 21, v30
	v_cmp_eq_u32_e64 s[2:3], 2, v30
	v_cndmask_b32_e64 v35, v35, v4, s[2:3]
	s_or_b64 s[8:9], vcc, s[8:9]
	v_cmp_eq_u32_e32 vcc, 3, v30
	v_cndmask_b32_e32 v35, v35, v5, vcc
	v_cmp_eq_u32_e32 vcc, 4, v30
	v_cndmask_b32_e32 v35, v35, v6, vcc
	v_cmp_eq_u32_e32 vcc, 5, v30
	v_cndmask_b32_e32 v35, v35, v7, vcc
	v_cmp_eq_u32_e32 vcc, 6, v30
	v_cndmask_b32_e32 v35, v35, v8, vcc
	v_cmp_eq_u32_e32 vcc, 7, v30
	v_cndmask_b32_e32 v35, v35, v9, vcc
	v_cmp_eq_u32_e32 vcc, 8, v30
	v_cndmask_b32_e32 v35, v35, v10, vcc
	v_cmp_eq_u32_e32 vcc, 9, v30
	v_cndmask_b32_e32 v35, v35, v11, vcc
	v_cmp_eq_u32_e32 vcc, 10, v30
	v_cndmask_b32_e32 v35, v35, v12, vcc
	v_cmp_eq_u32_e32 vcc, 11, v30
	v_cndmask_b32_e32 v35, v35, v13, vcc
	v_cmp_eq_u32_e32 vcc, 12, v30
	v_cndmask_b32_e32 v35, v35, v14, vcc
	v_cmp_eq_u32_e32 vcc, 13, v30
	v_cndmask_b32_e32 v35, v35, v15, vcc
	v_cmp_eq_u32_e32 vcc, 14, v30
	v_cndmask_b32_e32 v35, v35, v16, vcc
	v_cmp_eq_u32_e32 vcc, 15, v30
	v_cndmask_b32_e32 v35, v35, v17, vcc
	v_cmp_eq_u32_e32 vcc, 16, v30
	v_cndmask_b32_e32 v35, v35, v18, vcc
	v_cmp_eq_u32_e32 vcc, 17, v30
	v_cndmask_b32_e32 v35, v35, v19, vcc
	v_cmp_eq_u32_e32 vcc, 18, v30
	v_cndmask_b32_e32 v35, v35, v20, vcc
	v_cmp_eq_u32_e32 vcc, 19, v30
	v_cndmask_b32_e32 v35, v35, v21, vcc
	v_cmp_eq_u32_e32 vcc, 20, v30
	v_cndmask_b32_e32 v35, v35, v22, vcc
	v_cmp_eq_u32_e32 vcc, 21, v30
	v_cndmask_b32_e32 v35, v35, v23, vcc
	v_cmp_eq_u32_e32 vcc, 22, v30
	v_cndmask_b32_e32 v35, v35, v24, vcc
	v_cmp_eq_u32_e32 vcc, 23, v30
	ds_read_b32 v34, v33
	v_cndmask_b32_e32 v35, v35, v25, vcc
	v_cmp_eq_u32_e32 vcc, 24, v30
	v_cndmask_b32_e32 v35, v35, v26, vcc
	v_cmp_eq_u32_e32 vcc, 25, v30
	s_waitcnt vmcnt(2)
	v_cndmask_b32_e32 v35, v35, v27, vcc
	v_cmp_eq_u32_e32 vcc, 26, v30
	s_waitcnt vmcnt(1)
	;; [unrolled: 3-line block ×3, first 2 shown]
	v_cndmask_b32_e32 v35, v35, v29, vcc
	v_add_u32_e32 v33, 4, v33
	s_waitcnt lgkmcnt(0)
	v_fmac_f32_e32 v32, v35, v34
	s_andn2_b64 exec, exec, s[8:9]
	s_cbranch_execnz .LBB27_647
; %bb.648:
	s_or_b64 exec, exec, s[8:9]
.LBB27_649:
	s_or_b64 exec, exec, s[6:7]
	v_mov_b32_e32 v25, 0
	ds_read_b32 v25, v25 offset:92
	s_waitcnt lgkmcnt(0)
	v_mul_f32_e32 v25, v32, v25
.LBB27_650:
	s_or_b64 exec, exec, s[4:5]
	v_cmp_gt_u32_e32 vcc, 24, v0
	s_waitcnt vmcnt(4)
	ds_write_b32 v118, v26
	s_waitcnt lgkmcnt(0)
	; wave barrier
	s_and_saveexec_b64 s[4:5], vcc
	s_cbranch_execz .LBB27_660
; %bb.651:
	s_and_b64 vcc, exec, s[0:1]
	s_cbranch_vccnz .LBB27_653
; %bb.652:
	v_cmp_eq_u32_e32 vcc, 1, v0
	s_waitcnt vmcnt(3)
	v_cndmask_b32_e32 v30, v2, v3, vcc
	v_cmp_eq_u32_e32 vcc, 2, v0
	v_cndmask_b32_e32 v30, v30, v4, vcc
	v_cmp_eq_u32_e32 vcc, 3, v0
	;; [unrolled: 2-line block ×23, first 2 shown]
	ds_read_b32 v31, v118
	v_cndmask_b32_e32 v30, v30, v26, vcc
	v_cmp_eq_u32_e32 vcc, 25, v0
	s_waitcnt vmcnt(2)
	v_cndmask_b32_e32 v30, v30, v27, vcc
	v_cmp_eq_u32_e32 vcc, 26, v0
	s_waitcnt vmcnt(1)
	;; [unrolled: 3-line block ×3, first 2 shown]
	v_cndmask_b32_e32 v30, v30, v29, vcc
	s_waitcnt lgkmcnt(0)
	v_mul_f32_e32 v32, v30, v31
	s_cbranch_execz .LBB27_654
	s_branch .LBB27_655
.LBB27_653:
                                        ; implicit-def: $vgpr32
.LBB27_654:
	ds_read_b32 v32, v118
.LBB27_655:
	v_cmp_ne_u32_e32 vcc, 23, v0
	s_and_saveexec_b64 s[6:7], vcc
	s_cbranch_execz .LBB27_659
; %bb.656:
	v_mov_b32_e32 v30, 0x74
	v_lshl_add_u32 v33, v0, 2, v30
	v_mov_b32_e32 v31, v1
	s_mov_b64 s[8:9], 0
	v_mov_b32_e32 v30, v0
.LBB27_657:                             ; =>This Inner Loop Header: Depth=1
	v_add_co_u32_e32 v30, vcc, 1, v30
	v_addc_co_u32_e32 v31, vcc, 0, v31, vcc
	v_cmp_eq_u32_e32 vcc, 1, v30
	s_waitcnt vmcnt(3)
	v_cndmask_b32_e32 v35, v2, v3, vcc
	v_cmp_lt_u32_e32 vcc, 22, v30
	v_cmp_eq_u32_e64 s[2:3], 2, v30
	v_cndmask_b32_e64 v35, v35, v4, s[2:3]
	s_or_b64 s[8:9], vcc, s[8:9]
	v_cmp_eq_u32_e32 vcc, 3, v30
	v_cndmask_b32_e32 v35, v35, v5, vcc
	v_cmp_eq_u32_e32 vcc, 4, v30
	v_cndmask_b32_e32 v35, v35, v6, vcc
	v_cmp_eq_u32_e32 vcc, 5, v30
	v_cndmask_b32_e32 v35, v35, v7, vcc
	v_cmp_eq_u32_e32 vcc, 6, v30
	v_cndmask_b32_e32 v35, v35, v8, vcc
	v_cmp_eq_u32_e32 vcc, 7, v30
	v_cndmask_b32_e32 v35, v35, v9, vcc
	v_cmp_eq_u32_e32 vcc, 8, v30
	v_cndmask_b32_e32 v35, v35, v10, vcc
	v_cmp_eq_u32_e32 vcc, 9, v30
	v_cndmask_b32_e32 v35, v35, v11, vcc
	v_cmp_eq_u32_e32 vcc, 10, v30
	v_cndmask_b32_e32 v35, v35, v12, vcc
	v_cmp_eq_u32_e32 vcc, 11, v30
	v_cndmask_b32_e32 v35, v35, v13, vcc
	v_cmp_eq_u32_e32 vcc, 12, v30
	v_cndmask_b32_e32 v35, v35, v14, vcc
	v_cmp_eq_u32_e32 vcc, 13, v30
	v_cndmask_b32_e32 v35, v35, v15, vcc
	v_cmp_eq_u32_e32 vcc, 14, v30
	v_cndmask_b32_e32 v35, v35, v16, vcc
	v_cmp_eq_u32_e32 vcc, 15, v30
	v_cndmask_b32_e32 v35, v35, v17, vcc
	v_cmp_eq_u32_e32 vcc, 16, v30
	v_cndmask_b32_e32 v35, v35, v18, vcc
	v_cmp_eq_u32_e32 vcc, 17, v30
	v_cndmask_b32_e32 v35, v35, v19, vcc
	v_cmp_eq_u32_e32 vcc, 18, v30
	v_cndmask_b32_e32 v35, v35, v20, vcc
	v_cmp_eq_u32_e32 vcc, 19, v30
	v_cndmask_b32_e32 v35, v35, v21, vcc
	v_cmp_eq_u32_e32 vcc, 20, v30
	v_cndmask_b32_e32 v35, v35, v22, vcc
	v_cmp_eq_u32_e32 vcc, 21, v30
	v_cndmask_b32_e32 v35, v35, v23, vcc
	v_cmp_eq_u32_e32 vcc, 22, v30
	v_cndmask_b32_e32 v35, v35, v24, vcc
	v_cmp_eq_u32_e32 vcc, 23, v30
	ds_read_b32 v34, v33
	v_cndmask_b32_e32 v35, v35, v25, vcc
	v_cmp_eq_u32_e32 vcc, 24, v30
	v_cndmask_b32_e32 v35, v35, v26, vcc
	v_cmp_eq_u32_e32 vcc, 25, v30
	s_waitcnt vmcnt(2)
	v_cndmask_b32_e32 v35, v35, v27, vcc
	v_cmp_eq_u32_e32 vcc, 26, v30
	s_waitcnt vmcnt(1)
	;; [unrolled: 3-line block ×3, first 2 shown]
	v_cndmask_b32_e32 v35, v35, v29, vcc
	v_add_u32_e32 v33, 4, v33
	s_waitcnt lgkmcnt(0)
	v_fmac_f32_e32 v32, v35, v34
	s_andn2_b64 exec, exec, s[8:9]
	s_cbranch_execnz .LBB27_657
; %bb.658:
	s_or_b64 exec, exec, s[8:9]
.LBB27_659:
	s_or_b64 exec, exec, s[6:7]
	v_mov_b32_e32 v26, 0
	ds_read_b32 v26, v26 offset:96
	s_waitcnt lgkmcnt(0)
	v_mul_f32_e32 v26, v32, v26
.LBB27_660:
	s_or_b64 exec, exec, s[4:5]
	v_cmp_gt_u32_e32 vcc, 25, v0
	s_waitcnt vmcnt(2)
	ds_write_b32 v118, v27
	s_waitcnt lgkmcnt(0)
	; wave barrier
	s_and_saveexec_b64 s[4:5], vcc
	s_cbranch_execz .LBB27_670
; %bb.661:
	s_and_b64 vcc, exec, s[0:1]
	s_cbranch_vccnz .LBB27_663
; %bb.662:
	v_cmp_eq_u32_e32 vcc, 1, v0
	v_cndmask_b32_e32 v30, v2, v3, vcc
	v_cmp_eq_u32_e32 vcc, 2, v0
	v_cndmask_b32_e32 v30, v30, v4, vcc
	;; [unrolled: 2-line block ×23, first 2 shown]
	v_cmp_eq_u32_e32 vcc, 24, v0
	ds_read_b32 v31, v118
	v_cndmask_b32_e32 v30, v30, v26, vcc
	v_cmp_eq_u32_e32 vcc, 25, v0
	v_cndmask_b32_e32 v30, v30, v27, vcc
	v_cmp_eq_u32_e32 vcc, 26, v0
	s_waitcnt vmcnt(1)
	v_cndmask_b32_e32 v30, v30, v28, vcc
	v_cmp_eq_u32_e32 vcc, 27, v0
	s_waitcnt vmcnt(0)
	v_cndmask_b32_e32 v30, v30, v29, vcc
	s_waitcnt lgkmcnt(0)
	v_mul_f32_e32 v32, v30, v31
	s_cbranch_execz .LBB27_664
	s_branch .LBB27_665
.LBB27_663:
                                        ; implicit-def: $vgpr32
.LBB27_664:
	ds_read_b32 v32, v118
.LBB27_665:
	v_cmp_ne_u32_e32 vcc, 24, v0
	s_and_saveexec_b64 s[6:7], vcc
	s_cbranch_execz .LBB27_669
; %bb.666:
	v_mov_b32_e32 v30, 0x74
	v_lshl_add_u32 v33, v0, 2, v30
	v_mov_b32_e32 v31, v1
	s_mov_b64 s[8:9], 0
	v_mov_b32_e32 v30, v0
.LBB27_667:                             ; =>This Inner Loop Header: Depth=1
	v_add_co_u32_e32 v30, vcc, 1, v30
	v_addc_co_u32_e32 v31, vcc, 0, v31, vcc
	v_cmp_eq_u32_e32 vcc, 1, v30
	v_cndmask_b32_e32 v35, v2, v3, vcc
	v_cmp_lt_u32_e32 vcc, 23, v30
	v_cmp_eq_u32_e64 s[2:3], 2, v30
	v_cndmask_b32_e64 v35, v35, v4, s[2:3]
	s_or_b64 s[8:9], vcc, s[8:9]
	v_cmp_eq_u32_e32 vcc, 3, v30
	v_cndmask_b32_e32 v35, v35, v5, vcc
	v_cmp_eq_u32_e32 vcc, 4, v30
	v_cndmask_b32_e32 v35, v35, v6, vcc
	;; [unrolled: 2-line block ×20, first 2 shown]
	v_cmp_eq_u32_e32 vcc, 23, v30
	ds_read_b32 v34, v33
	v_cndmask_b32_e32 v35, v35, v25, vcc
	v_cmp_eq_u32_e32 vcc, 24, v30
	v_cndmask_b32_e32 v35, v35, v26, vcc
	v_cmp_eq_u32_e32 vcc, 25, v30
	;; [unrolled: 2-line block ×3, first 2 shown]
	s_waitcnt vmcnt(1)
	v_cndmask_b32_e32 v35, v35, v28, vcc
	v_cmp_eq_u32_e32 vcc, 27, v30
	s_waitcnt vmcnt(0)
	v_cndmask_b32_e32 v35, v35, v29, vcc
	v_add_u32_e32 v33, 4, v33
	s_waitcnt lgkmcnt(0)
	v_fmac_f32_e32 v32, v35, v34
	s_andn2_b64 exec, exec, s[8:9]
	s_cbranch_execnz .LBB27_667
; %bb.668:
	s_or_b64 exec, exec, s[8:9]
.LBB27_669:
	s_or_b64 exec, exec, s[6:7]
	v_mov_b32_e32 v27, 0
	ds_read_b32 v27, v27 offset:100
	s_waitcnt lgkmcnt(0)
	v_mul_f32_e32 v27, v32, v27
.LBB27_670:
	s_or_b64 exec, exec, s[4:5]
	v_cmp_gt_u32_e64 s[2:3], 26, v0
	s_waitcnt vmcnt(1)
	ds_write_b32 v118, v28
	s_waitcnt lgkmcnt(0)
	; wave barrier
	s_and_saveexec_b64 s[6:7], s[2:3]
	s_cbranch_execz .LBB27_680
; %bb.671:
	s_and_b64 vcc, exec, s[0:1]
	s_cbranch_vccnz .LBB27_673
; %bb.672:
	v_cmp_eq_u32_e32 vcc, 1, v0
	v_cndmask_b32_e32 v30, v2, v3, vcc
	v_cmp_eq_u32_e32 vcc, 2, v0
	v_cndmask_b32_e32 v30, v30, v4, vcc
	;; [unrolled: 2-line block ×23, first 2 shown]
	v_cmp_eq_u32_e32 vcc, 24, v0
	ds_read_b32 v31, v118
	v_cndmask_b32_e32 v30, v30, v26, vcc
	v_cmp_eq_u32_e32 vcc, 25, v0
	v_cndmask_b32_e32 v30, v30, v27, vcc
	v_cmp_eq_u32_e32 vcc, 26, v0
	;; [unrolled: 2-line block ×3, first 2 shown]
	s_waitcnt vmcnt(0)
	v_cndmask_b32_e32 v30, v30, v29, vcc
	s_waitcnt lgkmcnt(0)
	v_mul_f32_e32 v32, v30, v31
	s_cbranch_execz .LBB27_674
	s_branch .LBB27_675
.LBB27_673:
                                        ; implicit-def: $vgpr32
.LBB27_674:
	ds_read_b32 v32, v118
.LBB27_675:
	v_cmp_ne_u32_e32 vcc, 25, v0
	s_and_saveexec_b64 s[8:9], vcc
	s_cbranch_execz .LBB27_679
; %bb.676:
	v_mov_b32_e32 v30, 0x74
	v_lshl_add_u32 v33, v0, 2, v30
	v_mov_b32_e32 v31, v1
	s_mov_b64 s[10:11], 0
	v_mov_b32_e32 v30, v0
.LBB27_677:                             ; =>This Inner Loop Header: Depth=1
	v_add_co_u32_e32 v30, vcc, 1, v30
	v_addc_co_u32_e32 v31, vcc, 0, v31, vcc
	v_cmp_eq_u32_e32 vcc, 1, v30
	v_cndmask_b32_e32 v35, v2, v3, vcc
	v_cmp_lt_u32_e32 vcc, 24, v30
	v_cmp_eq_u32_e64 s[4:5], 2, v30
	v_cndmask_b32_e64 v35, v35, v4, s[4:5]
	s_or_b64 s[10:11], vcc, s[10:11]
	v_cmp_eq_u32_e32 vcc, 3, v30
	v_cndmask_b32_e32 v35, v35, v5, vcc
	v_cmp_eq_u32_e32 vcc, 4, v30
	v_cndmask_b32_e32 v35, v35, v6, vcc
	;; [unrolled: 2-line block ×20, first 2 shown]
	v_cmp_eq_u32_e32 vcc, 23, v30
	ds_read_b32 v34, v33
	v_cndmask_b32_e32 v35, v35, v25, vcc
	v_cmp_eq_u32_e32 vcc, 24, v30
	v_cndmask_b32_e32 v35, v35, v26, vcc
	v_cmp_eq_u32_e32 vcc, 25, v30
	;; [unrolled: 2-line block ×4, first 2 shown]
	s_waitcnt vmcnt(0)
	v_cndmask_b32_e32 v35, v35, v29, vcc
	v_add_u32_e32 v33, 4, v33
	s_waitcnt lgkmcnt(0)
	v_fmac_f32_e32 v32, v35, v34
	s_andn2_b64 exec, exec, s[10:11]
	s_cbranch_execnz .LBB27_677
; %bb.678:
	s_or_b64 exec, exec, s[10:11]
.LBB27_679:
	s_or_b64 exec, exec, s[8:9]
	v_mov_b32_e32 v28, 0
	ds_read_b32 v28, v28 offset:104
	s_waitcnt lgkmcnt(0)
	v_mul_f32_e32 v28, v32, v28
.LBB27_680:
	s_or_b64 exec, exec, s[6:7]
	v_cmp_ne_u32_e32 vcc, 27, v0
	s_waitcnt vmcnt(0)
	ds_write_b32 v118, v29
	s_waitcnt lgkmcnt(0)
	; wave barrier
	s_and_saveexec_b64 s[4:5], vcc
	s_cbranch_execz .LBB27_690
; %bb.681:
	s_and_b64 vcc, exec, s[0:1]
	s_cbranch_vccnz .LBB27_683
; %bb.682:
	v_cmp_eq_u32_e32 vcc, 1, v0
	v_cndmask_b32_e32 v30, v2, v3, vcc
	v_cmp_eq_u32_e32 vcc, 2, v0
	v_cndmask_b32_e32 v30, v30, v4, vcc
	;; [unrolled: 2-line block ×23, first 2 shown]
	v_cmp_eq_u32_e32 vcc, 24, v0
	ds_read_b32 v31, v118
	v_cndmask_b32_e32 v30, v30, v26, vcc
	v_cmp_eq_u32_e32 vcc, 25, v0
	v_cndmask_b32_e32 v30, v30, v27, vcc
	v_cmp_eq_u32_e32 vcc, 26, v0
	;; [unrolled: 2-line block ×3, first 2 shown]
	v_cndmask_b32_e32 v30, v30, v29, vcc
	s_waitcnt lgkmcnt(0)
	v_mul_f32_e32 v30, v30, v31
	s_cbranch_execz .LBB27_684
	s_branch .LBB27_685
.LBB27_683:
                                        ; implicit-def: $vgpr30
.LBB27_684:
	ds_read_b32 v30, v118
.LBB27_685:
	s_and_saveexec_b64 s[6:7], s[2:3]
	s_cbranch_execz .LBB27_689
; %bb.686:
	v_mov_b32_e32 v31, 0x74
	v_lshl_add_u32 v31, v0, 2, v31
	s_mov_b64 s[2:3], 0
.LBB27_687:                             ; =>This Inner Loop Header: Depth=1
	v_add_co_u32_e32 v0, vcc, 1, v0
	v_addc_co_u32_e32 v1, vcc, 0, v1, vcc
	v_cmp_eq_u32_e32 vcc, 1, v0
	v_cndmask_b32_e32 v33, v2, v3, vcc
	v_cmp_lt_u32_e32 vcc, 25, v0
	v_cmp_eq_u32_e64 s[0:1], 2, v0
	v_cndmask_b32_e64 v33, v33, v4, s[0:1]
	s_or_b64 s[2:3], vcc, s[2:3]
	v_cmp_eq_u32_e32 vcc, 3, v0
	v_cndmask_b32_e32 v33, v33, v5, vcc
	v_cmp_eq_u32_e32 vcc, 4, v0
	v_cndmask_b32_e32 v33, v33, v6, vcc
	;; [unrolled: 2-line block ×20, first 2 shown]
	v_cmp_eq_u32_e32 vcc, 23, v0
	ds_read_b32 v32, v31
	v_cndmask_b32_e32 v33, v33, v25, vcc
	v_cmp_eq_u32_e32 vcc, 24, v0
	v_cndmask_b32_e32 v33, v33, v26, vcc
	v_cmp_eq_u32_e32 vcc, 25, v0
	;; [unrolled: 2-line block ×4, first 2 shown]
	v_cndmask_b32_e32 v33, v33, v29, vcc
	v_add_u32_e32 v31, 4, v31
	s_waitcnt lgkmcnt(0)
	v_fmac_f32_e32 v30, v33, v32
	s_andn2_b64 exec, exec, s[2:3]
	s_cbranch_execnz .LBB27_687
; %bb.688:
	s_or_b64 exec, exec, s[2:3]
.LBB27_689:
	s_or_b64 exec, exec, s[6:7]
	v_mov_b32_e32 v0, 0
	ds_read_b32 v0, v0 offset:108
	s_waitcnt lgkmcnt(0)
	v_mul_f32_e32 v29, v30, v0
.LBB27_690:
	s_or_b64 exec, exec, s[4:5]
	v_mov_b32_e32 v61, v33
	v_mov_b32_e32 v60, v32
	;; [unrolled: 1-line block ×32, first 2 shown]
.LBB27_691:
	global_store_dword v[114:115], v30, off
	global_store_dword v[116:117], v31, off
	global_store_dword v[62:63], v32, off
	global_store_dword v[64:65], v33, off
	global_store_dword v[66:67], v34, off
	global_store_dword v[68:69], v35, off
	global_store_dword v[70:71], v36, off
	global_store_dword v[72:73], v37, off
	global_store_dword v[74:75], v38, off
	global_store_dword v[76:77], v39, off
	global_store_dword v[78:79], v40, off
	global_store_dword v[80:81], v41, off
	global_store_dword v[82:83], v42, off
	global_store_dword v[84:85], v43, off
	global_store_dword v[86:87], v44, off
	global_store_dword v[88:89], v45, off
	global_store_dword v[90:91], v46, off
	global_store_dword v[92:93], v47, off
	global_store_dword v[94:95], v48, off
	global_store_dword v[96:97], v49, off
	global_store_dword v[98:99], v50, off
	global_store_dword v[100:101], v51, off
	global_store_dword v[102:103], v52, off
	global_store_dword v[104:105], v53, off
	global_store_dword v[106:107], v54, off
	global_store_dword v[108:109], v55, off
	global_store_dword v[110:111], v56, off
	global_store_dword v[112:113], v57, off
.LBB27_692:
	s_endpgm
	.section	.rodata,"a",@progbits
	.p2align	6, 0x0
	.amdhsa_kernel _ZN9rocsolver6v33100L18trti2_kernel_smallILi28EfPfEEv13rocblas_fill_17rocblas_diagonal_T1_iil
		.amdhsa_group_segment_fixed_size 224
		.amdhsa_private_segment_fixed_size 0
		.amdhsa_kernarg_size 32
		.amdhsa_user_sgpr_count 6
		.amdhsa_user_sgpr_private_segment_buffer 1
		.amdhsa_user_sgpr_dispatch_ptr 0
		.amdhsa_user_sgpr_queue_ptr 0
		.amdhsa_user_sgpr_kernarg_segment_ptr 1
		.amdhsa_user_sgpr_dispatch_id 0
		.amdhsa_user_sgpr_flat_scratch_init 0
		.amdhsa_user_sgpr_private_segment_size 0
		.amdhsa_uses_dynamic_stack 0
		.amdhsa_system_sgpr_private_segment_wavefront_offset 0
		.amdhsa_system_sgpr_workgroup_id_x 1
		.amdhsa_system_sgpr_workgroup_id_y 0
		.amdhsa_system_sgpr_workgroup_id_z 0
		.amdhsa_system_sgpr_workgroup_info 0
		.amdhsa_system_vgpr_workitem_id 0
		.amdhsa_next_free_vgpr 136
		.amdhsa_next_free_sgpr 68
		.amdhsa_reserve_vcc 1
		.amdhsa_reserve_flat_scratch 0
		.amdhsa_float_round_mode_32 0
		.amdhsa_float_round_mode_16_64 0
		.amdhsa_float_denorm_mode_32 3
		.amdhsa_float_denorm_mode_16_64 3
		.amdhsa_dx10_clamp 1
		.amdhsa_ieee_mode 1
		.amdhsa_fp16_overflow 0
		.amdhsa_exception_fp_ieee_invalid_op 0
		.amdhsa_exception_fp_denorm_src 0
		.amdhsa_exception_fp_ieee_div_zero 0
		.amdhsa_exception_fp_ieee_overflow 0
		.amdhsa_exception_fp_ieee_underflow 0
		.amdhsa_exception_fp_ieee_inexact 0
		.amdhsa_exception_int_div_zero 0
	.end_amdhsa_kernel
	.section	.text._ZN9rocsolver6v33100L18trti2_kernel_smallILi28EfPfEEv13rocblas_fill_17rocblas_diagonal_T1_iil,"axG",@progbits,_ZN9rocsolver6v33100L18trti2_kernel_smallILi28EfPfEEv13rocblas_fill_17rocblas_diagonal_T1_iil,comdat
.Lfunc_end27:
	.size	_ZN9rocsolver6v33100L18trti2_kernel_smallILi28EfPfEEv13rocblas_fill_17rocblas_diagonal_T1_iil, .Lfunc_end27-_ZN9rocsolver6v33100L18trti2_kernel_smallILi28EfPfEEv13rocblas_fill_17rocblas_diagonal_T1_iil
                                        ; -- End function
	.set _ZN9rocsolver6v33100L18trti2_kernel_smallILi28EfPfEEv13rocblas_fill_17rocblas_diagonal_T1_iil.num_vgpr, 136
	.set _ZN9rocsolver6v33100L18trti2_kernel_smallILi28EfPfEEv13rocblas_fill_17rocblas_diagonal_T1_iil.num_agpr, 0
	.set _ZN9rocsolver6v33100L18trti2_kernel_smallILi28EfPfEEv13rocblas_fill_17rocblas_diagonal_T1_iil.numbered_sgpr, 68
	.set _ZN9rocsolver6v33100L18trti2_kernel_smallILi28EfPfEEv13rocblas_fill_17rocblas_diagonal_T1_iil.num_named_barrier, 0
	.set _ZN9rocsolver6v33100L18trti2_kernel_smallILi28EfPfEEv13rocblas_fill_17rocblas_diagonal_T1_iil.private_seg_size, 0
	.set _ZN9rocsolver6v33100L18trti2_kernel_smallILi28EfPfEEv13rocblas_fill_17rocblas_diagonal_T1_iil.uses_vcc, 1
	.set _ZN9rocsolver6v33100L18trti2_kernel_smallILi28EfPfEEv13rocblas_fill_17rocblas_diagonal_T1_iil.uses_flat_scratch, 0
	.set _ZN9rocsolver6v33100L18trti2_kernel_smallILi28EfPfEEv13rocblas_fill_17rocblas_diagonal_T1_iil.has_dyn_sized_stack, 0
	.set _ZN9rocsolver6v33100L18trti2_kernel_smallILi28EfPfEEv13rocblas_fill_17rocblas_diagonal_T1_iil.has_recursion, 0
	.set _ZN9rocsolver6v33100L18trti2_kernel_smallILi28EfPfEEv13rocblas_fill_17rocblas_diagonal_T1_iil.has_indirect_call, 0
	.section	.AMDGPU.csdata,"",@progbits
; Kernel info:
; codeLenInByte = 44872
; TotalNumSgprs: 72
; NumVgprs: 136
; ScratchSize: 0
; MemoryBound: 0
; FloatMode: 240
; IeeeMode: 1
; LDSByteSize: 224 bytes/workgroup (compile time only)
; SGPRBlocks: 8
; VGPRBlocks: 33
; NumSGPRsForWavesPerEU: 72
; NumVGPRsForWavesPerEU: 136
; Occupancy: 1
; WaveLimiterHint : 0
; COMPUTE_PGM_RSRC2:SCRATCH_EN: 0
; COMPUTE_PGM_RSRC2:USER_SGPR: 6
; COMPUTE_PGM_RSRC2:TRAP_HANDLER: 0
; COMPUTE_PGM_RSRC2:TGID_X_EN: 1
; COMPUTE_PGM_RSRC2:TGID_Y_EN: 0
; COMPUTE_PGM_RSRC2:TGID_Z_EN: 0
; COMPUTE_PGM_RSRC2:TIDIG_COMP_CNT: 0
	.section	.text._ZN9rocsolver6v33100L18trti2_kernel_smallILi29EfPfEEv13rocblas_fill_17rocblas_diagonal_T1_iil,"axG",@progbits,_ZN9rocsolver6v33100L18trti2_kernel_smallILi29EfPfEEv13rocblas_fill_17rocblas_diagonal_T1_iil,comdat
	.globl	_ZN9rocsolver6v33100L18trti2_kernel_smallILi29EfPfEEv13rocblas_fill_17rocblas_diagonal_T1_iil ; -- Begin function _ZN9rocsolver6v33100L18trti2_kernel_smallILi29EfPfEEv13rocblas_fill_17rocblas_diagonal_T1_iil
	.p2align	8
	.type	_ZN9rocsolver6v33100L18trti2_kernel_smallILi29EfPfEEv13rocblas_fill_17rocblas_diagonal_T1_iil,@function
_ZN9rocsolver6v33100L18trti2_kernel_smallILi29EfPfEEv13rocblas_fill_17rocblas_diagonal_T1_iil: ; @_ZN9rocsolver6v33100L18trti2_kernel_smallILi29EfPfEEv13rocblas_fill_17rocblas_diagonal_T1_iil
; %bb.0:
	v_cmp_gt_u32_e32 vcc, 29, v0
	s_and_saveexec_b64 s[0:1], vcc
	s_cbranch_execz .LBB28_718
; %bb.1:
	s_load_dwordx8 s[60:67], s[4:5], 0x0
	s_ashr_i32 s2, s6, 31
	v_lshlrev_b32_e32 v31, 2, v0
	v_mov_b32_e32 v32, -1.0
	s_waitcnt lgkmcnt(0)
	s_mul_hi_u32 s3, s66, s6
	s_mul_i32 s2, s66, s2
	s_add_i32 s2, s3, s2
	s_mul_i32 s3, s67, s6
	s_add_i32 s3, s2, s3
	s_mul_i32 s2, s66, s6
	s_ashr_i32 s1, s64, 31
	s_lshl_b64 s[2:3], s[2:3], 2
	s_mov_b32 s0, s64
	s_add_u32 s2, s62, s2
	s_addc_u32 s3, s63, s3
	s_lshl_b64 s[0:1], s[0:1], 2
	s_add_u32 s0, s2, s0
	s_addc_u32 s1, s3, s1
	s_add_i32 s2, s65, s65
	v_add_u32_e32 v1, s2, v0
	v_ashrrev_i32_e32 v2, 31, v1
	v_lshlrev_b64 v[2:3], 2, v[1:2]
	v_add_u32_e32 v1, s65, v1
	v_mov_b32_e32 v4, s1
	v_add_co_u32_e32 v63, vcc, s0, v2
	v_ashrrev_i32_e32 v2, 31, v1
	v_addc_co_u32_e32 v64, vcc, v4, v3, vcc
	v_lshlrev_b64 v[2:3], 2, v[1:2]
	v_add_u32_e32 v1, s65, v1
	v_add_co_u32_e32 v65, vcc, s0, v2
	v_ashrrev_i32_e32 v2, 31, v1
	v_addc_co_u32_e32 v66, vcc, v4, v3, vcc
	v_lshlrev_b64 v[2:3], 2, v[1:2]
	v_add_u32_e32 v1, s65, v1
	;; [unrolled: 5-line block ×25, first 2 shown]
	v_add_co_u32_e32 v113, vcc, s0, v2
	v_ashrrev_i32_e32 v2, 31, v1
	v_lshlrev_b64 v[1:2], 2, v[1:2]
	v_addc_co_u32_e32 v114, vcc, v4, v3, vcc
	v_mov_b32_e32 v3, s1
	v_add_co_u32_e32 v115, vcc, s0, v1
	v_addc_co_u32_e32 v116, vcc, v3, v2, vcc
	v_mov_b32_e32 v1, s1
	v_add_co_u32_e32 v117, vcc, s0, v31
	s_ashr_i32 s3, s65, 31
	s_mov_b32 s2, s65
	v_addc_co_u32_e32 v118, vcc, 0, v1, vcc
	s_lshl_b64 s[2:3], s[2:3], 2
	v_mov_b32_e32 v1, s3
	v_add_co_u32_e32 v119, vcc, s2, v117
	v_addc_co_u32_e32 v120, vcc, v118, v1, vcc
	global_load_dword v3, v[119:120], off
	global_load_dword v4, v[63:64], off
	;; [unrolled: 1-line block ×24, first 2 shown]
	global_load_dword v2, v31, s[0:1]
	global_load_dword v27, v[109:110], off
	global_load_dword v28, v[111:112], off
	;; [unrolled: 1-line block ×4, first 2 shown]
	s_cmpk_lg_i32 s61, 0x84
	v_mov_b32_e32 v1, 0
	s_cselect_b64 s[62:63], -1, 0
	s_cmpk_eq_i32 s61, 0x84
	v_cmp_eq_u32_e64 s[0:1], 0, v0
	s_cbranch_scc1 .LBB28_3
; %bb.2:
	v_cmp_eq_u32_e64 s[2:3], 1, v0
	s_waitcnt vmcnt(4)
	v_cndmask_b32_e64 v32, v2, v3, s[2:3]
	v_cmp_eq_u32_e64 s[4:5], 2, v0
	v_cndmask_b32_e64 v32, v32, v4, s[4:5]
	v_cmp_eq_u32_e64 s[6:7], 3, v0
	;; [unrolled: 2-line block ×24, first 2 shown]
	s_waitcnt vmcnt(3)
	v_cndmask_b32_e64 v32, v32, v27, s[52:53]
	v_cmp_eq_u32_e64 s[54:55], 26, v0
	s_waitcnt vmcnt(2)
	v_cndmask_b32_e64 v32, v32, v28, s[54:55]
	v_cmp_eq_u32_e64 s[56:57], 27, v0
	;; [unrolled: 3-line block ×3, first 2 shown]
	s_waitcnt vmcnt(0)
	v_cndmask_b32_e64 v32, v32, v30, s[58:59]
	v_div_scale_f32 v33, s[64:65], v32, v32, 1.0
	v_div_scale_f32 v34, vcc, 1.0, v32, 1.0
	v_rcp_f32_e32 v35, v33
	v_fma_f32 v36, -v33, v35, 1.0
	v_fmac_f32_e32 v35, v36, v35
	v_mul_f32_e32 v36, v34, v35
	v_fma_f32 v37, -v33, v36, v34
	v_fmac_f32_e32 v36, v37, v35
	v_fma_f32 v33, -v33, v36, v34
	v_div_fmas_f32 v33, v33, v35, v36
	v_div_fixup_f32 v32, v33, v32, 1.0
	v_cndmask_b32_e64 v30, v30, v32, s[58:59]
	v_cndmask_b32_e64 v29, v29, v32, s[56:57]
	;; [unrolled: 1-line block ×29, first 2 shown]
	v_xor_b32_e32 v32, 0x80000000, v32
.LBB28_3:
	s_cmpk_eq_i32 s60, 0x79
	v_add_u32_e32 v121, 0x80, v31
	ds_write_b32 v31, v32
	s_cbranch_scc1 .LBB28_7
; %bb.4:
	s_waitcnt vmcnt(0)
	v_mov_b32_e32 v62, v33
	v_mov_b32_e32 v61, v32
	;; [unrolled: 1-line block ×32, first 2 shown]
	v_cmp_eq_u32_e64 s[2:3], 28, v0
	ds_write_b32 v121, v29
	s_waitcnt lgkmcnt(0)
	; wave barrier
	s_and_saveexec_b64 s[0:1], s[2:3]
	s_cbranch_execz .LBB28_11
; %bb.5:
	s_and_b64 vcc, exec, s[62:63]
	s_cbranch_vccz .LBB28_8
; %bb.6:
	v_cmp_eq_u32_e32 vcc, 1, v0
	v_cndmask_b32_e32 v31, v2, v3, vcc
	v_cmp_eq_u32_e32 vcc, 2, v0
	v_cndmask_b32_e32 v31, v31, v4, vcc
	;; [unrolled: 2-line block ×24, first 2 shown]
	v_cmp_eq_u32_e32 vcc, 25, v0
	ds_read_b32 v32, v121
	v_cndmask_b32_e32 v31, v31, v27, vcc
	v_cmp_eq_u32_e32 vcc, 26, v0
	v_cndmask_b32_e32 v31, v31, v28, vcc
	v_cmp_eq_u32_e32 vcc, 27, v0
	;; [unrolled: 2-line block ×3, first 2 shown]
	v_cndmask_b32_e32 v31, v31, v30, vcc
	s_waitcnt lgkmcnt(0)
	v_mul_f32_e32 v35, v31, v32
	s_cbranch_execz .LBB28_9
	s_branch .LBB28_10
.LBB28_7:
                                        ; implicit-def: $vgpr31_vgpr32_vgpr33_vgpr34_vgpr35_vgpr36_vgpr37_vgpr38_vgpr39_vgpr40_vgpr41_vgpr42_vgpr43_vgpr44_vgpr45_vgpr46_vgpr47_vgpr48_vgpr49_vgpr50_vgpr51_vgpr52_vgpr53_vgpr54_vgpr55_vgpr56_vgpr57_vgpr58_vgpr59_vgpr60_vgpr61_vgpr62
	s_cbranch_execnz .LBB28_434
	s_branch .LBB28_717
.LBB28_8:
                                        ; implicit-def: $vgpr35
.LBB28_9:
	ds_read_b32 v35, v121
.LBB28_10:
	v_mov_b32_e32 v31, 0
	ds_read_b32 v36, v31 offset:108
	v_mov_b32_e32 v31, v2
	v_mov_b32_e32 v32, v3
	;; [unrolled: 1-line block ×4, first 2 shown]
	s_waitcnt lgkmcnt(0)
	v_mul_f32_e32 v58, v35, v36
	v_mov_b32_e32 v35, v6
	v_mov_b32_e32 v36, v7
	;; [unrolled: 1-line block ×24, first 2 shown]
.LBB28_11:
	s_or_b64 exec, exec, s[0:1]
	v_cmp_lt_u32_e64 s[0:1], 26, v0
	ds_write_b32 v121, v57
	s_waitcnt lgkmcnt(0)
	; wave barrier
	s_and_saveexec_b64 s[4:5], s[0:1]
	s_cbranch_execz .LBB28_17
; %bb.12:
	s_andn2_b64 vcc, exec, s[62:63]
	s_cbranch_vccnz .LBB28_14
; %bb.13:
	v_cmp_eq_u32_e32 vcc, 1, v0
	v_cndmask_b32_e32 v60, v31, v32, vcc
	v_cmp_eq_u32_e32 vcc, 2, v0
	v_cndmask_b32_e32 v60, v60, v33, vcc
	;; [unrolled: 2-line block ×26, first 2 shown]
	ds_read_b32 v60, v121
	v_cmp_eq_u32_e32 vcc, 27, v0
	v_cndmask_b32_e32 v57, v57, v58, vcc
	v_cmp_eq_u32_e32 vcc, 28, v0
	v_cndmask_b32_e32 v57, v57, v59, vcc
	s_waitcnt lgkmcnt(0)
	v_mul_f32_e32 v57, v57, v60
	s_cbranch_execz .LBB28_15
	s_branch .LBB28_16
.LBB28_14:
                                        ; implicit-def: $vgpr57
.LBB28_15:
	ds_read_b32 v57, v121
.LBB28_16:
	v_mov_b32_e32 v60, 0
	ds_read2_b32 v[60:61], v60 offset0:26 offset1:59
	s_waitcnt lgkmcnt(0)
	v_fma_f32 v61, v58, v61, v57
	v_cndmask_b32_e64 v57, v57, v61, s[2:3]
	v_mul_f32_e32 v57, v57, v60
.LBB28_17:
	s_or_b64 exec, exec, s[4:5]
	v_cmp_lt_u32_e64 s[2:3], 25, v0
	ds_write_b32 v121, v56
	s_waitcnt lgkmcnt(0)
	; wave barrier
	s_and_saveexec_b64 s[4:5], s[2:3]
	s_cbranch_execz .LBB28_33
; %bb.18:
	s_andn2_b64 vcc, exec, s[62:63]
	s_cbranch_vccnz .LBB28_20
; %bb.19:
	v_cmp_eq_u32_e32 vcc, 1, v0
	v_cndmask_b32_e32 v122, v31, v32, vcc
	v_cmp_eq_u32_e32 vcc, 2, v0
	v_cndmask_b32_e32 v122, v122, v33, vcc
	;; [unrolled: 2-line block ×24, first 2 shown]
	v_cmp_eq_u32_e32 vcc, 25, v0
	ds_read_b32 v123, v121
	v_cndmask_b32_e32 v122, v122, v56, vcc
	v_cmp_eq_u32_e32 vcc, 26, v0
	v_cndmask_b32_e32 v122, v122, v57, vcc
	v_cmp_eq_u32_e32 vcc, 27, v0
	;; [unrolled: 2-line block ×3, first 2 shown]
	v_cndmask_b32_e32 v122, v122, v59, vcc
	s_waitcnt lgkmcnt(0)
	v_mul_f32_e32 v122, v122, v123
	s_cbranch_execz .LBB28_21
	s_branch .LBB28_22
.LBB28_20:
                                        ; implicit-def: $vgpr122
.LBB28_21:
	ds_read_b32 v122, v121
.LBB28_22:
	s_and_saveexec_b64 s[6:7], s[0:1]
	s_cbranch_execz .LBB28_32
; %bb.23:
	v_subrev_u32_e32 v125, 27, v0
	v_mov_b32_e32 v123, 26
	v_subrev_u32_e32 v124, 26, v0
	v_cmp_lt_u32_e32 vcc, 6, v125
	s_and_saveexec_b64 s[0:1], vcc
	s_cbranch_execz .LBB28_27
; %bb.24:
	v_and_b32_e32 v123, -8, v124
	v_sub_u32_e32 v125, 0, v123
	s_mov_b64 s[8:9], 33
	s_movk_i32 s12, 0xe8
	s_mov_b64 s[10:11], 0
.LBB28_25:                              ; =>This Inner Loop Header: Depth=1
	s_add_i32 s13, s8, -7
	v_mov_b32_e32 v123, s12
	s_add_i32 s14, s8, -6
	s_set_gpr_idx_on s13, gpr_idx(SRC0)
	v_mov_b32_e32 v134, v31
	s_set_gpr_idx_off
	ds_read2_b64 v[126:129], v123 offset1:1
	s_add_i32 s15, s8, -5
	s_set_gpr_idx_on s14, gpr_idx(SRC0)
	v_mov_b32_e32 v135, v31
	s_set_gpr_idx_off
	s_add_i32 s16, s8, -4
	s_set_gpr_idx_on s15, gpr_idx(SRC0)
	v_mov_b32_e32 v136, v31
	s_set_gpr_idx_off
	;; [unrolled: 4-line block ×4, first 2 shown]
	ds_read2_b64 v[130:133], v123 offset0:2 offset1:3
	s_add_i32 s19, s8, -1
	s_waitcnt lgkmcnt(1)
	v_fmac_f32_e32 v122, v134, v126
	s_set_gpr_idx_on s18, gpr_idx(SRC0)
	v_mov_b32_e32 v126, v31
	s_set_gpr_idx_off
	v_fmac_f32_e32 v122, v135, v127
	s_set_gpr_idx_on s19, gpr_idx(SRC0)
	v_mov_b32_e32 v127, v31
	s_set_gpr_idx_off
	;; [unrolled: 4-line block ×3, first 2 shown]
	v_fmac_f32_e32 v122, v137, v129
	s_add_u32 s8, s8, 8
	s_waitcnt lgkmcnt(0)
	v_fmac_f32_e32 v122, v138, v130
	v_add_u32_e32 v123, s8, v125
	v_fmac_f32_e32 v122, v126, v131
	s_addc_u32 s9, s9, 0
	s_add_i32 s12, s12, 32
	s_add_i32 s13, s8, -7
	v_cmp_eq_u32_e32 vcc, 33, v123
	v_fmac_f32_e32 v122, v127, v132
	v_mov_b32_e32 v123, s13
	s_or_b64 s[10:11], vcc, s[10:11]
	v_fmac_f32_e32 v122, v128, v133
	s_andn2_b64 exec, exec, s[10:11]
	s_cbranch_execnz .LBB28_25
; %bb.26:
	s_or_b64 exec, exec, s[10:11]
.LBB28_27:
	s_or_b64 exec, exec, s[0:1]
	v_and_b32_e32 v60, 7, v124
	v_cmp_ne_u32_e32 vcc, 0, v60
	s_and_saveexec_b64 s[8:9], vcc
	s_cbranch_execz .LBB28_31
; %bb.28:
	v_mov_b32_e32 v61, 0x80
	v_lshl_add_u32 v61, v123, 2, v61
	v_mov_b32_e32 v62, 0
	s_mov_b64 s[10:11], 0
.LBB28_29:                              ; =>This Inner Loop Header: Depth=1
	v_cmp_eq_u32_e32 vcc, 1, v123
	v_cndmask_b32_e32 v124, v31, v32, vcc
	v_add_u32_e32 v60, -1, v60
	v_cmp_eq_u32_e32 vcc, 2, v123
	v_cndmask_b32_e32 v124, v124, v33, vcc
	v_cmp_eq_u32_e32 vcc, 0, v60
	v_cmp_eq_u32_e64 s[0:1], 3, v123
	v_cndmask_b32_e64 v124, v124, v34, s[0:1]
	s_or_b64 s[10:11], vcc, s[10:11]
	v_cmp_eq_u32_e32 vcc, 4, v123
	v_cndmask_b32_e32 v124, v124, v35, vcc
	v_cmp_eq_u32_e32 vcc, 5, v123
	v_cndmask_b32_e32 v124, v124, v36, vcc
	;; [unrolled: 2-line block ×20, first 2 shown]
	v_cmp_eq_u32_e32 vcc, 24, v123
	ds_read_b32 v125, v61
	v_cndmask_b32_e32 v124, v124, v55, vcc
	v_cmp_eq_u32_e32 vcc, 25, v123
	v_cndmask_b32_e32 v124, v124, v56, vcc
	v_cmp_eq_u32_e32 vcc, 26, v123
	;; [unrolled: 2-line block ×4, first 2 shown]
	v_add_co_u32_e64 v123, s[0:1], 1, v123
	v_cndmask_b32_e32 v124, v124, v59, vcc
	v_add_u32_e32 v61, 4, v61
	v_addc_co_u32_e64 v62, s[0:1], 0, v62, s[0:1]
	s_waitcnt lgkmcnt(0)
	v_fmac_f32_e32 v122, v124, v125
	s_andn2_b64 exec, exec, s[10:11]
	s_cbranch_execnz .LBB28_29
; %bb.30:
	s_or_b64 exec, exec, s[10:11]
.LBB28_31:
	s_or_b64 exec, exec, s[8:9]
.LBB28_32:
	s_or_b64 exec, exec, s[6:7]
	v_mov_b32_e32 v56, 0
	ds_read_b32 v56, v56 offset:100
	s_waitcnt lgkmcnt(0)
	v_mul_f32_e32 v56, v122, v56
.LBB28_33:
	s_or_b64 exec, exec, s[4:5]
	v_cmp_lt_u32_e64 s[0:1], 24, v0
	ds_write_b32 v121, v55
	s_waitcnt lgkmcnt(0)
	; wave barrier
	s_and_saveexec_b64 s[4:5], s[0:1]
	s_cbranch_execz .LBB28_49
; %bb.34:
	s_andn2_b64 vcc, exec, s[62:63]
	s_cbranch_vccnz .LBB28_36
; %bb.35:
	v_cmp_eq_u32_e32 vcc, 1, v0
	v_cndmask_b32_e32 v122, v31, v32, vcc
	v_cmp_eq_u32_e32 vcc, 2, v0
	v_cndmask_b32_e32 v122, v122, v33, vcc
	v_cmp_eq_u32_e32 vcc, 3, v0
	v_cndmask_b32_e32 v122, v122, v34, vcc
	v_cmp_eq_u32_e32 vcc, 4, v0
	v_cndmask_b32_e32 v122, v122, v35, vcc
	v_cmp_eq_u32_e32 vcc, 5, v0
	v_cndmask_b32_e32 v122, v122, v36, vcc
	v_cmp_eq_u32_e32 vcc, 6, v0
	v_cndmask_b32_e32 v122, v122, v37, vcc
	v_cmp_eq_u32_e32 vcc, 7, v0
	v_cndmask_b32_e32 v122, v122, v38, vcc
	v_cmp_eq_u32_e32 vcc, 8, v0
	v_cndmask_b32_e32 v122, v122, v39, vcc
	v_cmp_eq_u32_e32 vcc, 9, v0
	v_cndmask_b32_e32 v122, v122, v40, vcc
	v_cmp_eq_u32_e32 vcc, 10, v0
	v_cndmask_b32_e32 v122, v122, v41, vcc
	v_cmp_eq_u32_e32 vcc, 11, v0
	v_cndmask_b32_e32 v122, v122, v42, vcc
	v_cmp_eq_u32_e32 vcc, 12, v0
	v_cndmask_b32_e32 v122, v122, v43, vcc
	v_cmp_eq_u32_e32 vcc, 13, v0
	v_cndmask_b32_e32 v122, v122, v44, vcc
	v_cmp_eq_u32_e32 vcc, 14, v0
	v_cndmask_b32_e32 v122, v122, v45, vcc
	v_cmp_eq_u32_e32 vcc, 15, v0
	v_cndmask_b32_e32 v122, v122, v46, vcc
	v_cmp_eq_u32_e32 vcc, 16, v0
	v_cndmask_b32_e32 v122, v122, v47, vcc
	v_cmp_eq_u32_e32 vcc, 17, v0
	v_cndmask_b32_e32 v122, v122, v48, vcc
	v_cmp_eq_u32_e32 vcc, 18, v0
	v_cndmask_b32_e32 v122, v122, v49, vcc
	v_cmp_eq_u32_e32 vcc, 19, v0
	v_cndmask_b32_e32 v122, v122, v50, vcc
	v_cmp_eq_u32_e32 vcc, 20, v0
	v_cndmask_b32_e32 v122, v122, v51, vcc
	v_cmp_eq_u32_e32 vcc, 21, v0
	v_cndmask_b32_e32 v122, v122, v52, vcc
	v_cmp_eq_u32_e32 vcc, 22, v0
	v_cndmask_b32_e32 v122, v122, v53, vcc
	v_cmp_eq_u32_e32 vcc, 23, v0
	v_cndmask_b32_e32 v122, v122, v54, vcc
	v_cmp_eq_u32_e32 vcc, 24, v0
	v_cndmask_b32_e32 v122, v122, v55, vcc
	v_cmp_eq_u32_e32 vcc, 25, v0
	ds_read_b32 v123, v121
	v_cndmask_b32_e32 v122, v122, v56, vcc
	v_cmp_eq_u32_e32 vcc, 26, v0
	v_cndmask_b32_e32 v122, v122, v57, vcc
	v_cmp_eq_u32_e32 vcc, 27, v0
	;; [unrolled: 2-line block ×3, first 2 shown]
	v_cndmask_b32_e32 v122, v122, v59, vcc
	s_waitcnt lgkmcnt(0)
	v_mul_f32_e32 v122, v122, v123
	s_cbranch_execz .LBB28_37
	s_branch .LBB28_38
.LBB28_36:
                                        ; implicit-def: $vgpr122
.LBB28_37:
	ds_read_b32 v122, v121
.LBB28_38:
	s_and_saveexec_b64 s[6:7], s[2:3]
	s_cbranch_execz .LBB28_48
; %bb.39:
	v_subrev_u32_e32 v125, 26, v0
	v_mov_b32_e32 v123, 25
	v_subrev_u32_e32 v124, 25, v0
	v_cmp_lt_u32_e32 vcc, 6, v125
	s_and_saveexec_b64 s[2:3], vcc
	s_cbranch_execz .LBB28_43
; %bb.40:
	v_and_b32_e32 v123, -8, v124
	v_sub_u32_e32 v125, 0, v123
	s_mov_b64 s[8:9], 32
	s_movk_i32 s12, 0xe4
	s_mov_b64 s[10:11], 0
.LBB28_41:                              ; =>This Inner Loop Header: Depth=1
	s_add_i32 s13, s8, -7
	v_mov_b32_e32 v123, s12
	s_add_i32 s14, s8, -6
	s_set_gpr_idx_on s13, gpr_idx(SRC0)
	v_mov_b32_e32 v132, v31
	s_set_gpr_idx_off
	ds_read2_b32 v[126:127], v123 offset1:1
	s_add_i32 s15, s8, -5
	s_set_gpr_idx_on s14, gpr_idx(SRC0)
	v_mov_b32_e32 v133, v31
	s_set_gpr_idx_off
	s_add_i32 s16, s8, -4
	s_set_gpr_idx_on s15, gpr_idx(SRC0)
	v_mov_b32_e32 v134, v31
	s_set_gpr_idx_off
	ds_read2_b32 v[128:129], v123 offset0:2 offset1:3
	s_add_i32 s17, s8, -3
	s_set_gpr_idx_on s16, gpr_idx(SRC0)
	v_mov_b32_e32 v135, v31
	s_set_gpr_idx_off
	s_add_i32 s18, s8, -2
	s_set_gpr_idx_on s17, gpr_idx(SRC0)
	v_mov_b32_e32 v136, v31
	s_set_gpr_idx_off
	ds_read2_b32 v[130:131], v123 offset0:4 offset1:5
	s_add_i32 s19, s8, -1
	s_waitcnt lgkmcnt(2)
	v_fmac_f32_e32 v122, v132, v126
	s_set_gpr_idx_on s18, gpr_idx(SRC0)
	v_mov_b32_e32 v132, v31
	s_set_gpr_idx_off
	v_fmac_f32_e32 v122, v133, v127
	s_set_gpr_idx_on s19, gpr_idx(SRC0)
	v_mov_b32_e32 v133, v31
	s_set_gpr_idx_off
	ds_read2_b32 v[126:127], v123 offset0:6 offset1:7
	s_waitcnt lgkmcnt(2)
	v_fmac_f32_e32 v122, v134, v128
	s_set_gpr_idx_on s8, gpr_idx(SRC0)
	v_mov_b32_e32 v128, v31
	s_set_gpr_idx_off
	v_fmac_f32_e32 v122, v135, v129
	s_add_u32 s8, s8, 8
	s_waitcnt lgkmcnt(1)
	v_fmac_f32_e32 v122, v136, v130
	v_add_u32_e32 v123, s8, v125
	v_fmac_f32_e32 v122, v132, v131
	s_addc_u32 s9, s9, 0
	s_add_i32 s12, s12, 32
	s_add_i32 s13, s8, -7
	v_cmp_eq_u32_e32 vcc, 32, v123
	s_waitcnt lgkmcnt(0)
	v_fmac_f32_e32 v122, v133, v126
	v_mov_b32_e32 v123, s13
	s_or_b64 s[10:11], vcc, s[10:11]
	v_fmac_f32_e32 v122, v128, v127
	s_andn2_b64 exec, exec, s[10:11]
	s_cbranch_execnz .LBB28_41
; %bb.42:
	s_or_b64 exec, exec, s[10:11]
.LBB28_43:
	s_or_b64 exec, exec, s[2:3]
	v_and_b32_e32 v60, 7, v124
	v_cmp_ne_u32_e32 vcc, 0, v60
	s_and_saveexec_b64 s[8:9], vcc
	s_cbranch_execz .LBB28_47
; %bb.44:
	v_mov_b32_e32 v61, 0x80
	v_lshl_add_u32 v61, v123, 2, v61
	v_mov_b32_e32 v62, 0
	s_mov_b64 s[10:11], 0
.LBB28_45:                              ; =>This Inner Loop Header: Depth=1
	v_cmp_eq_u32_e32 vcc, 1, v123
	v_cndmask_b32_e32 v124, v31, v32, vcc
	v_add_u32_e32 v60, -1, v60
	v_cmp_eq_u32_e32 vcc, 2, v123
	v_cndmask_b32_e32 v124, v124, v33, vcc
	v_cmp_eq_u32_e32 vcc, 0, v60
	v_cmp_eq_u32_e64 s[2:3], 3, v123
	v_cndmask_b32_e64 v124, v124, v34, s[2:3]
	s_or_b64 s[10:11], vcc, s[10:11]
	v_cmp_eq_u32_e32 vcc, 4, v123
	v_cndmask_b32_e32 v124, v124, v35, vcc
	v_cmp_eq_u32_e32 vcc, 5, v123
	v_cndmask_b32_e32 v124, v124, v36, vcc
	;; [unrolled: 2-line block ×20, first 2 shown]
	v_cmp_eq_u32_e32 vcc, 24, v123
	ds_read_b32 v125, v61
	v_cndmask_b32_e32 v124, v124, v55, vcc
	v_cmp_eq_u32_e32 vcc, 25, v123
	v_cndmask_b32_e32 v124, v124, v56, vcc
	v_cmp_eq_u32_e32 vcc, 26, v123
	;; [unrolled: 2-line block ×4, first 2 shown]
	v_add_co_u32_e64 v123, s[2:3], 1, v123
	v_cndmask_b32_e32 v124, v124, v59, vcc
	v_add_u32_e32 v61, 4, v61
	v_addc_co_u32_e64 v62, s[2:3], 0, v62, s[2:3]
	s_waitcnt lgkmcnt(0)
	v_fmac_f32_e32 v122, v124, v125
	s_andn2_b64 exec, exec, s[10:11]
	s_cbranch_execnz .LBB28_45
; %bb.46:
	s_or_b64 exec, exec, s[10:11]
.LBB28_47:
	s_or_b64 exec, exec, s[8:9]
.LBB28_48:
	s_or_b64 exec, exec, s[6:7]
	v_mov_b32_e32 v55, 0
	ds_read_b32 v55, v55 offset:96
	s_waitcnt lgkmcnt(0)
	v_mul_f32_e32 v55, v122, v55
.LBB28_49:
	s_or_b64 exec, exec, s[4:5]
	v_cmp_lt_u32_e64 s[2:3], 23, v0
	ds_write_b32 v121, v54
	s_waitcnt lgkmcnt(0)
	; wave barrier
	s_and_saveexec_b64 s[4:5], s[2:3]
	s_cbranch_execz .LBB28_65
; %bb.50:
	s_andn2_b64 vcc, exec, s[62:63]
	s_cbranch_vccnz .LBB28_52
; %bb.51:
	v_cmp_eq_u32_e32 vcc, 1, v0
	v_cndmask_b32_e32 v122, v31, v32, vcc
	v_cmp_eq_u32_e32 vcc, 2, v0
	v_cndmask_b32_e32 v122, v122, v33, vcc
	;; [unrolled: 2-line block ×24, first 2 shown]
	v_cmp_eq_u32_e32 vcc, 25, v0
	ds_read_b32 v123, v121
	v_cndmask_b32_e32 v122, v122, v56, vcc
	v_cmp_eq_u32_e32 vcc, 26, v0
	v_cndmask_b32_e32 v122, v122, v57, vcc
	v_cmp_eq_u32_e32 vcc, 27, v0
	v_cndmask_b32_e32 v122, v122, v58, vcc
	v_cmp_eq_u32_e32 vcc, 28, v0
	v_cndmask_b32_e32 v122, v122, v59, vcc
	s_waitcnt lgkmcnt(0)
	v_mul_f32_e32 v122, v122, v123
	s_cbranch_execz .LBB28_53
	s_branch .LBB28_54
.LBB28_52:
                                        ; implicit-def: $vgpr122
.LBB28_53:
	ds_read_b32 v122, v121
.LBB28_54:
	s_and_saveexec_b64 s[6:7], s[0:1]
	s_cbranch_execz .LBB28_64
; %bb.55:
	v_subrev_u32_e32 v123, 25, v0
	v_cmp_lt_u32_e32 vcc, 6, v123
	v_mov_b32_e32 v123, 24
	s_and_saveexec_b64 s[0:1], vcc
	s_cbranch_execz .LBB28_59
; %bb.56:
	v_and_b32_e32 v123, 24, v0
	v_sub_u32_e32 v124, 0, v123
	s_mov_b64 s[8:9], 31
	s_movk_i32 s12, 0xe0
	s_mov_b64 s[10:11], 0
.LBB28_57:                              ; =>This Inner Loop Header: Depth=1
	s_add_i32 s13, s8, -7
	v_mov_b32_e32 v123, s12
	s_add_i32 s14, s8, -6
	s_set_gpr_idx_on s13, gpr_idx(SRC0)
	v_mov_b32_e32 v133, v31
	s_set_gpr_idx_off
	s_add_i32 s15, s8, -5
	ds_read_b128 v[125:128], v123
	ds_read_b128 v[129:132], v123 offset:16
	s_set_gpr_idx_on s14, gpr_idx(SRC0)
	v_mov_b32_e32 v123, v31
	s_set_gpr_idx_off
	s_add_i32 s16, s8, -4
	s_set_gpr_idx_on s15, gpr_idx(SRC0)
	v_mov_b32_e32 v134, v31
	s_set_gpr_idx_off
	s_add_i32 s17, s8, -3
	;; [unrolled: 4-line block ×4, first 2 shown]
	s_waitcnt lgkmcnt(1)
	v_fmac_f32_e32 v122, v133, v125
	s_set_gpr_idx_on s18, gpr_idx(SRC0)
	v_mov_b32_e32 v125, v31
	s_set_gpr_idx_off
	v_fmac_f32_e32 v122, v123, v126
	s_set_gpr_idx_on s19, gpr_idx(SRC0)
	v_mov_b32_e32 v126, v31
	s_set_gpr_idx_off
	;; [unrolled: 4-line block ×3, first 2 shown]
	v_fmac_f32_e32 v122, v135, v128
	s_add_u32 s8, s8, 8
	s_waitcnt lgkmcnt(0)
	v_fmac_f32_e32 v122, v136, v129
	v_add_u32_e32 v123, s8, v124
	v_fmac_f32_e32 v122, v125, v130
	s_addc_u32 s9, s9, 0
	s_add_i32 s12, s12, 32
	s_add_i32 s13, s8, -7
	v_cmp_eq_u32_e32 vcc, 7, v123
	v_fmac_f32_e32 v122, v126, v131
	v_mov_b32_e32 v123, s13
	s_or_b64 s[10:11], vcc, s[10:11]
	v_fmac_f32_e32 v122, v127, v132
	s_andn2_b64 exec, exec, s[10:11]
	s_cbranch_execnz .LBB28_57
; %bb.58:
	s_or_b64 exec, exec, s[10:11]
.LBB28_59:
	s_or_b64 exec, exec, s[0:1]
	v_and_b32_e32 v60, 7, v0
	v_cmp_ne_u32_e32 vcc, 0, v60
	s_and_saveexec_b64 s[8:9], vcc
	s_cbranch_execz .LBB28_63
; %bb.60:
	v_mov_b32_e32 v61, 0x80
	v_lshl_add_u32 v61, v123, 2, v61
	v_mov_b32_e32 v62, 0
	s_mov_b64 s[10:11], 0
.LBB28_61:                              ; =>This Inner Loop Header: Depth=1
	v_cmp_eq_u32_e32 vcc, 1, v123
	v_cndmask_b32_e32 v124, v31, v32, vcc
	v_add_u32_e32 v60, -1, v60
	v_cmp_eq_u32_e32 vcc, 2, v123
	v_cndmask_b32_e32 v124, v124, v33, vcc
	v_cmp_eq_u32_e32 vcc, 0, v60
	v_cmp_eq_u32_e64 s[0:1], 3, v123
	v_cndmask_b32_e64 v124, v124, v34, s[0:1]
	s_or_b64 s[10:11], vcc, s[10:11]
	v_cmp_eq_u32_e32 vcc, 4, v123
	v_cndmask_b32_e32 v124, v124, v35, vcc
	v_cmp_eq_u32_e32 vcc, 5, v123
	v_cndmask_b32_e32 v124, v124, v36, vcc
	;; [unrolled: 2-line block ×20, first 2 shown]
	v_cmp_eq_u32_e32 vcc, 24, v123
	ds_read_b32 v125, v61
	v_cndmask_b32_e32 v124, v124, v55, vcc
	v_cmp_eq_u32_e32 vcc, 25, v123
	v_cndmask_b32_e32 v124, v124, v56, vcc
	v_cmp_eq_u32_e32 vcc, 26, v123
	;; [unrolled: 2-line block ×4, first 2 shown]
	v_add_co_u32_e64 v123, s[0:1], 1, v123
	v_cndmask_b32_e32 v124, v124, v59, vcc
	v_add_u32_e32 v61, 4, v61
	v_addc_co_u32_e64 v62, s[0:1], 0, v62, s[0:1]
	s_waitcnt lgkmcnt(0)
	v_fmac_f32_e32 v122, v124, v125
	s_andn2_b64 exec, exec, s[10:11]
	s_cbranch_execnz .LBB28_61
; %bb.62:
	s_or_b64 exec, exec, s[10:11]
.LBB28_63:
	s_or_b64 exec, exec, s[8:9]
.LBB28_64:
	s_or_b64 exec, exec, s[6:7]
	v_mov_b32_e32 v54, 0
	ds_read_b32 v54, v54 offset:92
	s_waitcnt lgkmcnt(0)
	v_mul_f32_e32 v54, v122, v54
.LBB28_65:
	s_or_b64 exec, exec, s[4:5]
	v_cmp_lt_u32_e64 s[0:1], 22, v0
	ds_write_b32 v121, v53
	s_waitcnt lgkmcnt(0)
	; wave barrier
	s_and_saveexec_b64 s[4:5], s[0:1]
	s_cbranch_execz .LBB28_81
; %bb.66:
	s_andn2_b64 vcc, exec, s[62:63]
	s_cbranch_vccnz .LBB28_68
; %bb.67:
	v_cmp_eq_u32_e32 vcc, 1, v0
	v_cndmask_b32_e32 v122, v31, v32, vcc
	v_cmp_eq_u32_e32 vcc, 2, v0
	v_cndmask_b32_e32 v122, v122, v33, vcc
	;; [unrolled: 2-line block ×24, first 2 shown]
	v_cmp_eq_u32_e32 vcc, 25, v0
	ds_read_b32 v123, v121
	v_cndmask_b32_e32 v122, v122, v56, vcc
	v_cmp_eq_u32_e32 vcc, 26, v0
	v_cndmask_b32_e32 v122, v122, v57, vcc
	v_cmp_eq_u32_e32 vcc, 27, v0
	;; [unrolled: 2-line block ×3, first 2 shown]
	v_cndmask_b32_e32 v122, v122, v59, vcc
	s_waitcnt lgkmcnt(0)
	v_mul_f32_e32 v122, v122, v123
	s_cbranch_execz .LBB28_69
	s_branch .LBB28_70
.LBB28_68:
                                        ; implicit-def: $vgpr122
.LBB28_69:
	ds_read_b32 v122, v121
.LBB28_70:
	s_and_saveexec_b64 s[6:7], s[2:3]
	s_cbranch_execz .LBB28_80
; %bb.71:
	v_subrev_u32_e32 v125, 24, v0
	v_mov_b32_e32 v123, 23
	v_subrev_u32_e32 v124, 23, v0
	v_cmp_lt_u32_e32 vcc, 6, v125
	s_and_saveexec_b64 s[2:3], vcc
	s_cbranch_execz .LBB28_75
; %bb.72:
	v_and_b32_e32 v123, -8, v124
	v_sub_u32_e32 v125, 0, v123
	s_mov_b64 s[8:9], 30
	s_movk_i32 s12, 0xdc
	s_mov_b64 s[10:11], 0
.LBB28_73:                              ; =>This Inner Loop Header: Depth=1
	s_add_i32 s13, s8, -7
	v_mov_b32_e32 v123, s12
	s_add_i32 s14, s8, -6
	s_set_gpr_idx_on s13, gpr_idx(SRC0)
	v_mov_b32_e32 v132, v31
	s_set_gpr_idx_off
	ds_read2_b32 v[126:127], v123 offset1:1
	s_add_i32 s15, s8, -5
	s_set_gpr_idx_on s14, gpr_idx(SRC0)
	v_mov_b32_e32 v133, v31
	s_set_gpr_idx_off
	s_add_i32 s16, s8, -4
	s_set_gpr_idx_on s15, gpr_idx(SRC0)
	v_mov_b32_e32 v134, v31
	s_set_gpr_idx_off
	ds_read2_b32 v[128:129], v123 offset0:2 offset1:3
	s_add_i32 s17, s8, -3
	s_set_gpr_idx_on s16, gpr_idx(SRC0)
	v_mov_b32_e32 v135, v31
	s_set_gpr_idx_off
	s_add_i32 s18, s8, -2
	s_set_gpr_idx_on s17, gpr_idx(SRC0)
	v_mov_b32_e32 v136, v31
	s_set_gpr_idx_off
	ds_read2_b32 v[130:131], v123 offset0:4 offset1:5
	s_add_i32 s19, s8, -1
	s_waitcnt lgkmcnt(2)
	v_fmac_f32_e32 v122, v132, v126
	s_set_gpr_idx_on s18, gpr_idx(SRC0)
	v_mov_b32_e32 v132, v31
	s_set_gpr_idx_off
	v_fmac_f32_e32 v122, v133, v127
	s_set_gpr_idx_on s19, gpr_idx(SRC0)
	v_mov_b32_e32 v133, v31
	s_set_gpr_idx_off
	ds_read2_b32 v[126:127], v123 offset0:6 offset1:7
	s_waitcnt lgkmcnt(2)
	v_fmac_f32_e32 v122, v134, v128
	s_set_gpr_idx_on s8, gpr_idx(SRC0)
	v_mov_b32_e32 v128, v31
	s_set_gpr_idx_off
	v_fmac_f32_e32 v122, v135, v129
	s_add_u32 s8, s8, 8
	s_waitcnt lgkmcnt(1)
	v_fmac_f32_e32 v122, v136, v130
	v_add_u32_e32 v123, s8, v125
	v_fmac_f32_e32 v122, v132, v131
	s_addc_u32 s9, s9, 0
	s_add_i32 s12, s12, 32
	s_add_i32 s13, s8, -7
	v_cmp_eq_u32_e32 vcc, 30, v123
	s_waitcnt lgkmcnt(0)
	v_fmac_f32_e32 v122, v133, v126
	v_mov_b32_e32 v123, s13
	s_or_b64 s[10:11], vcc, s[10:11]
	v_fmac_f32_e32 v122, v128, v127
	s_andn2_b64 exec, exec, s[10:11]
	s_cbranch_execnz .LBB28_73
; %bb.74:
	s_or_b64 exec, exec, s[10:11]
.LBB28_75:
	s_or_b64 exec, exec, s[2:3]
	v_and_b32_e32 v60, 7, v124
	v_cmp_ne_u32_e32 vcc, 0, v60
	s_and_saveexec_b64 s[8:9], vcc
	s_cbranch_execz .LBB28_79
; %bb.76:
	v_mov_b32_e32 v61, 0x80
	v_lshl_add_u32 v61, v123, 2, v61
	v_mov_b32_e32 v62, 0
	s_mov_b64 s[10:11], 0
.LBB28_77:                              ; =>This Inner Loop Header: Depth=1
	v_cmp_eq_u32_e32 vcc, 1, v123
	v_cndmask_b32_e32 v124, v31, v32, vcc
	v_add_u32_e32 v60, -1, v60
	v_cmp_eq_u32_e32 vcc, 2, v123
	v_cndmask_b32_e32 v124, v124, v33, vcc
	v_cmp_eq_u32_e32 vcc, 0, v60
	v_cmp_eq_u32_e64 s[2:3], 3, v123
	v_cndmask_b32_e64 v124, v124, v34, s[2:3]
	s_or_b64 s[10:11], vcc, s[10:11]
	v_cmp_eq_u32_e32 vcc, 4, v123
	v_cndmask_b32_e32 v124, v124, v35, vcc
	v_cmp_eq_u32_e32 vcc, 5, v123
	v_cndmask_b32_e32 v124, v124, v36, vcc
	;; [unrolled: 2-line block ×20, first 2 shown]
	v_cmp_eq_u32_e32 vcc, 24, v123
	ds_read_b32 v125, v61
	v_cndmask_b32_e32 v124, v124, v55, vcc
	v_cmp_eq_u32_e32 vcc, 25, v123
	v_cndmask_b32_e32 v124, v124, v56, vcc
	v_cmp_eq_u32_e32 vcc, 26, v123
	;; [unrolled: 2-line block ×4, first 2 shown]
	v_add_co_u32_e64 v123, s[2:3], 1, v123
	v_cndmask_b32_e32 v124, v124, v59, vcc
	v_add_u32_e32 v61, 4, v61
	v_addc_co_u32_e64 v62, s[2:3], 0, v62, s[2:3]
	s_waitcnt lgkmcnt(0)
	v_fmac_f32_e32 v122, v124, v125
	s_andn2_b64 exec, exec, s[10:11]
	s_cbranch_execnz .LBB28_77
; %bb.78:
	s_or_b64 exec, exec, s[10:11]
.LBB28_79:
	s_or_b64 exec, exec, s[8:9]
.LBB28_80:
	s_or_b64 exec, exec, s[6:7]
	v_mov_b32_e32 v53, 0
	ds_read_b32 v53, v53 offset:88
	s_waitcnt lgkmcnt(0)
	v_mul_f32_e32 v53, v122, v53
.LBB28_81:
	s_or_b64 exec, exec, s[4:5]
	v_cmp_lt_u32_e64 s[2:3], 21, v0
	ds_write_b32 v121, v52
	s_waitcnt lgkmcnt(0)
	; wave barrier
	s_and_saveexec_b64 s[4:5], s[2:3]
	s_cbranch_execz .LBB28_97
; %bb.82:
	s_andn2_b64 vcc, exec, s[62:63]
	s_cbranch_vccnz .LBB28_84
; %bb.83:
	v_cmp_eq_u32_e32 vcc, 1, v0
	v_cndmask_b32_e32 v122, v31, v32, vcc
	v_cmp_eq_u32_e32 vcc, 2, v0
	v_cndmask_b32_e32 v122, v122, v33, vcc
	;; [unrolled: 2-line block ×24, first 2 shown]
	v_cmp_eq_u32_e32 vcc, 25, v0
	ds_read_b32 v123, v121
	v_cndmask_b32_e32 v122, v122, v56, vcc
	v_cmp_eq_u32_e32 vcc, 26, v0
	v_cndmask_b32_e32 v122, v122, v57, vcc
	v_cmp_eq_u32_e32 vcc, 27, v0
	;; [unrolled: 2-line block ×3, first 2 shown]
	v_cndmask_b32_e32 v122, v122, v59, vcc
	s_waitcnt lgkmcnt(0)
	v_mul_f32_e32 v122, v122, v123
	s_cbranch_execz .LBB28_85
	s_branch .LBB28_86
.LBB28_84:
                                        ; implicit-def: $vgpr122
.LBB28_85:
	ds_read_b32 v122, v121
.LBB28_86:
	s_and_saveexec_b64 s[6:7], s[0:1]
	s_cbranch_execz .LBB28_96
; %bb.87:
	v_subrev_u32_e32 v125, 23, v0
	v_mov_b32_e32 v123, 22
	v_subrev_u32_e32 v124, 22, v0
	v_cmp_lt_u32_e32 vcc, 6, v125
	s_and_saveexec_b64 s[0:1], vcc
	s_cbranch_execz .LBB28_91
; %bb.88:
	v_and_b32_e32 v123, -8, v124
	v_sub_u32_e32 v125, 0, v123
	s_mov_b64 s[8:9], 29
	s_movk_i32 s12, 0xd8
	s_mov_b64 s[10:11], 0
.LBB28_89:                              ; =>This Inner Loop Header: Depth=1
	s_add_i32 s13, s8, -7
	v_mov_b32_e32 v123, s12
	s_add_i32 s14, s8, -6
	s_set_gpr_idx_on s13, gpr_idx(SRC0)
	v_mov_b32_e32 v134, v31
	s_set_gpr_idx_off
	ds_read2_b64 v[126:129], v123 offset1:1
	s_add_i32 s15, s8, -5
	s_set_gpr_idx_on s14, gpr_idx(SRC0)
	v_mov_b32_e32 v135, v31
	s_set_gpr_idx_off
	s_add_i32 s16, s8, -4
	s_set_gpr_idx_on s15, gpr_idx(SRC0)
	v_mov_b32_e32 v136, v31
	s_set_gpr_idx_off
	;; [unrolled: 4-line block ×4, first 2 shown]
	ds_read2_b64 v[130:133], v123 offset0:2 offset1:3
	s_add_i32 s19, s8, -1
	s_waitcnt lgkmcnt(1)
	v_fmac_f32_e32 v122, v134, v126
	s_set_gpr_idx_on s18, gpr_idx(SRC0)
	v_mov_b32_e32 v126, v31
	s_set_gpr_idx_off
	v_fmac_f32_e32 v122, v135, v127
	s_set_gpr_idx_on s19, gpr_idx(SRC0)
	v_mov_b32_e32 v127, v31
	s_set_gpr_idx_off
	;; [unrolled: 4-line block ×3, first 2 shown]
	v_fmac_f32_e32 v122, v137, v129
	s_add_u32 s8, s8, 8
	s_waitcnt lgkmcnt(0)
	v_fmac_f32_e32 v122, v138, v130
	v_add_u32_e32 v123, s8, v125
	v_fmac_f32_e32 v122, v126, v131
	s_addc_u32 s9, s9, 0
	s_add_i32 s12, s12, 32
	s_add_i32 s13, s8, -7
	v_cmp_eq_u32_e32 vcc, 29, v123
	v_fmac_f32_e32 v122, v127, v132
	v_mov_b32_e32 v123, s13
	s_or_b64 s[10:11], vcc, s[10:11]
	v_fmac_f32_e32 v122, v128, v133
	s_andn2_b64 exec, exec, s[10:11]
	s_cbranch_execnz .LBB28_89
; %bb.90:
	s_or_b64 exec, exec, s[10:11]
.LBB28_91:
	s_or_b64 exec, exec, s[0:1]
	v_and_b32_e32 v60, 7, v124
	v_cmp_ne_u32_e32 vcc, 0, v60
	s_and_saveexec_b64 s[8:9], vcc
	s_cbranch_execz .LBB28_95
; %bb.92:
	v_mov_b32_e32 v61, 0x80
	v_lshl_add_u32 v61, v123, 2, v61
	v_mov_b32_e32 v62, 0
	s_mov_b64 s[10:11], 0
.LBB28_93:                              ; =>This Inner Loop Header: Depth=1
	v_cmp_eq_u32_e32 vcc, 1, v123
	v_cndmask_b32_e32 v124, v31, v32, vcc
	v_add_u32_e32 v60, -1, v60
	v_cmp_eq_u32_e32 vcc, 2, v123
	v_cndmask_b32_e32 v124, v124, v33, vcc
	v_cmp_eq_u32_e32 vcc, 0, v60
	v_cmp_eq_u32_e64 s[0:1], 3, v123
	v_cndmask_b32_e64 v124, v124, v34, s[0:1]
	s_or_b64 s[10:11], vcc, s[10:11]
	v_cmp_eq_u32_e32 vcc, 4, v123
	v_cndmask_b32_e32 v124, v124, v35, vcc
	v_cmp_eq_u32_e32 vcc, 5, v123
	v_cndmask_b32_e32 v124, v124, v36, vcc
	;; [unrolled: 2-line block ×20, first 2 shown]
	v_cmp_eq_u32_e32 vcc, 24, v123
	ds_read_b32 v125, v61
	v_cndmask_b32_e32 v124, v124, v55, vcc
	v_cmp_eq_u32_e32 vcc, 25, v123
	v_cndmask_b32_e32 v124, v124, v56, vcc
	v_cmp_eq_u32_e32 vcc, 26, v123
	;; [unrolled: 2-line block ×4, first 2 shown]
	v_add_co_u32_e64 v123, s[0:1], 1, v123
	v_cndmask_b32_e32 v124, v124, v59, vcc
	v_add_u32_e32 v61, 4, v61
	v_addc_co_u32_e64 v62, s[0:1], 0, v62, s[0:1]
	s_waitcnt lgkmcnt(0)
	v_fmac_f32_e32 v122, v124, v125
	s_andn2_b64 exec, exec, s[10:11]
	s_cbranch_execnz .LBB28_93
; %bb.94:
	s_or_b64 exec, exec, s[10:11]
.LBB28_95:
	s_or_b64 exec, exec, s[8:9]
.LBB28_96:
	s_or_b64 exec, exec, s[6:7]
	v_mov_b32_e32 v52, 0
	ds_read_b32 v52, v52 offset:84
	s_waitcnt lgkmcnt(0)
	v_mul_f32_e32 v52, v122, v52
.LBB28_97:
	s_or_b64 exec, exec, s[4:5]
	v_cmp_lt_u32_e64 s[0:1], 20, v0
	ds_write_b32 v121, v51
	s_waitcnt lgkmcnt(0)
	; wave barrier
	s_and_saveexec_b64 s[4:5], s[0:1]
	s_cbranch_execz .LBB28_113
; %bb.98:
	s_andn2_b64 vcc, exec, s[62:63]
	s_cbranch_vccnz .LBB28_100
; %bb.99:
	v_cmp_eq_u32_e32 vcc, 1, v0
	v_cndmask_b32_e32 v122, v31, v32, vcc
	v_cmp_eq_u32_e32 vcc, 2, v0
	v_cndmask_b32_e32 v122, v122, v33, vcc
	;; [unrolled: 2-line block ×24, first 2 shown]
	v_cmp_eq_u32_e32 vcc, 25, v0
	ds_read_b32 v123, v121
	v_cndmask_b32_e32 v122, v122, v56, vcc
	v_cmp_eq_u32_e32 vcc, 26, v0
	v_cndmask_b32_e32 v122, v122, v57, vcc
	v_cmp_eq_u32_e32 vcc, 27, v0
	;; [unrolled: 2-line block ×3, first 2 shown]
	v_cndmask_b32_e32 v122, v122, v59, vcc
	s_waitcnt lgkmcnt(0)
	v_mul_f32_e32 v122, v122, v123
	s_cbranch_execz .LBB28_101
	s_branch .LBB28_102
.LBB28_100:
                                        ; implicit-def: $vgpr122
.LBB28_101:
	ds_read_b32 v122, v121
.LBB28_102:
	s_and_saveexec_b64 s[6:7], s[2:3]
	s_cbranch_execz .LBB28_112
; %bb.103:
	v_subrev_u32_e32 v125, 22, v0
	v_mov_b32_e32 v123, 21
	v_subrev_u32_e32 v124, 21, v0
	v_cmp_lt_u32_e32 vcc, 6, v125
	s_and_saveexec_b64 s[2:3], vcc
	s_cbranch_execz .LBB28_107
; %bb.104:
	v_and_b32_e32 v123, -8, v124
	v_sub_u32_e32 v125, 0, v123
	s_mov_b64 s[8:9], 28
	s_movk_i32 s12, 0xd4
	s_mov_b64 s[10:11], 0
.LBB28_105:                             ; =>This Inner Loop Header: Depth=1
	s_add_i32 s13, s8, -7
	v_mov_b32_e32 v123, s12
	s_add_i32 s14, s8, -6
	s_set_gpr_idx_on s13, gpr_idx(SRC0)
	v_mov_b32_e32 v132, v31
	s_set_gpr_idx_off
	ds_read2_b32 v[126:127], v123 offset1:1
	s_add_i32 s15, s8, -5
	s_set_gpr_idx_on s14, gpr_idx(SRC0)
	v_mov_b32_e32 v133, v31
	s_set_gpr_idx_off
	s_add_i32 s16, s8, -4
	s_set_gpr_idx_on s15, gpr_idx(SRC0)
	v_mov_b32_e32 v134, v31
	s_set_gpr_idx_off
	ds_read2_b32 v[128:129], v123 offset0:2 offset1:3
	s_add_i32 s17, s8, -3
	s_set_gpr_idx_on s16, gpr_idx(SRC0)
	v_mov_b32_e32 v135, v31
	s_set_gpr_idx_off
	s_add_i32 s18, s8, -2
	s_set_gpr_idx_on s17, gpr_idx(SRC0)
	v_mov_b32_e32 v136, v31
	s_set_gpr_idx_off
	ds_read2_b32 v[130:131], v123 offset0:4 offset1:5
	s_add_i32 s19, s8, -1
	s_waitcnt lgkmcnt(2)
	v_fmac_f32_e32 v122, v132, v126
	s_set_gpr_idx_on s18, gpr_idx(SRC0)
	v_mov_b32_e32 v132, v31
	s_set_gpr_idx_off
	v_fmac_f32_e32 v122, v133, v127
	s_set_gpr_idx_on s19, gpr_idx(SRC0)
	v_mov_b32_e32 v133, v31
	s_set_gpr_idx_off
	ds_read2_b32 v[126:127], v123 offset0:6 offset1:7
	s_waitcnt lgkmcnt(2)
	v_fmac_f32_e32 v122, v134, v128
	s_set_gpr_idx_on s8, gpr_idx(SRC0)
	v_mov_b32_e32 v128, v31
	s_set_gpr_idx_off
	v_fmac_f32_e32 v122, v135, v129
	s_add_u32 s8, s8, 8
	s_waitcnt lgkmcnt(1)
	v_fmac_f32_e32 v122, v136, v130
	v_add_u32_e32 v123, s8, v125
	v_fmac_f32_e32 v122, v132, v131
	s_addc_u32 s9, s9, 0
	s_add_i32 s12, s12, 32
	s_add_i32 s13, s8, -7
	v_cmp_eq_u32_e32 vcc, 28, v123
	s_waitcnt lgkmcnt(0)
	v_fmac_f32_e32 v122, v133, v126
	v_mov_b32_e32 v123, s13
	s_or_b64 s[10:11], vcc, s[10:11]
	v_fmac_f32_e32 v122, v128, v127
	s_andn2_b64 exec, exec, s[10:11]
	s_cbranch_execnz .LBB28_105
; %bb.106:
	s_or_b64 exec, exec, s[10:11]
.LBB28_107:
	s_or_b64 exec, exec, s[2:3]
	v_and_b32_e32 v60, 7, v124
	v_cmp_ne_u32_e32 vcc, 0, v60
	s_and_saveexec_b64 s[8:9], vcc
	s_cbranch_execz .LBB28_111
; %bb.108:
	v_mov_b32_e32 v61, 0x80
	v_lshl_add_u32 v61, v123, 2, v61
	v_mov_b32_e32 v62, 0
	s_mov_b64 s[10:11], 0
.LBB28_109:                             ; =>This Inner Loop Header: Depth=1
	v_cmp_eq_u32_e32 vcc, 1, v123
	v_cndmask_b32_e32 v124, v31, v32, vcc
	v_add_u32_e32 v60, -1, v60
	v_cmp_eq_u32_e32 vcc, 2, v123
	v_cndmask_b32_e32 v124, v124, v33, vcc
	v_cmp_eq_u32_e32 vcc, 0, v60
	v_cmp_eq_u32_e64 s[2:3], 3, v123
	v_cndmask_b32_e64 v124, v124, v34, s[2:3]
	s_or_b64 s[10:11], vcc, s[10:11]
	v_cmp_eq_u32_e32 vcc, 4, v123
	v_cndmask_b32_e32 v124, v124, v35, vcc
	v_cmp_eq_u32_e32 vcc, 5, v123
	v_cndmask_b32_e32 v124, v124, v36, vcc
	v_cmp_eq_u32_e32 vcc, 6, v123
	v_cndmask_b32_e32 v124, v124, v37, vcc
	v_cmp_eq_u32_e32 vcc, 7, v123
	v_cndmask_b32_e32 v124, v124, v38, vcc
	v_cmp_eq_u32_e32 vcc, 8, v123
	v_cndmask_b32_e32 v124, v124, v39, vcc
	v_cmp_eq_u32_e32 vcc, 9, v123
	v_cndmask_b32_e32 v124, v124, v40, vcc
	v_cmp_eq_u32_e32 vcc, 10, v123
	v_cndmask_b32_e32 v124, v124, v41, vcc
	v_cmp_eq_u32_e32 vcc, 11, v123
	v_cndmask_b32_e32 v124, v124, v42, vcc
	v_cmp_eq_u32_e32 vcc, 12, v123
	v_cndmask_b32_e32 v124, v124, v43, vcc
	v_cmp_eq_u32_e32 vcc, 13, v123
	v_cndmask_b32_e32 v124, v124, v44, vcc
	v_cmp_eq_u32_e32 vcc, 14, v123
	v_cndmask_b32_e32 v124, v124, v45, vcc
	v_cmp_eq_u32_e32 vcc, 15, v123
	v_cndmask_b32_e32 v124, v124, v46, vcc
	v_cmp_eq_u32_e32 vcc, 16, v123
	v_cndmask_b32_e32 v124, v124, v47, vcc
	v_cmp_eq_u32_e32 vcc, 17, v123
	v_cndmask_b32_e32 v124, v124, v48, vcc
	v_cmp_eq_u32_e32 vcc, 18, v123
	v_cndmask_b32_e32 v124, v124, v49, vcc
	v_cmp_eq_u32_e32 vcc, 19, v123
	v_cndmask_b32_e32 v124, v124, v50, vcc
	v_cmp_eq_u32_e32 vcc, 20, v123
	v_cndmask_b32_e32 v124, v124, v51, vcc
	v_cmp_eq_u32_e32 vcc, 21, v123
	v_cndmask_b32_e32 v124, v124, v52, vcc
	v_cmp_eq_u32_e32 vcc, 22, v123
	v_cndmask_b32_e32 v124, v124, v53, vcc
	v_cmp_eq_u32_e32 vcc, 23, v123
	v_cndmask_b32_e32 v124, v124, v54, vcc
	v_cmp_eq_u32_e32 vcc, 24, v123
	ds_read_b32 v125, v61
	v_cndmask_b32_e32 v124, v124, v55, vcc
	v_cmp_eq_u32_e32 vcc, 25, v123
	v_cndmask_b32_e32 v124, v124, v56, vcc
	v_cmp_eq_u32_e32 vcc, 26, v123
	;; [unrolled: 2-line block ×4, first 2 shown]
	v_add_co_u32_e64 v123, s[2:3], 1, v123
	v_cndmask_b32_e32 v124, v124, v59, vcc
	v_add_u32_e32 v61, 4, v61
	v_addc_co_u32_e64 v62, s[2:3], 0, v62, s[2:3]
	s_waitcnt lgkmcnt(0)
	v_fmac_f32_e32 v122, v124, v125
	s_andn2_b64 exec, exec, s[10:11]
	s_cbranch_execnz .LBB28_109
; %bb.110:
	s_or_b64 exec, exec, s[10:11]
.LBB28_111:
	s_or_b64 exec, exec, s[8:9]
.LBB28_112:
	s_or_b64 exec, exec, s[6:7]
	v_mov_b32_e32 v51, 0
	ds_read_b32 v51, v51 offset:80
	s_waitcnt lgkmcnt(0)
	v_mul_f32_e32 v51, v122, v51
.LBB28_113:
	s_or_b64 exec, exec, s[4:5]
	v_cmp_lt_u32_e64 s[2:3], 19, v0
	ds_write_b32 v121, v50
	s_waitcnt lgkmcnt(0)
	; wave barrier
	s_and_saveexec_b64 s[4:5], s[2:3]
	s_cbranch_execz .LBB28_129
; %bb.114:
	s_andn2_b64 vcc, exec, s[62:63]
	s_cbranch_vccnz .LBB28_116
; %bb.115:
	v_cmp_eq_u32_e32 vcc, 1, v0
	v_cndmask_b32_e32 v122, v31, v32, vcc
	v_cmp_eq_u32_e32 vcc, 2, v0
	v_cndmask_b32_e32 v122, v122, v33, vcc
	v_cmp_eq_u32_e32 vcc, 3, v0
	v_cndmask_b32_e32 v122, v122, v34, vcc
	v_cmp_eq_u32_e32 vcc, 4, v0
	v_cndmask_b32_e32 v122, v122, v35, vcc
	v_cmp_eq_u32_e32 vcc, 5, v0
	v_cndmask_b32_e32 v122, v122, v36, vcc
	v_cmp_eq_u32_e32 vcc, 6, v0
	v_cndmask_b32_e32 v122, v122, v37, vcc
	v_cmp_eq_u32_e32 vcc, 7, v0
	v_cndmask_b32_e32 v122, v122, v38, vcc
	v_cmp_eq_u32_e32 vcc, 8, v0
	v_cndmask_b32_e32 v122, v122, v39, vcc
	v_cmp_eq_u32_e32 vcc, 9, v0
	v_cndmask_b32_e32 v122, v122, v40, vcc
	v_cmp_eq_u32_e32 vcc, 10, v0
	v_cndmask_b32_e32 v122, v122, v41, vcc
	v_cmp_eq_u32_e32 vcc, 11, v0
	v_cndmask_b32_e32 v122, v122, v42, vcc
	v_cmp_eq_u32_e32 vcc, 12, v0
	v_cndmask_b32_e32 v122, v122, v43, vcc
	v_cmp_eq_u32_e32 vcc, 13, v0
	v_cndmask_b32_e32 v122, v122, v44, vcc
	v_cmp_eq_u32_e32 vcc, 14, v0
	v_cndmask_b32_e32 v122, v122, v45, vcc
	v_cmp_eq_u32_e32 vcc, 15, v0
	v_cndmask_b32_e32 v122, v122, v46, vcc
	v_cmp_eq_u32_e32 vcc, 16, v0
	v_cndmask_b32_e32 v122, v122, v47, vcc
	v_cmp_eq_u32_e32 vcc, 17, v0
	v_cndmask_b32_e32 v122, v122, v48, vcc
	v_cmp_eq_u32_e32 vcc, 18, v0
	v_cndmask_b32_e32 v122, v122, v49, vcc
	v_cmp_eq_u32_e32 vcc, 19, v0
	v_cndmask_b32_e32 v122, v122, v50, vcc
	v_cmp_eq_u32_e32 vcc, 20, v0
	v_cndmask_b32_e32 v122, v122, v51, vcc
	v_cmp_eq_u32_e32 vcc, 21, v0
	v_cndmask_b32_e32 v122, v122, v52, vcc
	v_cmp_eq_u32_e32 vcc, 22, v0
	v_cndmask_b32_e32 v122, v122, v53, vcc
	v_cmp_eq_u32_e32 vcc, 23, v0
	v_cndmask_b32_e32 v122, v122, v54, vcc
	v_cmp_eq_u32_e32 vcc, 24, v0
	v_cndmask_b32_e32 v122, v122, v55, vcc
	v_cmp_eq_u32_e32 vcc, 25, v0
	ds_read_b32 v123, v121
	v_cndmask_b32_e32 v122, v122, v56, vcc
	v_cmp_eq_u32_e32 vcc, 26, v0
	v_cndmask_b32_e32 v122, v122, v57, vcc
	v_cmp_eq_u32_e32 vcc, 27, v0
	;; [unrolled: 2-line block ×3, first 2 shown]
	v_cndmask_b32_e32 v122, v122, v59, vcc
	s_waitcnt lgkmcnt(0)
	v_mul_f32_e32 v122, v122, v123
	s_cbranch_execz .LBB28_117
	s_branch .LBB28_118
.LBB28_116:
                                        ; implicit-def: $vgpr122
.LBB28_117:
	ds_read_b32 v122, v121
.LBB28_118:
	s_and_saveexec_b64 s[6:7], s[0:1]
	s_cbranch_execz .LBB28_128
; %bb.119:
	v_subrev_u32_e32 v125, 21, v0
	v_mov_b32_e32 v123, 20
	v_subrev_u32_e32 v124, 20, v0
	v_cmp_lt_u32_e32 vcc, 6, v125
	s_and_saveexec_b64 s[0:1], vcc
	s_cbranch_execz .LBB28_123
; %bb.120:
	v_and_b32_e32 v123, -8, v124
	v_sub_u32_e32 v125, 0, v123
	s_mov_b64 s[8:9], 27
	s_movk_i32 s12, 0xd0
	s_mov_b64 s[10:11], 0
.LBB28_121:                             ; =>This Inner Loop Header: Depth=1
	s_add_i32 s13, s8, -7
	v_mov_b32_e32 v123, s12
	s_add_i32 s14, s8, -6
	s_set_gpr_idx_on s13, gpr_idx(SRC0)
	v_mov_b32_e32 v134, v31
	s_set_gpr_idx_off
	s_add_i32 s15, s8, -5
	ds_read_b128 v[126:129], v123
	ds_read_b128 v[130:133], v123 offset:16
	s_set_gpr_idx_on s14, gpr_idx(SRC0)
	v_mov_b32_e32 v123, v31
	s_set_gpr_idx_off
	s_add_i32 s16, s8, -4
	s_set_gpr_idx_on s15, gpr_idx(SRC0)
	v_mov_b32_e32 v135, v31
	s_set_gpr_idx_off
	s_add_i32 s17, s8, -3
	;; [unrolled: 4-line block ×4, first 2 shown]
	s_waitcnt lgkmcnt(1)
	v_fmac_f32_e32 v122, v134, v126
	s_set_gpr_idx_on s18, gpr_idx(SRC0)
	v_mov_b32_e32 v126, v31
	s_set_gpr_idx_off
	v_fmac_f32_e32 v122, v123, v127
	s_set_gpr_idx_on s19, gpr_idx(SRC0)
	v_mov_b32_e32 v127, v31
	s_set_gpr_idx_off
	;; [unrolled: 4-line block ×3, first 2 shown]
	v_fmac_f32_e32 v122, v136, v129
	s_add_u32 s8, s8, 8
	s_waitcnt lgkmcnt(0)
	v_fmac_f32_e32 v122, v137, v130
	v_add_u32_e32 v123, s8, v125
	v_fmac_f32_e32 v122, v126, v131
	s_addc_u32 s9, s9, 0
	s_add_i32 s12, s12, 32
	s_add_i32 s13, s8, -7
	v_cmp_eq_u32_e32 vcc, 27, v123
	v_fmac_f32_e32 v122, v127, v132
	v_mov_b32_e32 v123, s13
	s_or_b64 s[10:11], vcc, s[10:11]
	v_fmac_f32_e32 v122, v128, v133
	s_andn2_b64 exec, exec, s[10:11]
	s_cbranch_execnz .LBB28_121
; %bb.122:
	s_or_b64 exec, exec, s[10:11]
.LBB28_123:
	s_or_b64 exec, exec, s[0:1]
	v_and_b32_e32 v60, 7, v124
	v_cmp_ne_u32_e32 vcc, 0, v60
	s_and_saveexec_b64 s[8:9], vcc
	s_cbranch_execz .LBB28_127
; %bb.124:
	v_mov_b32_e32 v61, 0x80
	v_lshl_add_u32 v61, v123, 2, v61
	v_mov_b32_e32 v62, 0
	s_mov_b64 s[10:11], 0
.LBB28_125:                             ; =>This Inner Loop Header: Depth=1
	v_cmp_eq_u32_e32 vcc, 1, v123
	v_cndmask_b32_e32 v124, v31, v32, vcc
	v_add_u32_e32 v60, -1, v60
	v_cmp_eq_u32_e32 vcc, 2, v123
	v_cndmask_b32_e32 v124, v124, v33, vcc
	v_cmp_eq_u32_e32 vcc, 0, v60
	v_cmp_eq_u32_e64 s[0:1], 3, v123
	v_cndmask_b32_e64 v124, v124, v34, s[0:1]
	s_or_b64 s[10:11], vcc, s[10:11]
	v_cmp_eq_u32_e32 vcc, 4, v123
	v_cndmask_b32_e32 v124, v124, v35, vcc
	v_cmp_eq_u32_e32 vcc, 5, v123
	v_cndmask_b32_e32 v124, v124, v36, vcc
	;; [unrolled: 2-line block ×20, first 2 shown]
	v_cmp_eq_u32_e32 vcc, 24, v123
	ds_read_b32 v125, v61
	v_cndmask_b32_e32 v124, v124, v55, vcc
	v_cmp_eq_u32_e32 vcc, 25, v123
	v_cndmask_b32_e32 v124, v124, v56, vcc
	v_cmp_eq_u32_e32 vcc, 26, v123
	;; [unrolled: 2-line block ×4, first 2 shown]
	v_add_co_u32_e64 v123, s[0:1], 1, v123
	v_cndmask_b32_e32 v124, v124, v59, vcc
	v_add_u32_e32 v61, 4, v61
	v_addc_co_u32_e64 v62, s[0:1], 0, v62, s[0:1]
	s_waitcnt lgkmcnt(0)
	v_fmac_f32_e32 v122, v124, v125
	s_andn2_b64 exec, exec, s[10:11]
	s_cbranch_execnz .LBB28_125
; %bb.126:
	s_or_b64 exec, exec, s[10:11]
.LBB28_127:
	s_or_b64 exec, exec, s[8:9]
.LBB28_128:
	s_or_b64 exec, exec, s[6:7]
	v_mov_b32_e32 v50, 0
	ds_read_b32 v50, v50 offset:76
	s_waitcnt lgkmcnt(0)
	v_mul_f32_e32 v50, v122, v50
.LBB28_129:
	s_or_b64 exec, exec, s[4:5]
	v_cmp_lt_u32_e64 s[0:1], 18, v0
	ds_write_b32 v121, v49
	s_waitcnt lgkmcnt(0)
	; wave barrier
	s_and_saveexec_b64 s[4:5], s[0:1]
	s_cbranch_execz .LBB28_145
; %bb.130:
	s_andn2_b64 vcc, exec, s[62:63]
	s_cbranch_vccnz .LBB28_132
; %bb.131:
	v_cmp_eq_u32_e32 vcc, 1, v0
	v_cndmask_b32_e32 v122, v31, v32, vcc
	v_cmp_eq_u32_e32 vcc, 2, v0
	v_cndmask_b32_e32 v122, v122, v33, vcc
	;; [unrolled: 2-line block ×24, first 2 shown]
	v_cmp_eq_u32_e32 vcc, 25, v0
	ds_read_b32 v123, v121
	v_cndmask_b32_e32 v122, v122, v56, vcc
	v_cmp_eq_u32_e32 vcc, 26, v0
	v_cndmask_b32_e32 v122, v122, v57, vcc
	v_cmp_eq_u32_e32 vcc, 27, v0
	;; [unrolled: 2-line block ×3, first 2 shown]
	v_cndmask_b32_e32 v122, v122, v59, vcc
	s_waitcnt lgkmcnt(0)
	v_mul_f32_e32 v122, v122, v123
	s_cbranch_execz .LBB28_133
	s_branch .LBB28_134
.LBB28_132:
                                        ; implicit-def: $vgpr122
.LBB28_133:
	ds_read_b32 v122, v121
.LBB28_134:
	s_and_saveexec_b64 s[6:7], s[2:3]
	s_cbranch_execz .LBB28_144
; %bb.135:
	v_subrev_u32_e32 v125, 20, v0
	v_mov_b32_e32 v123, 19
	v_subrev_u32_e32 v124, 19, v0
	v_cmp_lt_u32_e32 vcc, 6, v125
	s_and_saveexec_b64 s[2:3], vcc
	s_cbranch_execz .LBB28_139
; %bb.136:
	v_and_b32_e32 v123, -8, v124
	v_sub_u32_e32 v125, 0, v123
	s_mov_b64 s[8:9], 26
	s_movk_i32 s12, 0xcc
	s_mov_b64 s[10:11], 0
.LBB28_137:                             ; =>This Inner Loop Header: Depth=1
	s_add_i32 s13, s8, -7
	v_mov_b32_e32 v123, s12
	s_add_i32 s14, s8, -6
	s_set_gpr_idx_on s13, gpr_idx(SRC0)
	v_mov_b32_e32 v132, v31
	s_set_gpr_idx_off
	ds_read2_b32 v[126:127], v123 offset1:1
	s_add_i32 s15, s8, -5
	s_set_gpr_idx_on s14, gpr_idx(SRC0)
	v_mov_b32_e32 v133, v31
	s_set_gpr_idx_off
	s_add_i32 s16, s8, -4
	s_set_gpr_idx_on s15, gpr_idx(SRC0)
	v_mov_b32_e32 v134, v31
	s_set_gpr_idx_off
	ds_read2_b32 v[128:129], v123 offset0:2 offset1:3
	s_add_i32 s17, s8, -3
	s_set_gpr_idx_on s16, gpr_idx(SRC0)
	v_mov_b32_e32 v135, v31
	s_set_gpr_idx_off
	s_add_i32 s18, s8, -2
	s_set_gpr_idx_on s17, gpr_idx(SRC0)
	v_mov_b32_e32 v136, v31
	s_set_gpr_idx_off
	ds_read2_b32 v[130:131], v123 offset0:4 offset1:5
	s_add_i32 s19, s8, -1
	s_waitcnt lgkmcnt(2)
	v_fmac_f32_e32 v122, v132, v126
	s_set_gpr_idx_on s18, gpr_idx(SRC0)
	v_mov_b32_e32 v132, v31
	s_set_gpr_idx_off
	v_fmac_f32_e32 v122, v133, v127
	s_set_gpr_idx_on s19, gpr_idx(SRC0)
	v_mov_b32_e32 v133, v31
	s_set_gpr_idx_off
	ds_read2_b32 v[126:127], v123 offset0:6 offset1:7
	s_waitcnt lgkmcnt(2)
	v_fmac_f32_e32 v122, v134, v128
	s_set_gpr_idx_on s8, gpr_idx(SRC0)
	v_mov_b32_e32 v128, v31
	s_set_gpr_idx_off
	v_fmac_f32_e32 v122, v135, v129
	s_add_u32 s8, s8, 8
	s_waitcnt lgkmcnt(1)
	v_fmac_f32_e32 v122, v136, v130
	v_add_u32_e32 v123, s8, v125
	v_fmac_f32_e32 v122, v132, v131
	s_addc_u32 s9, s9, 0
	s_add_i32 s12, s12, 32
	s_add_i32 s13, s8, -7
	v_cmp_eq_u32_e32 vcc, 26, v123
	s_waitcnt lgkmcnt(0)
	v_fmac_f32_e32 v122, v133, v126
	v_mov_b32_e32 v123, s13
	s_or_b64 s[10:11], vcc, s[10:11]
	v_fmac_f32_e32 v122, v128, v127
	s_andn2_b64 exec, exec, s[10:11]
	s_cbranch_execnz .LBB28_137
; %bb.138:
	s_or_b64 exec, exec, s[10:11]
.LBB28_139:
	s_or_b64 exec, exec, s[2:3]
	v_and_b32_e32 v60, 7, v124
	v_cmp_ne_u32_e32 vcc, 0, v60
	s_and_saveexec_b64 s[8:9], vcc
	s_cbranch_execz .LBB28_143
; %bb.140:
	v_mov_b32_e32 v61, 0x80
	v_lshl_add_u32 v61, v123, 2, v61
	v_mov_b32_e32 v62, 0
	s_mov_b64 s[10:11], 0
.LBB28_141:                             ; =>This Inner Loop Header: Depth=1
	v_cmp_eq_u32_e32 vcc, 1, v123
	v_cndmask_b32_e32 v124, v31, v32, vcc
	v_add_u32_e32 v60, -1, v60
	v_cmp_eq_u32_e32 vcc, 2, v123
	v_cndmask_b32_e32 v124, v124, v33, vcc
	v_cmp_eq_u32_e32 vcc, 0, v60
	v_cmp_eq_u32_e64 s[2:3], 3, v123
	v_cndmask_b32_e64 v124, v124, v34, s[2:3]
	s_or_b64 s[10:11], vcc, s[10:11]
	v_cmp_eq_u32_e32 vcc, 4, v123
	v_cndmask_b32_e32 v124, v124, v35, vcc
	v_cmp_eq_u32_e32 vcc, 5, v123
	v_cndmask_b32_e32 v124, v124, v36, vcc
	;; [unrolled: 2-line block ×20, first 2 shown]
	v_cmp_eq_u32_e32 vcc, 24, v123
	ds_read_b32 v125, v61
	v_cndmask_b32_e32 v124, v124, v55, vcc
	v_cmp_eq_u32_e32 vcc, 25, v123
	v_cndmask_b32_e32 v124, v124, v56, vcc
	v_cmp_eq_u32_e32 vcc, 26, v123
	;; [unrolled: 2-line block ×4, first 2 shown]
	v_add_co_u32_e64 v123, s[2:3], 1, v123
	v_cndmask_b32_e32 v124, v124, v59, vcc
	v_add_u32_e32 v61, 4, v61
	v_addc_co_u32_e64 v62, s[2:3], 0, v62, s[2:3]
	s_waitcnt lgkmcnt(0)
	v_fmac_f32_e32 v122, v124, v125
	s_andn2_b64 exec, exec, s[10:11]
	s_cbranch_execnz .LBB28_141
; %bb.142:
	s_or_b64 exec, exec, s[10:11]
.LBB28_143:
	s_or_b64 exec, exec, s[8:9]
.LBB28_144:
	s_or_b64 exec, exec, s[6:7]
	v_mov_b32_e32 v49, 0
	ds_read_b32 v49, v49 offset:72
	s_waitcnt lgkmcnt(0)
	v_mul_f32_e32 v49, v122, v49
.LBB28_145:
	s_or_b64 exec, exec, s[4:5]
	v_cmp_lt_u32_e64 s[2:3], 17, v0
	ds_write_b32 v121, v48
	s_waitcnt lgkmcnt(0)
	; wave barrier
	s_and_saveexec_b64 s[4:5], s[2:3]
	s_cbranch_execz .LBB28_161
; %bb.146:
	s_andn2_b64 vcc, exec, s[62:63]
	s_cbranch_vccnz .LBB28_148
; %bb.147:
	v_cmp_eq_u32_e32 vcc, 1, v0
	v_cndmask_b32_e32 v122, v31, v32, vcc
	v_cmp_eq_u32_e32 vcc, 2, v0
	v_cndmask_b32_e32 v122, v122, v33, vcc
	;; [unrolled: 2-line block ×24, first 2 shown]
	v_cmp_eq_u32_e32 vcc, 25, v0
	ds_read_b32 v123, v121
	v_cndmask_b32_e32 v122, v122, v56, vcc
	v_cmp_eq_u32_e32 vcc, 26, v0
	v_cndmask_b32_e32 v122, v122, v57, vcc
	v_cmp_eq_u32_e32 vcc, 27, v0
	;; [unrolled: 2-line block ×3, first 2 shown]
	v_cndmask_b32_e32 v122, v122, v59, vcc
	s_waitcnt lgkmcnt(0)
	v_mul_f32_e32 v122, v122, v123
	s_cbranch_execz .LBB28_149
	s_branch .LBB28_150
.LBB28_148:
                                        ; implicit-def: $vgpr122
.LBB28_149:
	ds_read_b32 v122, v121
.LBB28_150:
	s_and_saveexec_b64 s[6:7], s[0:1]
	s_cbranch_execz .LBB28_160
; %bb.151:
	v_subrev_u32_e32 v125, 19, v0
	v_mov_b32_e32 v123, 18
	v_subrev_u32_e32 v124, 18, v0
	v_cmp_lt_u32_e32 vcc, 6, v125
	s_and_saveexec_b64 s[0:1], vcc
	s_cbranch_execz .LBB28_155
; %bb.152:
	v_and_b32_e32 v123, -8, v124
	v_sub_u32_e32 v125, 0, v123
	s_mov_b64 s[8:9], 25
	s_movk_i32 s12, 0xc8
	s_mov_b64 s[10:11], 0
.LBB28_153:                             ; =>This Inner Loop Header: Depth=1
	s_add_i32 s13, s8, -7
	v_mov_b32_e32 v123, s12
	s_add_i32 s14, s8, -6
	s_set_gpr_idx_on s13, gpr_idx(SRC0)
	v_mov_b32_e32 v134, v31
	s_set_gpr_idx_off
	ds_read2_b64 v[126:129], v123 offset1:1
	s_add_i32 s15, s8, -5
	s_set_gpr_idx_on s14, gpr_idx(SRC0)
	v_mov_b32_e32 v135, v31
	s_set_gpr_idx_off
	s_add_i32 s16, s8, -4
	s_set_gpr_idx_on s15, gpr_idx(SRC0)
	v_mov_b32_e32 v136, v31
	s_set_gpr_idx_off
	s_add_i32 s17, s8, -3
	s_set_gpr_idx_on s16, gpr_idx(SRC0)
	v_mov_b32_e32 v137, v31
	s_set_gpr_idx_off
	s_add_i32 s18, s8, -2
	s_set_gpr_idx_on s17, gpr_idx(SRC0)
	v_mov_b32_e32 v138, v31
	s_set_gpr_idx_off
	ds_read2_b64 v[130:133], v123 offset0:2 offset1:3
	s_add_i32 s19, s8, -1
	s_waitcnt lgkmcnt(1)
	v_fmac_f32_e32 v122, v134, v126
	s_set_gpr_idx_on s18, gpr_idx(SRC0)
	v_mov_b32_e32 v126, v31
	s_set_gpr_idx_off
	v_fmac_f32_e32 v122, v135, v127
	s_set_gpr_idx_on s19, gpr_idx(SRC0)
	v_mov_b32_e32 v127, v31
	s_set_gpr_idx_off
	;; [unrolled: 4-line block ×3, first 2 shown]
	v_fmac_f32_e32 v122, v137, v129
	s_add_u32 s8, s8, 8
	s_waitcnt lgkmcnt(0)
	v_fmac_f32_e32 v122, v138, v130
	v_add_u32_e32 v123, s8, v125
	v_fmac_f32_e32 v122, v126, v131
	s_addc_u32 s9, s9, 0
	s_add_i32 s12, s12, 32
	s_add_i32 s13, s8, -7
	v_cmp_eq_u32_e32 vcc, 25, v123
	v_fmac_f32_e32 v122, v127, v132
	v_mov_b32_e32 v123, s13
	s_or_b64 s[10:11], vcc, s[10:11]
	v_fmac_f32_e32 v122, v128, v133
	s_andn2_b64 exec, exec, s[10:11]
	s_cbranch_execnz .LBB28_153
; %bb.154:
	s_or_b64 exec, exec, s[10:11]
.LBB28_155:
	s_or_b64 exec, exec, s[0:1]
	v_and_b32_e32 v60, 7, v124
	v_cmp_ne_u32_e32 vcc, 0, v60
	s_and_saveexec_b64 s[8:9], vcc
	s_cbranch_execz .LBB28_159
; %bb.156:
	v_mov_b32_e32 v61, 0x80
	v_lshl_add_u32 v61, v123, 2, v61
	v_mov_b32_e32 v62, 0
	s_mov_b64 s[10:11], 0
.LBB28_157:                             ; =>This Inner Loop Header: Depth=1
	v_cmp_eq_u32_e32 vcc, 1, v123
	v_cndmask_b32_e32 v124, v31, v32, vcc
	v_add_u32_e32 v60, -1, v60
	v_cmp_eq_u32_e32 vcc, 2, v123
	v_cndmask_b32_e32 v124, v124, v33, vcc
	v_cmp_eq_u32_e32 vcc, 0, v60
	v_cmp_eq_u32_e64 s[0:1], 3, v123
	v_cndmask_b32_e64 v124, v124, v34, s[0:1]
	s_or_b64 s[10:11], vcc, s[10:11]
	v_cmp_eq_u32_e32 vcc, 4, v123
	v_cndmask_b32_e32 v124, v124, v35, vcc
	v_cmp_eq_u32_e32 vcc, 5, v123
	v_cndmask_b32_e32 v124, v124, v36, vcc
	;; [unrolled: 2-line block ×20, first 2 shown]
	v_cmp_eq_u32_e32 vcc, 24, v123
	ds_read_b32 v125, v61
	v_cndmask_b32_e32 v124, v124, v55, vcc
	v_cmp_eq_u32_e32 vcc, 25, v123
	v_cndmask_b32_e32 v124, v124, v56, vcc
	v_cmp_eq_u32_e32 vcc, 26, v123
	;; [unrolled: 2-line block ×4, first 2 shown]
	v_add_co_u32_e64 v123, s[0:1], 1, v123
	v_cndmask_b32_e32 v124, v124, v59, vcc
	v_add_u32_e32 v61, 4, v61
	v_addc_co_u32_e64 v62, s[0:1], 0, v62, s[0:1]
	s_waitcnt lgkmcnt(0)
	v_fmac_f32_e32 v122, v124, v125
	s_andn2_b64 exec, exec, s[10:11]
	s_cbranch_execnz .LBB28_157
; %bb.158:
	s_or_b64 exec, exec, s[10:11]
.LBB28_159:
	s_or_b64 exec, exec, s[8:9]
.LBB28_160:
	s_or_b64 exec, exec, s[6:7]
	v_mov_b32_e32 v48, 0
	ds_read_b32 v48, v48 offset:68
	s_waitcnt lgkmcnt(0)
	v_mul_f32_e32 v48, v122, v48
.LBB28_161:
	s_or_b64 exec, exec, s[4:5]
	v_cmp_lt_u32_e64 s[0:1], 16, v0
	ds_write_b32 v121, v47
	s_waitcnt lgkmcnt(0)
	; wave barrier
	s_and_saveexec_b64 s[4:5], s[0:1]
	s_cbranch_execz .LBB28_177
; %bb.162:
	s_andn2_b64 vcc, exec, s[62:63]
	s_cbranch_vccnz .LBB28_164
; %bb.163:
	v_cmp_eq_u32_e32 vcc, 1, v0
	v_cndmask_b32_e32 v122, v31, v32, vcc
	v_cmp_eq_u32_e32 vcc, 2, v0
	v_cndmask_b32_e32 v122, v122, v33, vcc
	;; [unrolled: 2-line block ×24, first 2 shown]
	v_cmp_eq_u32_e32 vcc, 25, v0
	ds_read_b32 v123, v121
	v_cndmask_b32_e32 v122, v122, v56, vcc
	v_cmp_eq_u32_e32 vcc, 26, v0
	v_cndmask_b32_e32 v122, v122, v57, vcc
	v_cmp_eq_u32_e32 vcc, 27, v0
	;; [unrolled: 2-line block ×3, first 2 shown]
	v_cndmask_b32_e32 v122, v122, v59, vcc
	s_waitcnt lgkmcnt(0)
	v_mul_f32_e32 v122, v122, v123
	s_cbranch_execz .LBB28_165
	s_branch .LBB28_166
.LBB28_164:
                                        ; implicit-def: $vgpr122
.LBB28_165:
	ds_read_b32 v122, v121
.LBB28_166:
	s_and_saveexec_b64 s[6:7], s[2:3]
	s_cbranch_execz .LBB28_176
; %bb.167:
	v_subrev_u32_e32 v125, 18, v0
	v_mov_b32_e32 v123, 17
	v_subrev_u32_e32 v124, 17, v0
	v_cmp_lt_u32_e32 vcc, 6, v125
	s_and_saveexec_b64 s[2:3], vcc
	s_cbranch_execz .LBB28_171
; %bb.168:
	v_and_b32_e32 v123, -8, v124
	v_sub_u32_e32 v125, 0, v123
	s_mov_b64 s[8:9], 24
	s_movk_i32 s12, 0xc4
	s_mov_b64 s[10:11], 0
.LBB28_169:                             ; =>This Inner Loop Header: Depth=1
	s_add_i32 s13, s8, -7
	v_mov_b32_e32 v123, s12
	s_add_i32 s14, s8, -6
	s_set_gpr_idx_on s13, gpr_idx(SRC0)
	v_mov_b32_e32 v132, v31
	s_set_gpr_idx_off
	ds_read2_b32 v[126:127], v123 offset1:1
	s_add_i32 s15, s8, -5
	s_set_gpr_idx_on s14, gpr_idx(SRC0)
	v_mov_b32_e32 v133, v31
	s_set_gpr_idx_off
	s_add_i32 s16, s8, -4
	s_set_gpr_idx_on s15, gpr_idx(SRC0)
	v_mov_b32_e32 v134, v31
	s_set_gpr_idx_off
	ds_read2_b32 v[128:129], v123 offset0:2 offset1:3
	s_add_i32 s17, s8, -3
	s_set_gpr_idx_on s16, gpr_idx(SRC0)
	v_mov_b32_e32 v135, v31
	s_set_gpr_idx_off
	s_add_i32 s18, s8, -2
	s_set_gpr_idx_on s17, gpr_idx(SRC0)
	v_mov_b32_e32 v136, v31
	s_set_gpr_idx_off
	ds_read2_b32 v[130:131], v123 offset0:4 offset1:5
	s_add_i32 s19, s8, -1
	s_waitcnt lgkmcnt(2)
	v_fmac_f32_e32 v122, v132, v126
	s_set_gpr_idx_on s18, gpr_idx(SRC0)
	v_mov_b32_e32 v132, v31
	s_set_gpr_idx_off
	v_fmac_f32_e32 v122, v133, v127
	s_set_gpr_idx_on s19, gpr_idx(SRC0)
	v_mov_b32_e32 v133, v31
	s_set_gpr_idx_off
	ds_read2_b32 v[126:127], v123 offset0:6 offset1:7
	s_waitcnt lgkmcnt(2)
	v_fmac_f32_e32 v122, v134, v128
	s_set_gpr_idx_on s8, gpr_idx(SRC0)
	v_mov_b32_e32 v128, v31
	s_set_gpr_idx_off
	v_fmac_f32_e32 v122, v135, v129
	s_add_u32 s8, s8, 8
	s_waitcnt lgkmcnt(1)
	v_fmac_f32_e32 v122, v136, v130
	v_add_u32_e32 v123, s8, v125
	v_fmac_f32_e32 v122, v132, v131
	s_addc_u32 s9, s9, 0
	s_add_i32 s12, s12, 32
	s_add_i32 s13, s8, -7
	v_cmp_eq_u32_e32 vcc, 24, v123
	s_waitcnt lgkmcnt(0)
	v_fmac_f32_e32 v122, v133, v126
	v_mov_b32_e32 v123, s13
	s_or_b64 s[10:11], vcc, s[10:11]
	v_fmac_f32_e32 v122, v128, v127
	s_andn2_b64 exec, exec, s[10:11]
	s_cbranch_execnz .LBB28_169
; %bb.170:
	s_or_b64 exec, exec, s[10:11]
.LBB28_171:
	s_or_b64 exec, exec, s[2:3]
	v_and_b32_e32 v60, 7, v124
	v_cmp_ne_u32_e32 vcc, 0, v60
	s_and_saveexec_b64 s[8:9], vcc
	s_cbranch_execz .LBB28_175
; %bb.172:
	v_mov_b32_e32 v61, 0x80
	v_lshl_add_u32 v61, v123, 2, v61
	v_mov_b32_e32 v62, 0
	s_mov_b64 s[10:11], 0
.LBB28_173:                             ; =>This Inner Loop Header: Depth=1
	v_cmp_eq_u32_e32 vcc, 1, v123
	v_cndmask_b32_e32 v124, v31, v32, vcc
	v_add_u32_e32 v60, -1, v60
	v_cmp_eq_u32_e32 vcc, 2, v123
	v_cndmask_b32_e32 v124, v124, v33, vcc
	v_cmp_eq_u32_e32 vcc, 0, v60
	v_cmp_eq_u32_e64 s[2:3], 3, v123
	v_cndmask_b32_e64 v124, v124, v34, s[2:3]
	s_or_b64 s[10:11], vcc, s[10:11]
	v_cmp_eq_u32_e32 vcc, 4, v123
	v_cndmask_b32_e32 v124, v124, v35, vcc
	v_cmp_eq_u32_e32 vcc, 5, v123
	v_cndmask_b32_e32 v124, v124, v36, vcc
	v_cmp_eq_u32_e32 vcc, 6, v123
	v_cndmask_b32_e32 v124, v124, v37, vcc
	v_cmp_eq_u32_e32 vcc, 7, v123
	v_cndmask_b32_e32 v124, v124, v38, vcc
	v_cmp_eq_u32_e32 vcc, 8, v123
	v_cndmask_b32_e32 v124, v124, v39, vcc
	v_cmp_eq_u32_e32 vcc, 9, v123
	v_cndmask_b32_e32 v124, v124, v40, vcc
	v_cmp_eq_u32_e32 vcc, 10, v123
	v_cndmask_b32_e32 v124, v124, v41, vcc
	v_cmp_eq_u32_e32 vcc, 11, v123
	v_cndmask_b32_e32 v124, v124, v42, vcc
	v_cmp_eq_u32_e32 vcc, 12, v123
	v_cndmask_b32_e32 v124, v124, v43, vcc
	v_cmp_eq_u32_e32 vcc, 13, v123
	v_cndmask_b32_e32 v124, v124, v44, vcc
	v_cmp_eq_u32_e32 vcc, 14, v123
	v_cndmask_b32_e32 v124, v124, v45, vcc
	v_cmp_eq_u32_e32 vcc, 15, v123
	v_cndmask_b32_e32 v124, v124, v46, vcc
	v_cmp_eq_u32_e32 vcc, 16, v123
	v_cndmask_b32_e32 v124, v124, v47, vcc
	v_cmp_eq_u32_e32 vcc, 17, v123
	v_cndmask_b32_e32 v124, v124, v48, vcc
	v_cmp_eq_u32_e32 vcc, 18, v123
	v_cndmask_b32_e32 v124, v124, v49, vcc
	v_cmp_eq_u32_e32 vcc, 19, v123
	v_cndmask_b32_e32 v124, v124, v50, vcc
	v_cmp_eq_u32_e32 vcc, 20, v123
	v_cndmask_b32_e32 v124, v124, v51, vcc
	v_cmp_eq_u32_e32 vcc, 21, v123
	v_cndmask_b32_e32 v124, v124, v52, vcc
	v_cmp_eq_u32_e32 vcc, 22, v123
	v_cndmask_b32_e32 v124, v124, v53, vcc
	v_cmp_eq_u32_e32 vcc, 23, v123
	v_cndmask_b32_e32 v124, v124, v54, vcc
	v_cmp_eq_u32_e32 vcc, 24, v123
	ds_read_b32 v125, v61
	v_cndmask_b32_e32 v124, v124, v55, vcc
	v_cmp_eq_u32_e32 vcc, 25, v123
	v_cndmask_b32_e32 v124, v124, v56, vcc
	v_cmp_eq_u32_e32 vcc, 26, v123
	;; [unrolled: 2-line block ×4, first 2 shown]
	v_add_co_u32_e64 v123, s[2:3], 1, v123
	v_cndmask_b32_e32 v124, v124, v59, vcc
	v_add_u32_e32 v61, 4, v61
	v_addc_co_u32_e64 v62, s[2:3], 0, v62, s[2:3]
	s_waitcnt lgkmcnt(0)
	v_fmac_f32_e32 v122, v124, v125
	s_andn2_b64 exec, exec, s[10:11]
	s_cbranch_execnz .LBB28_173
; %bb.174:
	s_or_b64 exec, exec, s[10:11]
.LBB28_175:
	s_or_b64 exec, exec, s[8:9]
.LBB28_176:
	s_or_b64 exec, exec, s[6:7]
	v_mov_b32_e32 v47, 0
	ds_read_b32 v47, v47 offset:64
	s_waitcnt lgkmcnt(0)
	v_mul_f32_e32 v47, v122, v47
.LBB28_177:
	s_or_b64 exec, exec, s[4:5]
	v_cmp_lt_u32_e64 s[2:3], 15, v0
	ds_write_b32 v121, v46
	s_waitcnt lgkmcnt(0)
	; wave barrier
	s_and_saveexec_b64 s[4:5], s[2:3]
	s_cbranch_execz .LBB28_193
; %bb.178:
	s_andn2_b64 vcc, exec, s[62:63]
	s_cbranch_vccnz .LBB28_180
; %bb.179:
	v_cmp_eq_u32_e32 vcc, 1, v0
	v_cndmask_b32_e32 v122, v31, v32, vcc
	v_cmp_eq_u32_e32 vcc, 2, v0
	v_cndmask_b32_e32 v122, v122, v33, vcc
	v_cmp_eq_u32_e32 vcc, 3, v0
	v_cndmask_b32_e32 v122, v122, v34, vcc
	v_cmp_eq_u32_e32 vcc, 4, v0
	v_cndmask_b32_e32 v122, v122, v35, vcc
	v_cmp_eq_u32_e32 vcc, 5, v0
	v_cndmask_b32_e32 v122, v122, v36, vcc
	v_cmp_eq_u32_e32 vcc, 6, v0
	v_cndmask_b32_e32 v122, v122, v37, vcc
	v_cmp_eq_u32_e32 vcc, 7, v0
	v_cndmask_b32_e32 v122, v122, v38, vcc
	v_cmp_eq_u32_e32 vcc, 8, v0
	v_cndmask_b32_e32 v122, v122, v39, vcc
	v_cmp_eq_u32_e32 vcc, 9, v0
	v_cndmask_b32_e32 v122, v122, v40, vcc
	v_cmp_eq_u32_e32 vcc, 10, v0
	v_cndmask_b32_e32 v122, v122, v41, vcc
	v_cmp_eq_u32_e32 vcc, 11, v0
	v_cndmask_b32_e32 v122, v122, v42, vcc
	v_cmp_eq_u32_e32 vcc, 12, v0
	v_cndmask_b32_e32 v122, v122, v43, vcc
	v_cmp_eq_u32_e32 vcc, 13, v0
	v_cndmask_b32_e32 v122, v122, v44, vcc
	v_cmp_eq_u32_e32 vcc, 14, v0
	v_cndmask_b32_e32 v122, v122, v45, vcc
	v_cmp_eq_u32_e32 vcc, 15, v0
	v_cndmask_b32_e32 v122, v122, v46, vcc
	v_cmp_eq_u32_e32 vcc, 16, v0
	v_cndmask_b32_e32 v122, v122, v47, vcc
	v_cmp_eq_u32_e32 vcc, 17, v0
	v_cndmask_b32_e32 v122, v122, v48, vcc
	v_cmp_eq_u32_e32 vcc, 18, v0
	v_cndmask_b32_e32 v122, v122, v49, vcc
	v_cmp_eq_u32_e32 vcc, 19, v0
	v_cndmask_b32_e32 v122, v122, v50, vcc
	v_cmp_eq_u32_e32 vcc, 20, v0
	v_cndmask_b32_e32 v122, v122, v51, vcc
	v_cmp_eq_u32_e32 vcc, 21, v0
	v_cndmask_b32_e32 v122, v122, v52, vcc
	v_cmp_eq_u32_e32 vcc, 22, v0
	v_cndmask_b32_e32 v122, v122, v53, vcc
	v_cmp_eq_u32_e32 vcc, 23, v0
	v_cndmask_b32_e32 v122, v122, v54, vcc
	v_cmp_eq_u32_e32 vcc, 24, v0
	v_cndmask_b32_e32 v122, v122, v55, vcc
	v_cmp_eq_u32_e32 vcc, 25, v0
	ds_read_b32 v123, v121
	v_cndmask_b32_e32 v122, v122, v56, vcc
	v_cmp_eq_u32_e32 vcc, 26, v0
	v_cndmask_b32_e32 v122, v122, v57, vcc
	v_cmp_eq_u32_e32 vcc, 27, v0
	;; [unrolled: 2-line block ×3, first 2 shown]
	v_cndmask_b32_e32 v122, v122, v59, vcc
	s_waitcnt lgkmcnt(0)
	v_mul_f32_e32 v122, v122, v123
	s_cbranch_execz .LBB28_181
	s_branch .LBB28_182
.LBB28_180:
                                        ; implicit-def: $vgpr122
.LBB28_181:
	ds_read_b32 v122, v121
.LBB28_182:
	s_and_saveexec_b64 s[6:7], s[0:1]
	s_cbranch_execz .LBB28_192
; %bb.183:
	v_subrev_u32_e32 v123, 17, v0
	v_cmp_lt_u32_e32 vcc, 6, v123
	v_mov_b32_e32 v123, 16
	s_and_saveexec_b64 s[0:1], vcc
	s_cbranch_execz .LBB28_187
; %bb.184:
	v_and_b32_e32 v123, 24, v0
	v_sub_u32_e32 v124, 0, v123
	s_mov_b64 s[8:9], 23
	s_movk_i32 s12, 0xc0
	s_mov_b64 s[10:11], 0
.LBB28_185:                             ; =>This Inner Loop Header: Depth=1
	s_add_i32 s13, s8, -7
	v_mov_b32_e32 v123, s12
	s_add_i32 s14, s8, -6
	s_set_gpr_idx_on s13, gpr_idx(SRC0)
	v_mov_b32_e32 v133, v31
	s_set_gpr_idx_off
	s_add_i32 s15, s8, -5
	ds_read_b128 v[125:128], v123
	ds_read_b128 v[129:132], v123 offset:16
	s_set_gpr_idx_on s14, gpr_idx(SRC0)
	v_mov_b32_e32 v123, v31
	s_set_gpr_idx_off
	s_add_i32 s16, s8, -4
	s_set_gpr_idx_on s15, gpr_idx(SRC0)
	v_mov_b32_e32 v134, v31
	s_set_gpr_idx_off
	s_add_i32 s17, s8, -3
	;; [unrolled: 4-line block ×4, first 2 shown]
	s_waitcnt lgkmcnt(1)
	v_fmac_f32_e32 v122, v133, v125
	s_set_gpr_idx_on s18, gpr_idx(SRC0)
	v_mov_b32_e32 v125, v31
	s_set_gpr_idx_off
	v_fmac_f32_e32 v122, v123, v126
	s_set_gpr_idx_on s19, gpr_idx(SRC0)
	v_mov_b32_e32 v126, v31
	s_set_gpr_idx_off
	;; [unrolled: 4-line block ×3, first 2 shown]
	v_fmac_f32_e32 v122, v135, v128
	s_add_u32 s8, s8, 8
	s_waitcnt lgkmcnt(0)
	v_fmac_f32_e32 v122, v136, v129
	v_add_u32_e32 v123, s8, v124
	v_fmac_f32_e32 v122, v125, v130
	s_addc_u32 s9, s9, 0
	s_add_i32 s12, s12, 32
	s_add_i32 s13, s8, -7
	v_cmp_eq_u32_e32 vcc, 7, v123
	v_fmac_f32_e32 v122, v126, v131
	v_mov_b32_e32 v123, s13
	s_or_b64 s[10:11], vcc, s[10:11]
	v_fmac_f32_e32 v122, v127, v132
	s_andn2_b64 exec, exec, s[10:11]
	s_cbranch_execnz .LBB28_185
; %bb.186:
	s_or_b64 exec, exec, s[10:11]
.LBB28_187:
	s_or_b64 exec, exec, s[0:1]
	v_and_b32_e32 v60, 7, v0
	v_cmp_ne_u32_e32 vcc, 0, v60
	s_and_saveexec_b64 s[8:9], vcc
	s_cbranch_execz .LBB28_191
; %bb.188:
	v_mov_b32_e32 v61, 0x80
	v_lshl_add_u32 v61, v123, 2, v61
	v_mov_b32_e32 v62, 0
	s_mov_b64 s[10:11], 0
.LBB28_189:                             ; =>This Inner Loop Header: Depth=1
	v_cmp_eq_u32_e32 vcc, 1, v123
	v_cndmask_b32_e32 v124, v31, v32, vcc
	v_add_u32_e32 v60, -1, v60
	v_cmp_eq_u32_e32 vcc, 2, v123
	v_cndmask_b32_e32 v124, v124, v33, vcc
	v_cmp_eq_u32_e32 vcc, 0, v60
	v_cmp_eq_u32_e64 s[0:1], 3, v123
	v_cndmask_b32_e64 v124, v124, v34, s[0:1]
	s_or_b64 s[10:11], vcc, s[10:11]
	v_cmp_eq_u32_e32 vcc, 4, v123
	v_cndmask_b32_e32 v124, v124, v35, vcc
	v_cmp_eq_u32_e32 vcc, 5, v123
	v_cndmask_b32_e32 v124, v124, v36, vcc
	;; [unrolled: 2-line block ×20, first 2 shown]
	v_cmp_eq_u32_e32 vcc, 24, v123
	ds_read_b32 v125, v61
	v_cndmask_b32_e32 v124, v124, v55, vcc
	v_cmp_eq_u32_e32 vcc, 25, v123
	v_cndmask_b32_e32 v124, v124, v56, vcc
	v_cmp_eq_u32_e32 vcc, 26, v123
	;; [unrolled: 2-line block ×4, first 2 shown]
	v_add_co_u32_e64 v123, s[0:1], 1, v123
	v_cndmask_b32_e32 v124, v124, v59, vcc
	v_add_u32_e32 v61, 4, v61
	v_addc_co_u32_e64 v62, s[0:1], 0, v62, s[0:1]
	s_waitcnt lgkmcnt(0)
	v_fmac_f32_e32 v122, v124, v125
	s_andn2_b64 exec, exec, s[10:11]
	s_cbranch_execnz .LBB28_189
; %bb.190:
	s_or_b64 exec, exec, s[10:11]
.LBB28_191:
	s_or_b64 exec, exec, s[8:9]
.LBB28_192:
	s_or_b64 exec, exec, s[6:7]
	v_mov_b32_e32 v46, 0
	ds_read_b32 v46, v46 offset:60
	s_waitcnt lgkmcnt(0)
	v_mul_f32_e32 v46, v122, v46
.LBB28_193:
	s_or_b64 exec, exec, s[4:5]
	v_cmp_lt_u32_e64 s[0:1], 14, v0
	ds_write_b32 v121, v45
	s_waitcnt lgkmcnt(0)
	; wave barrier
	s_and_saveexec_b64 s[4:5], s[0:1]
	s_cbranch_execz .LBB28_209
; %bb.194:
	s_andn2_b64 vcc, exec, s[62:63]
	s_cbranch_vccnz .LBB28_196
; %bb.195:
	v_cmp_eq_u32_e32 vcc, 1, v0
	v_cndmask_b32_e32 v122, v31, v32, vcc
	v_cmp_eq_u32_e32 vcc, 2, v0
	v_cndmask_b32_e32 v122, v122, v33, vcc
	;; [unrolled: 2-line block ×24, first 2 shown]
	v_cmp_eq_u32_e32 vcc, 25, v0
	ds_read_b32 v123, v121
	v_cndmask_b32_e32 v122, v122, v56, vcc
	v_cmp_eq_u32_e32 vcc, 26, v0
	v_cndmask_b32_e32 v122, v122, v57, vcc
	v_cmp_eq_u32_e32 vcc, 27, v0
	v_cndmask_b32_e32 v122, v122, v58, vcc
	v_cmp_eq_u32_e32 vcc, 28, v0
	v_cndmask_b32_e32 v122, v122, v59, vcc
	s_waitcnt lgkmcnt(0)
	v_mul_f32_e32 v122, v122, v123
	s_cbranch_execz .LBB28_197
	s_branch .LBB28_198
.LBB28_196:
                                        ; implicit-def: $vgpr122
.LBB28_197:
	ds_read_b32 v122, v121
.LBB28_198:
	s_and_saveexec_b64 s[6:7], s[2:3]
	s_cbranch_execz .LBB28_208
; %bb.199:
	v_add_u32_e32 v123, -16, v0
	v_add_u32_e32 v124, -15, v0
	v_cmp_lt_u32_e32 vcc, 6, v123
	v_mov_b32_e32 v123, 15
	s_and_saveexec_b64 s[2:3], vcc
	s_cbranch_execz .LBB28_203
; %bb.200:
	v_and_b32_e32 v123, -8, v124
	v_sub_u32_e32 v125, 0, v123
	s_mov_b64 s[8:9], 22
	s_movk_i32 s12, 0xbc
	s_mov_b64 s[10:11], 0
.LBB28_201:                             ; =>This Inner Loop Header: Depth=1
	s_add_i32 s13, s8, -7
	v_mov_b32_e32 v123, s12
	s_add_i32 s14, s8, -6
	s_set_gpr_idx_on s13, gpr_idx(SRC0)
	v_mov_b32_e32 v132, v31
	s_set_gpr_idx_off
	ds_read2_b32 v[126:127], v123 offset1:1
	s_add_i32 s15, s8, -5
	s_set_gpr_idx_on s14, gpr_idx(SRC0)
	v_mov_b32_e32 v133, v31
	s_set_gpr_idx_off
	s_add_i32 s16, s8, -4
	s_set_gpr_idx_on s15, gpr_idx(SRC0)
	v_mov_b32_e32 v134, v31
	s_set_gpr_idx_off
	ds_read2_b32 v[128:129], v123 offset0:2 offset1:3
	s_add_i32 s17, s8, -3
	s_set_gpr_idx_on s16, gpr_idx(SRC0)
	v_mov_b32_e32 v135, v31
	s_set_gpr_idx_off
	s_add_i32 s18, s8, -2
	s_set_gpr_idx_on s17, gpr_idx(SRC0)
	v_mov_b32_e32 v136, v31
	s_set_gpr_idx_off
	ds_read2_b32 v[130:131], v123 offset0:4 offset1:5
	s_add_i32 s19, s8, -1
	s_waitcnt lgkmcnt(2)
	v_fmac_f32_e32 v122, v132, v126
	s_set_gpr_idx_on s18, gpr_idx(SRC0)
	v_mov_b32_e32 v132, v31
	s_set_gpr_idx_off
	v_fmac_f32_e32 v122, v133, v127
	s_set_gpr_idx_on s19, gpr_idx(SRC0)
	v_mov_b32_e32 v133, v31
	s_set_gpr_idx_off
	ds_read2_b32 v[126:127], v123 offset0:6 offset1:7
	s_waitcnt lgkmcnt(2)
	v_fmac_f32_e32 v122, v134, v128
	s_set_gpr_idx_on s8, gpr_idx(SRC0)
	v_mov_b32_e32 v128, v31
	s_set_gpr_idx_off
	v_fmac_f32_e32 v122, v135, v129
	s_add_u32 s8, s8, 8
	s_waitcnt lgkmcnt(1)
	v_fmac_f32_e32 v122, v136, v130
	v_add_u32_e32 v123, s8, v125
	v_fmac_f32_e32 v122, v132, v131
	s_addc_u32 s9, s9, 0
	s_add_i32 s12, s12, 32
	s_add_i32 s13, s8, -7
	v_cmp_eq_u32_e32 vcc, 22, v123
	s_waitcnt lgkmcnt(0)
	v_fmac_f32_e32 v122, v133, v126
	v_mov_b32_e32 v123, s13
	s_or_b64 s[10:11], vcc, s[10:11]
	v_fmac_f32_e32 v122, v128, v127
	s_andn2_b64 exec, exec, s[10:11]
	s_cbranch_execnz .LBB28_201
; %bb.202:
	s_or_b64 exec, exec, s[10:11]
.LBB28_203:
	s_or_b64 exec, exec, s[2:3]
	v_and_b32_e32 v60, 7, v124
	v_cmp_ne_u32_e32 vcc, 0, v60
	s_and_saveexec_b64 s[8:9], vcc
	s_cbranch_execz .LBB28_207
; %bb.204:
	v_mov_b32_e32 v61, 0x80
	v_lshl_add_u32 v61, v123, 2, v61
	v_mov_b32_e32 v62, 0
	s_mov_b64 s[10:11], 0
.LBB28_205:                             ; =>This Inner Loop Header: Depth=1
	v_cmp_eq_u32_e32 vcc, 1, v123
	v_cndmask_b32_e32 v124, v31, v32, vcc
	v_add_u32_e32 v60, -1, v60
	v_cmp_eq_u32_e32 vcc, 2, v123
	v_cndmask_b32_e32 v124, v124, v33, vcc
	v_cmp_eq_u32_e32 vcc, 0, v60
	v_cmp_eq_u32_e64 s[2:3], 3, v123
	v_cndmask_b32_e64 v124, v124, v34, s[2:3]
	s_or_b64 s[10:11], vcc, s[10:11]
	v_cmp_eq_u32_e32 vcc, 4, v123
	v_cndmask_b32_e32 v124, v124, v35, vcc
	v_cmp_eq_u32_e32 vcc, 5, v123
	v_cndmask_b32_e32 v124, v124, v36, vcc
	;; [unrolled: 2-line block ×20, first 2 shown]
	v_cmp_eq_u32_e32 vcc, 24, v123
	ds_read_b32 v125, v61
	v_cndmask_b32_e32 v124, v124, v55, vcc
	v_cmp_eq_u32_e32 vcc, 25, v123
	v_cndmask_b32_e32 v124, v124, v56, vcc
	v_cmp_eq_u32_e32 vcc, 26, v123
	;; [unrolled: 2-line block ×4, first 2 shown]
	v_add_co_u32_e64 v123, s[2:3], 1, v123
	v_cndmask_b32_e32 v124, v124, v59, vcc
	v_add_u32_e32 v61, 4, v61
	v_addc_co_u32_e64 v62, s[2:3], 0, v62, s[2:3]
	s_waitcnt lgkmcnt(0)
	v_fmac_f32_e32 v122, v124, v125
	s_andn2_b64 exec, exec, s[10:11]
	s_cbranch_execnz .LBB28_205
; %bb.206:
	s_or_b64 exec, exec, s[10:11]
.LBB28_207:
	s_or_b64 exec, exec, s[8:9]
.LBB28_208:
	s_or_b64 exec, exec, s[6:7]
	v_mov_b32_e32 v45, 0
	ds_read_b32 v45, v45 offset:56
	s_waitcnt lgkmcnt(0)
	v_mul_f32_e32 v45, v122, v45
.LBB28_209:
	s_or_b64 exec, exec, s[4:5]
	v_cmp_lt_u32_e64 s[2:3], 13, v0
	ds_write_b32 v121, v44
	s_waitcnt lgkmcnt(0)
	; wave barrier
	s_and_saveexec_b64 s[4:5], s[2:3]
	s_cbranch_execz .LBB28_225
; %bb.210:
	s_andn2_b64 vcc, exec, s[62:63]
	s_cbranch_vccnz .LBB28_212
; %bb.211:
	v_cmp_eq_u32_e32 vcc, 1, v0
	v_cndmask_b32_e32 v122, v31, v32, vcc
	v_cmp_eq_u32_e32 vcc, 2, v0
	v_cndmask_b32_e32 v122, v122, v33, vcc
	;; [unrolled: 2-line block ×24, first 2 shown]
	v_cmp_eq_u32_e32 vcc, 25, v0
	ds_read_b32 v123, v121
	v_cndmask_b32_e32 v122, v122, v56, vcc
	v_cmp_eq_u32_e32 vcc, 26, v0
	v_cndmask_b32_e32 v122, v122, v57, vcc
	v_cmp_eq_u32_e32 vcc, 27, v0
	;; [unrolled: 2-line block ×3, first 2 shown]
	v_cndmask_b32_e32 v122, v122, v59, vcc
	s_waitcnt lgkmcnt(0)
	v_mul_f32_e32 v122, v122, v123
	s_cbranch_execz .LBB28_213
	s_branch .LBB28_214
.LBB28_212:
                                        ; implicit-def: $vgpr122
.LBB28_213:
	ds_read_b32 v122, v121
.LBB28_214:
	s_and_saveexec_b64 s[6:7], s[0:1]
	s_cbranch_execz .LBB28_224
; %bb.215:
	v_add_u32_e32 v123, -15, v0
	v_add_u32_e32 v124, -14, v0
	v_cmp_lt_u32_e32 vcc, 6, v123
	v_mov_b32_e32 v123, 14
	s_and_saveexec_b64 s[0:1], vcc
	s_cbranch_execz .LBB28_219
; %bb.216:
	v_and_b32_e32 v123, -8, v124
	v_sub_u32_e32 v125, 0, v123
	s_mov_b64 s[8:9], 21
	s_movk_i32 s12, 0xb8
	s_mov_b64 s[10:11], 0
.LBB28_217:                             ; =>This Inner Loop Header: Depth=1
	s_add_i32 s13, s8, -7
	v_mov_b32_e32 v123, s12
	s_add_i32 s14, s8, -6
	s_set_gpr_idx_on s13, gpr_idx(SRC0)
	v_mov_b32_e32 v134, v31
	s_set_gpr_idx_off
	ds_read2_b64 v[126:129], v123 offset1:1
	s_add_i32 s15, s8, -5
	s_set_gpr_idx_on s14, gpr_idx(SRC0)
	v_mov_b32_e32 v135, v31
	s_set_gpr_idx_off
	s_add_i32 s16, s8, -4
	s_set_gpr_idx_on s15, gpr_idx(SRC0)
	v_mov_b32_e32 v136, v31
	s_set_gpr_idx_off
	;; [unrolled: 4-line block ×4, first 2 shown]
	ds_read2_b64 v[130:133], v123 offset0:2 offset1:3
	s_add_i32 s19, s8, -1
	s_waitcnt lgkmcnt(1)
	v_fmac_f32_e32 v122, v134, v126
	s_set_gpr_idx_on s18, gpr_idx(SRC0)
	v_mov_b32_e32 v126, v31
	s_set_gpr_idx_off
	v_fmac_f32_e32 v122, v135, v127
	s_set_gpr_idx_on s19, gpr_idx(SRC0)
	v_mov_b32_e32 v127, v31
	s_set_gpr_idx_off
	;; [unrolled: 4-line block ×3, first 2 shown]
	v_fmac_f32_e32 v122, v137, v129
	s_add_u32 s8, s8, 8
	s_waitcnt lgkmcnt(0)
	v_fmac_f32_e32 v122, v138, v130
	v_add_u32_e32 v123, s8, v125
	v_fmac_f32_e32 v122, v126, v131
	s_addc_u32 s9, s9, 0
	s_add_i32 s12, s12, 32
	s_add_i32 s13, s8, -7
	v_cmp_eq_u32_e32 vcc, 21, v123
	v_fmac_f32_e32 v122, v127, v132
	v_mov_b32_e32 v123, s13
	s_or_b64 s[10:11], vcc, s[10:11]
	v_fmac_f32_e32 v122, v128, v133
	s_andn2_b64 exec, exec, s[10:11]
	s_cbranch_execnz .LBB28_217
; %bb.218:
	s_or_b64 exec, exec, s[10:11]
.LBB28_219:
	s_or_b64 exec, exec, s[0:1]
	v_and_b32_e32 v60, 7, v124
	v_cmp_ne_u32_e32 vcc, 0, v60
	s_and_saveexec_b64 s[8:9], vcc
	s_cbranch_execz .LBB28_223
; %bb.220:
	v_mov_b32_e32 v61, 0x80
	v_lshl_add_u32 v61, v123, 2, v61
	v_mov_b32_e32 v62, 0
	s_mov_b64 s[10:11], 0
.LBB28_221:                             ; =>This Inner Loop Header: Depth=1
	v_cmp_eq_u32_e32 vcc, 1, v123
	v_cndmask_b32_e32 v124, v31, v32, vcc
	v_add_u32_e32 v60, -1, v60
	v_cmp_eq_u32_e32 vcc, 2, v123
	v_cndmask_b32_e32 v124, v124, v33, vcc
	v_cmp_eq_u32_e32 vcc, 0, v60
	v_cmp_eq_u32_e64 s[0:1], 3, v123
	v_cndmask_b32_e64 v124, v124, v34, s[0:1]
	s_or_b64 s[10:11], vcc, s[10:11]
	v_cmp_eq_u32_e32 vcc, 4, v123
	v_cndmask_b32_e32 v124, v124, v35, vcc
	v_cmp_eq_u32_e32 vcc, 5, v123
	v_cndmask_b32_e32 v124, v124, v36, vcc
	;; [unrolled: 2-line block ×20, first 2 shown]
	v_cmp_eq_u32_e32 vcc, 24, v123
	ds_read_b32 v125, v61
	v_cndmask_b32_e32 v124, v124, v55, vcc
	v_cmp_eq_u32_e32 vcc, 25, v123
	v_cndmask_b32_e32 v124, v124, v56, vcc
	v_cmp_eq_u32_e32 vcc, 26, v123
	;; [unrolled: 2-line block ×4, first 2 shown]
	v_add_co_u32_e64 v123, s[0:1], 1, v123
	v_cndmask_b32_e32 v124, v124, v59, vcc
	v_add_u32_e32 v61, 4, v61
	v_addc_co_u32_e64 v62, s[0:1], 0, v62, s[0:1]
	s_waitcnt lgkmcnt(0)
	v_fmac_f32_e32 v122, v124, v125
	s_andn2_b64 exec, exec, s[10:11]
	s_cbranch_execnz .LBB28_221
; %bb.222:
	s_or_b64 exec, exec, s[10:11]
.LBB28_223:
	s_or_b64 exec, exec, s[8:9]
.LBB28_224:
	s_or_b64 exec, exec, s[6:7]
	v_mov_b32_e32 v44, 0
	ds_read_b32 v44, v44 offset:52
	s_waitcnt lgkmcnt(0)
	v_mul_f32_e32 v44, v122, v44
.LBB28_225:
	s_or_b64 exec, exec, s[4:5]
	v_cmp_lt_u32_e64 s[0:1], 12, v0
	ds_write_b32 v121, v43
	s_waitcnt lgkmcnt(0)
	; wave barrier
	s_and_saveexec_b64 s[4:5], s[0:1]
	s_cbranch_execz .LBB28_241
; %bb.226:
	s_andn2_b64 vcc, exec, s[62:63]
	s_cbranch_vccnz .LBB28_228
; %bb.227:
	v_cmp_eq_u32_e32 vcc, 1, v0
	v_cndmask_b32_e32 v122, v31, v32, vcc
	v_cmp_eq_u32_e32 vcc, 2, v0
	v_cndmask_b32_e32 v122, v122, v33, vcc
	;; [unrolled: 2-line block ×24, first 2 shown]
	v_cmp_eq_u32_e32 vcc, 25, v0
	ds_read_b32 v123, v121
	v_cndmask_b32_e32 v122, v122, v56, vcc
	v_cmp_eq_u32_e32 vcc, 26, v0
	v_cndmask_b32_e32 v122, v122, v57, vcc
	v_cmp_eq_u32_e32 vcc, 27, v0
	;; [unrolled: 2-line block ×3, first 2 shown]
	v_cndmask_b32_e32 v122, v122, v59, vcc
	s_waitcnt lgkmcnt(0)
	v_mul_f32_e32 v122, v122, v123
	s_cbranch_execz .LBB28_229
	s_branch .LBB28_230
.LBB28_228:
                                        ; implicit-def: $vgpr122
.LBB28_229:
	ds_read_b32 v122, v121
.LBB28_230:
	s_and_saveexec_b64 s[6:7], s[2:3]
	s_cbranch_execz .LBB28_240
; %bb.231:
	v_add_u32_e32 v123, -14, v0
	v_add_u32_e32 v124, -13, v0
	v_cmp_lt_u32_e32 vcc, 6, v123
	v_mov_b32_e32 v123, 13
	s_and_saveexec_b64 s[2:3], vcc
	s_cbranch_execz .LBB28_235
; %bb.232:
	v_and_b32_e32 v123, -8, v124
	v_sub_u32_e32 v125, 0, v123
	s_mov_b64 s[8:9], 20
	s_movk_i32 s12, 0xb4
	s_mov_b64 s[10:11], 0
.LBB28_233:                             ; =>This Inner Loop Header: Depth=1
	s_add_i32 s13, s8, -7
	v_mov_b32_e32 v123, s12
	s_add_i32 s14, s8, -6
	s_set_gpr_idx_on s13, gpr_idx(SRC0)
	v_mov_b32_e32 v132, v31
	s_set_gpr_idx_off
	ds_read2_b32 v[126:127], v123 offset1:1
	s_add_i32 s15, s8, -5
	s_set_gpr_idx_on s14, gpr_idx(SRC0)
	v_mov_b32_e32 v133, v31
	s_set_gpr_idx_off
	s_add_i32 s16, s8, -4
	s_set_gpr_idx_on s15, gpr_idx(SRC0)
	v_mov_b32_e32 v134, v31
	s_set_gpr_idx_off
	ds_read2_b32 v[128:129], v123 offset0:2 offset1:3
	s_add_i32 s17, s8, -3
	s_set_gpr_idx_on s16, gpr_idx(SRC0)
	v_mov_b32_e32 v135, v31
	s_set_gpr_idx_off
	s_add_i32 s18, s8, -2
	s_set_gpr_idx_on s17, gpr_idx(SRC0)
	v_mov_b32_e32 v136, v31
	s_set_gpr_idx_off
	ds_read2_b32 v[130:131], v123 offset0:4 offset1:5
	s_add_i32 s19, s8, -1
	s_waitcnt lgkmcnt(2)
	v_fmac_f32_e32 v122, v132, v126
	s_set_gpr_idx_on s18, gpr_idx(SRC0)
	v_mov_b32_e32 v132, v31
	s_set_gpr_idx_off
	v_fmac_f32_e32 v122, v133, v127
	s_set_gpr_idx_on s19, gpr_idx(SRC0)
	v_mov_b32_e32 v133, v31
	s_set_gpr_idx_off
	ds_read2_b32 v[126:127], v123 offset0:6 offset1:7
	s_waitcnt lgkmcnt(2)
	v_fmac_f32_e32 v122, v134, v128
	s_set_gpr_idx_on s8, gpr_idx(SRC0)
	v_mov_b32_e32 v128, v31
	s_set_gpr_idx_off
	v_fmac_f32_e32 v122, v135, v129
	s_add_u32 s8, s8, 8
	s_waitcnt lgkmcnt(1)
	v_fmac_f32_e32 v122, v136, v130
	v_add_u32_e32 v123, s8, v125
	v_fmac_f32_e32 v122, v132, v131
	s_addc_u32 s9, s9, 0
	s_add_i32 s12, s12, 32
	s_add_i32 s13, s8, -7
	v_cmp_eq_u32_e32 vcc, 20, v123
	s_waitcnt lgkmcnt(0)
	v_fmac_f32_e32 v122, v133, v126
	v_mov_b32_e32 v123, s13
	s_or_b64 s[10:11], vcc, s[10:11]
	v_fmac_f32_e32 v122, v128, v127
	s_andn2_b64 exec, exec, s[10:11]
	s_cbranch_execnz .LBB28_233
; %bb.234:
	s_or_b64 exec, exec, s[10:11]
.LBB28_235:
	s_or_b64 exec, exec, s[2:3]
	v_and_b32_e32 v60, 7, v124
	v_cmp_ne_u32_e32 vcc, 0, v60
	s_and_saveexec_b64 s[8:9], vcc
	s_cbranch_execz .LBB28_239
; %bb.236:
	v_mov_b32_e32 v61, 0x80
	v_lshl_add_u32 v61, v123, 2, v61
	v_mov_b32_e32 v62, 0
	s_mov_b64 s[10:11], 0
.LBB28_237:                             ; =>This Inner Loop Header: Depth=1
	v_cmp_eq_u32_e32 vcc, 1, v123
	v_cndmask_b32_e32 v124, v31, v32, vcc
	v_add_u32_e32 v60, -1, v60
	v_cmp_eq_u32_e32 vcc, 2, v123
	v_cndmask_b32_e32 v124, v124, v33, vcc
	v_cmp_eq_u32_e32 vcc, 0, v60
	v_cmp_eq_u32_e64 s[2:3], 3, v123
	v_cndmask_b32_e64 v124, v124, v34, s[2:3]
	s_or_b64 s[10:11], vcc, s[10:11]
	v_cmp_eq_u32_e32 vcc, 4, v123
	v_cndmask_b32_e32 v124, v124, v35, vcc
	v_cmp_eq_u32_e32 vcc, 5, v123
	v_cndmask_b32_e32 v124, v124, v36, vcc
	;; [unrolled: 2-line block ×20, first 2 shown]
	v_cmp_eq_u32_e32 vcc, 24, v123
	ds_read_b32 v125, v61
	v_cndmask_b32_e32 v124, v124, v55, vcc
	v_cmp_eq_u32_e32 vcc, 25, v123
	v_cndmask_b32_e32 v124, v124, v56, vcc
	v_cmp_eq_u32_e32 vcc, 26, v123
	;; [unrolled: 2-line block ×4, first 2 shown]
	v_add_co_u32_e64 v123, s[2:3], 1, v123
	v_cndmask_b32_e32 v124, v124, v59, vcc
	v_add_u32_e32 v61, 4, v61
	v_addc_co_u32_e64 v62, s[2:3], 0, v62, s[2:3]
	s_waitcnt lgkmcnt(0)
	v_fmac_f32_e32 v122, v124, v125
	s_andn2_b64 exec, exec, s[10:11]
	s_cbranch_execnz .LBB28_237
; %bb.238:
	s_or_b64 exec, exec, s[10:11]
.LBB28_239:
	s_or_b64 exec, exec, s[8:9]
.LBB28_240:
	s_or_b64 exec, exec, s[6:7]
	v_mov_b32_e32 v43, 0
	ds_read_b32 v43, v43 offset:48
	s_waitcnt lgkmcnt(0)
	v_mul_f32_e32 v43, v122, v43
.LBB28_241:
	s_or_b64 exec, exec, s[4:5]
	v_cmp_lt_u32_e64 s[2:3], 11, v0
	ds_write_b32 v121, v42
	s_waitcnt lgkmcnt(0)
	; wave barrier
	s_and_saveexec_b64 s[4:5], s[2:3]
	s_cbranch_execz .LBB28_257
; %bb.242:
	s_andn2_b64 vcc, exec, s[62:63]
	s_cbranch_vccnz .LBB28_244
; %bb.243:
	v_cmp_eq_u32_e32 vcc, 1, v0
	v_cndmask_b32_e32 v122, v31, v32, vcc
	v_cmp_eq_u32_e32 vcc, 2, v0
	v_cndmask_b32_e32 v122, v122, v33, vcc
	;; [unrolled: 2-line block ×24, first 2 shown]
	v_cmp_eq_u32_e32 vcc, 25, v0
	ds_read_b32 v123, v121
	v_cndmask_b32_e32 v122, v122, v56, vcc
	v_cmp_eq_u32_e32 vcc, 26, v0
	v_cndmask_b32_e32 v122, v122, v57, vcc
	v_cmp_eq_u32_e32 vcc, 27, v0
	;; [unrolled: 2-line block ×3, first 2 shown]
	v_cndmask_b32_e32 v122, v122, v59, vcc
	s_waitcnt lgkmcnt(0)
	v_mul_f32_e32 v122, v122, v123
	s_cbranch_execz .LBB28_245
	s_branch .LBB28_246
.LBB28_244:
                                        ; implicit-def: $vgpr122
.LBB28_245:
	ds_read_b32 v122, v121
.LBB28_246:
	s_and_saveexec_b64 s[6:7], s[0:1]
	s_cbranch_execz .LBB28_256
; %bb.247:
	v_add_u32_e32 v123, -13, v0
	v_add_u32_e32 v124, -12, v0
	v_cmp_lt_u32_e32 vcc, 6, v123
	v_mov_b32_e32 v123, 12
	s_and_saveexec_b64 s[0:1], vcc
	s_cbranch_execz .LBB28_251
; %bb.248:
	v_and_b32_e32 v123, -8, v124
	v_sub_u32_e32 v125, 0, v123
	s_mov_b64 s[8:9], 19
	s_movk_i32 s12, 0xb0
	s_mov_b64 s[10:11], 0
.LBB28_249:                             ; =>This Inner Loop Header: Depth=1
	s_add_i32 s13, s8, -7
	v_mov_b32_e32 v123, s12
	s_add_i32 s14, s8, -6
	s_set_gpr_idx_on s13, gpr_idx(SRC0)
	v_mov_b32_e32 v134, v31
	s_set_gpr_idx_off
	s_add_i32 s15, s8, -5
	ds_read_b128 v[126:129], v123
	ds_read_b128 v[130:133], v123 offset:16
	s_set_gpr_idx_on s14, gpr_idx(SRC0)
	v_mov_b32_e32 v123, v31
	s_set_gpr_idx_off
	s_add_i32 s16, s8, -4
	s_set_gpr_idx_on s15, gpr_idx(SRC0)
	v_mov_b32_e32 v135, v31
	s_set_gpr_idx_off
	s_add_i32 s17, s8, -3
	;; [unrolled: 4-line block ×4, first 2 shown]
	s_waitcnt lgkmcnt(1)
	v_fmac_f32_e32 v122, v134, v126
	s_set_gpr_idx_on s18, gpr_idx(SRC0)
	v_mov_b32_e32 v126, v31
	s_set_gpr_idx_off
	v_fmac_f32_e32 v122, v123, v127
	s_set_gpr_idx_on s19, gpr_idx(SRC0)
	v_mov_b32_e32 v127, v31
	s_set_gpr_idx_off
	;; [unrolled: 4-line block ×3, first 2 shown]
	v_fmac_f32_e32 v122, v136, v129
	s_add_u32 s8, s8, 8
	s_waitcnt lgkmcnt(0)
	v_fmac_f32_e32 v122, v137, v130
	v_add_u32_e32 v123, s8, v125
	v_fmac_f32_e32 v122, v126, v131
	s_addc_u32 s9, s9, 0
	s_add_i32 s12, s12, 32
	s_add_i32 s13, s8, -7
	v_cmp_eq_u32_e32 vcc, 19, v123
	v_fmac_f32_e32 v122, v127, v132
	v_mov_b32_e32 v123, s13
	s_or_b64 s[10:11], vcc, s[10:11]
	v_fmac_f32_e32 v122, v128, v133
	s_andn2_b64 exec, exec, s[10:11]
	s_cbranch_execnz .LBB28_249
; %bb.250:
	s_or_b64 exec, exec, s[10:11]
.LBB28_251:
	s_or_b64 exec, exec, s[0:1]
	v_and_b32_e32 v60, 7, v124
	v_cmp_ne_u32_e32 vcc, 0, v60
	s_and_saveexec_b64 s[8:9], vcc
	s_cbranch_execz .LBB28_255
; %bb.252:
	v_mov_b32_e32 v61, 0x80
	v_lshl_add_u32 v61, v123, 2, v61
	v_mov_b32_e32 v62, 0
	s_mov_b64 s[10:11], 0
.LBB28_253:                             ; =>This Inner Loop Header: Depth=1
	v_cmp_eq_u32_e32 vcc, 1, v123
	v_cndmask_b32_e32 v124, v31, v32, vcc
	v_add_u32_e32 v60, -1, v60
	v_cmp_eq_u32_e32 vcc, 2, v123
	v_cndmask_b32_e32 v124, v124, v33, vcc
	v_cmp_eq_u32_e32 vcc, 0, v60
	v_cmp_eq_u32_e64 s[0:1], 3, v123
	v_cndmask_b32_e64 v124, v124, v34, s[0:1]
	s_or_b64 s[10:11], vcc, s[10:11]
	v_cmp_eq_u32_e32 vcc, 4, v123
	v_cndmask_b32_e32 v124, v124, v35, vcc
	v_cmp_eq_u32_e32 vcc, 5, v123
	v_cndmask_b32_e32 v124, v124, v36, vcc
	;; [unrolled: 2-line block ×20, first 2 shown]
	v_cmp_eq_u32_e32 vcc, 24, v123
	ds_read_b32 v125, v61
	v_cndmask_b32_e32 v124, v124, v55, vcc
	v_cmp_eq_u32_e32 vcc, 25, v123
	v_cndmask_b32_e32 v124, v124, v56, vcc
	v_cmp_eq_u32_e32 vcc, 26, v123
	;; [unrolled: 2-line block ×4, first 2 shown]
	v_add_co_u32_e64 v123, s[0:1], 1, v123
	v_cndmask_b32_e32 v124, v124, v59, vcc
	v_add_u32_e32 v61, 4, v61
	v_addc_co_u32_e64 v62, s[0:1], 0, v62, s[0:1]
	s_waitcnt lgkmcnt(0)
	v_fmac_f32_e32 v122, v124, v125
	s_andn2_b64 exec, exec, s[10:11]
	s_cbranch_execnz .LBB28_253
; %bb.254:
	s_or_b64 exec, exec, s[10:11]
.LBB28_255:
	s_or_b64 exec, exec, s[8:9]
.LBB28_256:
	s_or_b64 exec, exec, s[6:7]
	v_mov_b32_e32 v42, 0
	ds_read_b32 v42, v42 offset:44
	s_waitcnt lgkmcnt(0)
	v_mul_f32_e32 v42, v122, v42
.LBB28_257:
	s_or_b64 exec, exec, s[4:5]
	v_cmp_lt_u32_e64 s[0:1], 10, v0
	ds_write_b32 v121, v41
	s_waitcnt lgkmcnt(0)
	; wave barrier
	s_and_saveexec_b64 s[4:5], s[0:1]
	s_cbranch_execz .LBB28_273
; %bb.258:
	s_andn2_b64 vcc, exec, s[62:63]
	s_cbranch_vccnz .LBB28_260
; %bb.259:
	v_cmp_eq_u32_e32 vcc, 1, v0
	v_cndmask_b32_e32 v122, v31, v32, vcc
	v_cmp_eq_u32_e32 vcc, 2, v0
	v_cndmask_b32_e32 v122, v122, v33, vcc
	;; [unrolled: 2-line block ×24, first 2 shown]
	v_cmp_eq_u32_e32 vcc, 25, v0
	ds_read_b32 v123, v121
	v_cndmask_b32_e32 v122, v122, v56, vcc
	v_cmp_eq_u32_e32 vcc, 26, v0
	v_cndmask_b32_e32 v122, v122, v57, vcc
	v_cmp_eq_u32_e32 vcc, 27, v0
	;; [unrolled: 2-line block ×3, first 2 shown]
	v_cndmask_b32_e32 v122, v122, v59, vcc
	s_waitcnt lgkmcnt(0)
	v_mul_f32_e32 v122, v122, v123
	s_cbranch_execz .LBB28_261
	s_branch .LBB28_262
.LBB28_260:
                                        ; implicit-def: $vgpr122
.LBB28_261:
	ds_read_b32 v122, v121
.LBB28_262:
	s_and_saveexec_b64 s[6:7], s[2:3]
	s_cbranch_execz .LBB28_272
; %bb.263:
	v_add_u32_e32 v123, -12, v0
	v_add_u32_e32 v124, -11, v0
	v_cmp_lt_u32_e32 vcc, 6, v123
	v_mov_b32_e32 v123, 11
	s_and_saveexec_b64 s[2:3], vcc
	s_cbranch_execz .LBB28_267
; %bb.264:
	v_and_b32_e32 v123, -8, v124
	v_sub_u32_e32 v125, 0, v123
	s_mov_b64 s[8:9], 18
	s_movk_i32 s12, 0xac
	s_mov_b64 s[10:11], 0
.LBB28_265:                             ; =>This Inner Loop Header: Depth=1
	s_add_i32 s13, s8, -7
	v_mov_b32_e32 v123, s12
	s_add_i32 s14, s8, -6
	s_set_gpr_idx_on s13, gpr_idx(SRC0)
	v_mov_b32_e32 v132, v31
	s_set_gpr_idx_off
	ds_read2_b32 v[126:127], v123 offset1:1
	s_add_i32 s15, s8, -5
	s_set_gpr_idx_on s14, gpr_idx(SRC0)
	v_mov_b32_e32 v133, v31
	s_set_gpr_idx_off
	s_add_i32 s16, s8, -4
	s_set_gpr_idx_on s15, gpr_idx(SRC0)
	v_mov_b32_e32 v134, v31
	s_set_gpr_idx_off
	ds_read2_b32 v[128:129], v123 offset0:2 offset1:3
	s_add_i32 s17, s8, -3
	s_set_gpr_idx_on s16, gpr_idx(SRC0)
	v_mov_b32_e32 v135, v31
	s_set_gpr_idx_off
	s_add_i32 s18, s8, -2
	s_set_gpr_idx_on s17, gpr_idx(SRC0)
	v_mov_b32_e32 v136, v31
	s_set_gpr_idx_off
	ds_read2_b32 v[130:131], v123 offset0:4 offset1:5
	s_add_i32 s19, s8, -1
	s_waitcnt lgkmcnt(2)
	v_fmac_f32_e32 v122, v132, v126
	s_set_gpr_idx_on s18, gpr_idx(SRC0)
	v_mov_b32_e32 v132, v31
	s_set_gpr_idx_off
	v_fmac_f32_e32 v122, v133, v127
	s_set_gpr_idx_on s19, gpr_idx(SRC0)
	v_mov_b32_e32 v133, v31
	s_set_gpr_idx_off
	ds_read2_b32 v[126:127], v123 offset0:6 offset1:7
	s_waitcnt lgkmcnt(2)
	v_fmac_f32_e32 v122, v134, v128
	s_set_gpr_idx_on s8, gpr_idx(SRC0)
	v_mov_b32_e32 v128, v31
	s_set_gpr_idx_off
	v_fmac_f32_e32 v122, v135, v129
	s_add_u32 s8, s8, 8
	s_waitcnt lgkmcnt(1)
	v_fmac_f32_e32 v122, v136, v130
	v_add_u32_e32 v123, s8, v125
	v_fmac_f32_e32 v122, v132, v131
	s_addc_u32 s9, s9, 0
	s_add_i32 s12, s12, 32
	s_add_i32 s13, s8, -7
	v_cmp_eq_u32_e32 vcc, 18, v123
	s_waitcnt lgkmcnt(0)
	v_fmac_f32_e32 v122, v133, v126
	v_mov_b32_e32 v123, s13
	s_or_b64 s[10:11], vcc, s[10:11]
	v_fmac_f32_e32 v122, v128, v127
	s_andn2_b64 exec, exec, s[10:11]
	s_cbranch_execnz .LBB28_265
; %bb.266:
	s_or_b64 exec, exec, s[10:11]
.LBB28_267:
	s_or_b64 exec, exec, s[2:3]
	v_and_b32_e32 v60, 7, v124
	v_cmp_ne_u32_e32 vcc, 0, v60
	s_and_saveexec_b64 s[8:9], vcc
	s_cbranch_execz .LBB28_271
; %bb.268:
	v_mov_b32_e32 v61, 0x80
	v_lshl_add_u32 v61, v123, 2, v61
	v_mov_b32_e32 v62, 0
	s_mov_b64 s[10:11], 0
.LBB28_269:                             ; =>This Inner Loop Header: Depth=1
	v_cmp_eq_u32_e32 vcc, 1, v123
	v_cndmask_b32_e32 v124, v31, v32, vcc
	v_add_u32_e32 v60, -1, v60
	v_cmp_eq_u32_e32 vcc, 2, v123
	v_cndmask_b32_e32 v124, v124, v33, vcc
	v_cmp_eq_u32_e32 vcc, 0, v60
	v_cmp_eq_u32_e64 s[2:3], 3, v123
	v_cndmask_b32_e64 v124, v124, v34, s[2:3]
	s_or_b64 s[10:11], vcc, s[10:11]
	v_cmp_eq_u32_e32 vcc, 4, v123
	v_cndmask_b32_e32 v124, v124, v35, vcc
	v_cmp_eq_u32_e32 vcc, 5, v123
	v_cndmask_b32_e32 v124, v124, v36, vcc
	;; [unrolled: 2-line block ×20, first 2 shown]
	v_cmp_eq_u32_e32 vcc, 24, v123
	ds_read_b32 v125, v61
	v_cndmask_b32_e32 v124, v124, v55, vcc
	v_cmp_eq_u32_e32 vcc, 25, v123
	v_cndmask_b32_e32 v124, v124, v56, vcc
	v_cmp_eq_u32_e32 vcc, 26, v123
	v_cndmask_b32_e32 v124, v124, v57, vcc
	v_cmp_eq_u32_e32 vcc, 27, v123
	v_cndmask_b32_e32 v124, v124, v58, vcc
	v_cmp_eq_u32_e32 vcc, 28, v123
	v_add_co_u32_e64 v123, s[2:3], 1, v123
	v_cndmask_b32_e32 v124, v124, v59, vcc
	v_add_u32_e32 v61, 4, v61
	v_addc_co_u32_e64 v62, s[2:3], 0, v62, s[2:3]
	s_waitcnt lgkmcnt(0)
	v_fmac_f32_e32 v122, v124, v125
	s_andn2_b64 exec, exec, s[10:11]
	s_cbranch_execnz .LBB28_269
; %bb.270:
	s_or_b64 exec, exec, s[10:11]
.LBB28_271:
	s_or_b64 exec, exec, s[8:9]
.LBB28_272:
	s_or_b64 exec, exec, s[6:7]
	v_mov_b32_e32 v41, 0
	ds_read_b32 v41, v41 offset:40
	s_waitcnt lgkmcnt(0)
	v_mul_f32_e32 v41, v122, v41
.LBB28_273:
	s_or_b64 exec, exec, s[4:5]
	v_cmp_lt_u32_e64 s[2:3], 9, v0
	ds_write_b32 v121, v40
	s_waitcnt lgkmcnt(0)
	; wave barrier
	s_and_saveexec_b64 s[4:5], s[2:3]
	s_cbranch_execz .LBB28_289
; %bb.274:
	s_andn2_b64 vcc, exec, s[62:63]
	s_cbranch_vccnz .LBB28_276
; %bb.275:
	v_cmp_eq_u32_e32 vcc, 1, v0
	v_cndmask_b32_e32 v122, v31, v32, vcc
	v_cmp_eq_u32_e32 vcc, 2, v0
	v_cndmask_b32_e32 v122, v122, v33, vcc
	;; [unrolled: 2-line block ×24, first 2 shown]
	v_cmp_eq_u32_e32 vcc, 25, v0
	ds_read_b32 v123, v121
	v_cndmask_b32_e32 v122, v122, v56, vcc
	v_cmp_eq_u32_e32 vcc, 26, v0
	v_cndmask_b32_e32 v122, v122, v57, vcc
	v_cmp_eq_u32_e32 vcc, 27, v0
	v_cndmask_b32_e32 v122, v122, v58, vcc
	v_cmp_eq_u32_e32 vcc, 28, v0
	v_cndmask_b32_e32 v122, v122, v59, vcc
	s_waitcnt lgkmcnt(0)
	v_mul_f32_e32 v122, v122, v123
	s_cbranch_execz .LBB28_277
	s_branch .LBB28_278
.LBB28_276:
                                        ; implicit-def: $vgpr122
.LBB28_277:
	ds_read_b32 v122, v121
.LBB28_278:
	s_and_saveexec_b64 s[6:7], s[0:1]
	s_cbranch_execz .LBB28_288
; %bb.279:
	v_add_u32_e32 v123, -11, v0
	v_add_u32_e32 v124, -10, v0
	v_cmp_lt_u32_e32 vcc, 6, v123
	v_mov_b32_e32 v123, 10
	s_and_saveexec_b64 s[0:1], vcc
	s_cbranch_execz .LBB28_283
; %bb.280:
	v_and_b32_e32 v123, -8, v124
	v_sub_u32_e32 v125, 0, v123
	s_mov_b64 s[8:9], 17
	s_movk_i32 s12, 0xa8
	s_mov_b64 s[10:11], 0
.LBB28_281:                             ; =>This Inner Loop Header: Depth=1
	s_add_i32 s13, s8, -7
	v_mov_b32_e32 v123, s12
	s_add_i32 s14, s8, -6
	s_set_gpr_idx_on s13, gpr_idx(SRC0)
	v_mov_b32_e32 v134, v31
	s_set_gpr_idx_off
	ds_read2_b64 v[126:129], v123 offset1:1
	s_add_i32 s15, s8, -5
	s_set_gpr_idx_on s14, gpr_idx(SRC0)
	v_mov_b32_e32 v135, v31
	s_set_gpr_idx_off
	s_add_i32 s16, s8, -4
	s_set_gpr_idx_on s15, gpr_idx(SRC0)
	v_mov_b32_e32 v136, v31
	s_set_gpr_idx_off
	s_add_i32 s17, s8, -3
	s_set_gpr_idx_on s16, gpr_idx(SRC0)
	v_mov_b32_e32 v137, v31
	s_set_gpr_idx_off
	s_add_i32 s18, s8, -2
	s_set_gpr_idx_on s17, gpr_idx(SRC0)
	v_mov_b32_e32 v138, v31
	s_set_gpr_idx_off
	ds_read2_b64 v[130:133], v123 offset0:2 offset1:3
	s_add_i32 s19, s8, -1
	s_waitcnt lgkmcnt(1)
	v_fmac_f32_e32 v122, v134, v126
	s_set_gpr_idx_on s18, gpr_idx(SRC0)
	v_mov_b32_e32 v126, v31
	s_set_gpr_idx_off
	v_fmac_f32_e32 v122, v135, v127
	s_set_gpr_idx_on s19, gpr_idx(SRC0)
	v_mov_b32_e32 v127, v31
	s_set_gpr_idx_off
	;; [unrolled: 4-line block ×3, first 2 shown]
	v_fmac_f32_e32 v122, v137, v129
	s_add_u32 s8, s8, 8
	s_waitcnt lgkmcnt(0)
	v_fmac_f32_e32 v122, v138, v130
	v_add_u32_e32 v123, s8, v125
	v_fmac_f32_e32 v122, v126, v131
	s_addc_u32 s9, s9, 0
	s_add_i32 s12, s12, 32
	s_add_i32 s13, s8, -7
	v_cmp_eq_u32_e32 vcc, 17, v123
	v_fmac_f32_e32 v122, v127, v132
	v_mov_b32_e32 v123, s13
	s_or_b64 s[10:11], vcc, s[10:11]
	v_fmac_f32_e32 v122, v128, v133
	s_andn2_b64 exec, exec, s[10:11]
	s_cbranch_execnz .LBB28_281
; %bb.282:
	s_or_b64 exec, exec, s[10:11]
.LBB28_283:
	s_or_b64 exec, exec, s[0:1]
	v_and_b32_e32 v60, 7, v124
	v_cmp_ne_u32_e32 vcc, 0, v60
	s_and_saveexec_b64 s[8:9], vcc
	s_cbranch_execz .LBB28_287
; %bb.284:
	v_mov_b32_e32 v61, 0x80
	v_lshl_add_u32 v61, v123, 2, v61
	v_mov_b32_e32 v62, 0
	s_mov_b64 s[10:11], 0
.LBB28_285:                             ; =>This Inner Loop Header: Depth=1
	v_cmp_eq_u32_e32 vcc, 1, v123
	v_cndmask_b32_e32 v124, v31, v32, vcc
	v_add_u32_e32 v60, -1, v60
	v_cmp_eq_u32_e32 vcc, 2, v123
	v_cndmask_b32_e32 v124, v124, v33, vcc
	v_cmp_eq_u32_e32 vcc, 0, v60
	v_cmp_eq_u32_e64 s[0:1], 3, v123
	v_cndmask_b32_e64 v124, v124, v34, s[0:1]
	s_or_b64 s[10:11], vcc, s[10:11]
	v_cmp_eq_u32_e32 vcc, 4, v123
	v_cndmask_b32_e32 v124, v124, v35, vcc
	v_cmp_eq_u32_e32 vcc, 5, v123
	v_cndmask_b32_e32 v124, v124, v36, vcc
	;; [unrolled: 2-line block ×20, first 2 shown]
	v_cmp_eq_u32_e32 vcc, 24, v123
	ds_read_b32 v125, v61
	v_cndmask_b32_e32 v124, v124, v55, vcc
	v_cmp_eq_u32_e32 vcc, 25, v123
	v_cndmask_b32_e32 v124, v124, v56, vcc
	v_cmp_eq_u32_e32 vcc, 26, v123
	;; [unrolled: 2-line block ×4, first 2 shown]
	v_add_co_u32_e64 v123, s[0:1], 1, v123
	v_cndmask_b32_e32 v124, v124, v59, vcc
	v_add_u32_e32 v61, 4, v61
	v_addc_co_u32_e64 v62, s[0:1], 0, v62, s[0:1]
	s_waitcnt lgkmcnt(0)
	v_fmac_f32_e32 v122, v124, v125
	s_andn2_b64 exec, exec, s[10:11]
	s_cbranch_execnz .LBB28_285
; %bb.286:
	s_or_b64 exec, exec, s[10:11]
.LBB28_287:
	s_or_b64 exec, exec, s[8:9]
.LBB28_288:
	s_or_b64 exec, exec, s[6:7]
	v_mov_b32_e32 v40, 0
	ds_read_b32 v40, v40 offset:36
	s_waitcnt lgkmcnt(0)
	v_mul_f32_e32 v40, v122, v40
.LBB28_289:
	s_or_b64 exec, exec, s[4:5]
	v_cmp_lt_u32_e64 s[0:1], 8, v0
	ds_write_b32 v121, v39
	s_waitcnt lgkmcnt(0)
	; wave barrier
	s_and_saveexec_b64 s[4:5], s[0:1]
	s_cbranch_execz .LBB28_305
; %bb.290:
	s_andn2_b64 vcc, exec, s[62:63]
	s_cbranch_vccnz .LBB28_292
; %bb.291:
	v_cmp_eq_u32_e32 vcc, 1, v0
	v_cndmask_b32_e32 v122, v31, v32, vcc
	v_cmp_eq_u32_e32 vcc, 2, v0
	v_cndmask_b32_e32 v122, v122, v33, vcc
	;; [unrolled: 2-line block ×24, first 2 shown]
	v_cmp_eq_u32_e32 vcc, 25, v0
	ds_read_b32 v123, v121
	v_cndmask_b32_e32 v122, v122, v56, vcc
	v_cmp_eq_u32_e32 vcc, 26, v0
	v_cndmask_b32_e32 v122, v122, v57, vcc
	v_cmp_eq_u32_e32 vcc, 27, v0
	;; [unrolled: 2-line block ×3, first 2 shown]
	v_cndmask_b32_e32 v122, v122, v59, vcc
	s_waitcnt lgkmcnt(0)
	v_mul_f32_e32 v122, v122, v123
	s_cbranch_execz .LBB28_293
	s_branch .LBB28_294
.LBB28_292:
                                        ; implicit-def: $vgpr122
.LBB28_293:
	ds_read_b32 v122, v121
.LBB28_294:
	s_and_saveexec_b64 s[6:7], s[2:3]
	s_cbranch_execz .LBB28_304
; %bb.295:
	v_add_u32_e32 v123, -10, v0
	v_add_u32_e32 v124, -9, v0
	v_cmp_lt_u32_e32 vcc, 6, v123
	v_mov_b32_e32 v123, 9
	s_and_saveexec_b64 s[2:3], vcc
	s_cbranch_execz .LBB28_299
; %bb.296:
	v_and_b32_e32 v123, -8, v124
	v_sub_u32_e32 v125, 0, v123
	s_mov_b64 s[8:9], 16
	s_movk_i32 s12, 0xa4
	s_mov_b64 s[10:11], 0
.LBB28_297:                             ; =>This Inner Loop Header: Depth=1
	s_add_i32 s13, s8, -7
	v_mov_b32_e32 v123, s12
	s_add_i32 s14, s8, -6
	s_set_gpr_idx_on s13, gpr_idx(SRC0)
	v_mov_b32_e32 v132, v31
	s_set_gpr_idx_off
	ds_read2_b32 v[126:127], v123 offset1:1
	s_add_i32 s15, s8, -5
	s_set_gpr_idx_on s14, gpr_idx(SRC0)
	v_mov_b32_e32 v133, v31
	s_set_gpr_idx_off
	s_add_i32 s16, s8, -4
	s_set_gpr_idx_on s15, gpr_idx(SRC0)
	v_mov_b32_e32 v134, v31
	s_set_gpr_idx_off
	ds_read2_b32 v[128:129], v123 offset0:2 offset1:3
	s_add_i32 s17, s8, -3
	s_set_gpr_idx_on s16, gpr_idx(SRC0)
	v_mov_b32_e32 v135, v31
	s_set_gpr_idx_off
	s_add_i32 s18, s8, -2
	s_set_gpr_idx_on s17, gpr_idx(SRC0)
	v_mov_b32_e32 v136, v31
	s_set_gpr_idx_off
	ds_read2_b32 v[130:131], v123 offset0:4 offset1:5
	s_add_i32 s19, s8, -1
	s_waitcnt lgkmcnt(2)
	v_fmac_f32_e32 v122, v132, v126
	s_set_gpr_idx_on s18, gpr_idx(SRC0)
	v_mov_b32_e32 v132, v31
	s_set_gpr_idx_off
	v_fmac_f32_e32 v122, v133, v127
	s_set_gpr_idx_on s19, gpr_idx(SRC0)
	v_mov_b32_e32 v133, v31
	s_set_gpr_idx_off
	ds_read2_b32 v[126:127], v123 offset0:6 offset1:7
	s_waitcnt lgkmcnt(2)
	v_fmac_f32_e32 v122, v134, v128
	s_set_gpr_idx_on s8, gpr_idx(SRC0)
	v_mov_b32_e32 v128, v31
	s_set_gpr_idx_off
	v_fmac_f32_e32 v122, v135, v129
	s_add_u32 s8, s8, 8
	s_waitcnt lgkmcnt(1)
	v_fmac_f32_e32 v122, v136, v130
	v_add_u32_e32 v123, s8, v125
	v_fmac_f32_e32 v122, v132, v131
	s_addc_u32 s9, s9, 0
	s_add_i32 s12, s12, 32
	s_add_i32 s13, s8, -7
	v_cmp_eq_u32_e32 vcc, 16, v123
	s_waitcnt lgkmcnt(0)
	v_fmac_f32_e32 v122, v133, v126
	v_mov_b32_e32 v123, s13
	s_or_b64 s[10:11], vcc, s[10:11]
	v_fmac_f32_e32 v122, v128, v127
	s_andn2_b64 exec, exec, s[10:11]
	s_cbranch_execnz .LBB28_297
; %bb.298:
	s_or_b64 exec, exec, s[10:11]
.LBB28_299:
	s_or_b64 exec, exec, s[2:3]
	v_and_b32_e32 v60, 7, v124
	v_cmp_ne_u32_e32 vcc, 0, v60
	s_and_saveexec_b64 s[8:9], vcc
	s_cbranch_execz .LBB28_303
; %bb.300:
	v_mov_b32_e32 v61, 0x80
	v_lshl_add_u32 v61, v123, 2, v61
	v_mov_b32_e32 v62, 0
	s_mov_b64 s[10:11], 0
.LBB28_301:                             ; =>This Inner Loop Header: Depth=1
	v_cmp_eq_u32_e32 vcc, 1, v123
	v_cndmask_b32_e32 v124, v31, v32, vcc
	v_add_u32_e32 v60, -1, v60
	v_cmp_eq_u32_e32 vcc, 2, v123
	v_cndmask_b32_e32 v124, v124, v33, vcc
	v_cmp_eq_u32_e32 vcc, 0, v60
	v_cmp_eq_u32_e64 s[2:3], 3, v123
	v_cndmask_b32_e64 v124, v124, v34, s[2:3]
	s_or_b64 s[10:11], vcc, s[10:11]
	v_cmp_eq_u32_e32 vcc, 4, v123
	v_cndmask_b32_e32 v124, v124, v35, vcc
	v_cmp_eq_u32_e32 vcc, 5, v123
	v_cndmask_b32_e32 v124, v124, v36, vcc
	;; [unrolled: 2-line block ×20, first 2 shown]
	v_cmp_eq_u32_e32 vcc, 24, v123
	ds_read_b32 v125, v61
	v_cndmask_b32_e32 v124, v124, v55, vcc
	v_cmp_eq_u32_e32 vcc, 25, v123
	v_cndmask_b32_e32 v124, v124, v56, vcc
	v_cmp_eq_u32_e32 vcc, 26, v123
	;; [unrolled: 2-line block ×4, first 2 shown]
	v_add_co_u32_e64 v123, s[2:3], 1, v123
	v_cndmask_b32_e32 v124, v124, v59, vcc
	v_add_u32_e32 v61, 4, v61
	v_addc_co_u32_e64 v62, s[2:3], 0, v62, s[2:3]
	s_waitcnt lgkmcnt(0)
	v_fmac_f32_e32 v122, v124, v125
	s_andn2_b64 exec, exec, s[10:11]
	s_cbranch_execnz .LBB28_301
; %bb.302:
	s_or_b64 exec, exec, s[10:11]
.LBB28_303:
	s_or_b64 exec, exec, s[8:9]
.LBB28_304:
	s_or_b64 exec, exec, s[6:7]
	v_mov_b32_e32 v39, 0
	ds_read_b32 v39, v39 offset:32
	s_waitcnt lgkmcnt(0)
	v_mul_f32_e32 v39, v122, v39
.LBB28_305:
	s_or_b64 exec, exec, s[4:5]
	v_cmp_lt_u32_e64 s[2:3], 7, v0
	ds_write_b32 v121, v38
	s_waitcnt lgkmcnt(0)
	; wave barrier
	s_and_saveexec_b64 s[4:5], s[2:3]
	s_cbranch_execz .LBB28_321
; %bb.306:
	s_andn2_b64 vcc, exec, s[62:63]
	s_cbranch_vccnz .LBB28_308
; %bb.307:
	v_cmp_eq_u32_e32 vcc, 1, v0
	v_cndmask_b32_e32 v122, v31, v32, vcc
	v_cmp_eq_u32_e32 vcc, 2, v0
	v_cndmask_b32_e32 v122, v122, v33, vcc
	v_cmp_eq_u32_e32 vcc, 3, v0
	v_cndmask_b32_e32 v122, v122, v34, vcc
	v_cmp_eq_u32_e32 vcc, 4, v0
	v_cndmask_b32_e32 v122, v122, v35, vcc
	v_cmp_eq_u32_e32 vcc, 5, v0
	v_cndmask_b32_e32 v122, v122, v36, vcc
	v_cmp_eq_u32_e32 vcc, 6, v0
	v_cndmask_b32_e32 v122, v122, v37, vcc
	v_cmp_eq_u32_e32 vcc, 7, v0
	v_cndmask_b32_e32 v122, v122, v38, vcc
	v_cmp_eq_u32_e32 vcc, 8, v0
	v_cndmask_b32_e32 v122, v122, v39, vcc
	v_cmp_eq_u32_e32 vcc, 9, v0
	v_cndmask_b32_e32 v122, v122, v40, vcc
	v_cmp_eq_u32_e32 vcc, 10, v0
	v_cndmask_b32_e32 v122, v122, v41, vcc
	v_cmp_eq_u32_e32 vcc, 11, v0
	v_cndmask_b32_e32 v122, v122, v42, vcc
	v_cmp_eq_u32_e32 vcc, 12, v0
	v_cndmask_b32_e32 v122, v122, v43, vcc
	v_cmp_eq_u32_e32 vcc, 13, v0
	v_cndmask_b32_e32 v122, v122, v44, vcc
	v_cmp_eq_u32_e32 vcc, 14, v0
	v_cndmask_b32_e32 v122, v122, v45, vcc
	v_cmp_eq_u32_e32 vcc, 15, v0
	v_cndmask_b32_e32 v122, v122, v46, vcc
	v_cmp_eq_u32_e32 vcc, 16, v0
	v_cndmask_b32_e32 v122, v122, v47, vcc
	v_cmp_eq_u32_e32 vcc, 17, v0
	v_cndmask_b32_e32 v122, v122, v48, vcc
	v_cmp_eq_u32_e32 vcc, 18, v0
	v_cndmask_b32_e32 v122, v122, v49, vcc
	v_cmp_eq_u32_e32 vcc, 19, v0
	v_cndmask_b32_e32 v122, v122, v50, vcc
	v_cmp_eq_u32_e32 vcc, 20, v0
	v_cndmask_b32_e32 v122, v122, v51, vcc
	v_cmp_eq_u32_e32 vcc, 21, v0
	v_cndmask_b32_e32 v122, v122, v52, vcc
	v_cmp_eq_u32_e32 vcc, 22, v0
	v_cndmask_b32_e32 v122, v122, v53, vcc
	v_cmp_eq_u32_e32 vcc, 23, v0
	v_cndmask_b32_e32 v122, v122, v54, vcc
	v_cmp_eq_u32_e32 vcc, 24, v0
	v_cndmask_b32_e32 v122, v122, v55, vcc
	v_cmp_eq_u32_e32 vcc, 25, v0
	ds_read_b32 v123, v121
	v_cndmask_b32_e32 v122, v122, v56, vcc
	v_cmp_eq_u32_e32 vcc, 26, v0
	v_cndmask_b32_e32 v122, v122, v57, vcc
	v_cmp_eq_u32_e32 vcc, 27, v0
	;; [unrolled: 2-line block ×3, first 2 shown]
	v_cndmask_b32_e32 v122, v122, v59, vcc
	s_waitcnt lgkmcnt(0)
	v_mul_f32_e32 v122, v122, v123
	s_cbranch_execz .LBB28_309
	s_branch .LBB28_310
.LBB28_308:
                                        ; implicit-def: $vgpr122
.LBB28_309:
	ds_read_b32 v122, v121
.LBB28_310:
	s_and_saveexec_b64 s[6:7], s[0:1]
	s_cbranch_execz .LBB28_320
; %bb.311:
	v_add_u32_e32 v123, -9, v0
	v_cmp_lt_u32_e32 vcc, 6, v123
	v_mov_b32_e32 v123, 8
	s_and_saveexec_b64 s[0:1], vcc
	s_cbranch_execz .LBB28_315
; %bb.312:
	v_and_b32_e32 v123, 24, v0
	v_sub_u32_e32 v124, 0, v123
	s_mov_b64 s[8:9], 15
	s_movk_i32 s12, 0xa0
	s_mov_b64 s[10:11], 0
.LBB28_313:                             ; =>This Inner Loop Header: Depth=1
	s_add_i32 s13, s8, -7
	v_mov_b32_e32 v123, s12
	s_add_i32 s14, s8, -6
	s_set_gpr_idx_on s13, gpr_idx(SRC0)
	v_mov_b32_e32 v133, v31
	s_set_gpr_idx_off
	s_add_i32 s15, s8, -5
	ds_read_b128 v[125:128], v123
	ds_read_b128 v[129:132], v123 offset:16
	s_set_gpr_idx_on s14, gpr_idx(SRC0)
	v_mov_b32_e32 v123, v31
	s_set_gpr_idx_off
	s_add_i32 s16, s8, -4
	s_set_gpr_idx_on s15, gpr_idx(SRC0)
	v_mov_b32_e32 v134, v31
	s_set_gpr_idx_off
	s_add_i32 s17, s8, -3
	;; [unrolled: 4-line block ×4, first 2 shown]
	s_waitcnt lgkmcnt(1)
	v_fmac_f32_e32 v122, v133, v125
	s_set_gpr_idx_on s18, gpr_idx(SRC0)
	v_mov_b32_e32 v125, v31
	s_set_gpr_idx_off
	v_fmac_f32_e32 v122, v123, v126
	s_set_gpr_idx_on s19, gpr_idx(SRC0)
	v_mov_b32_e32 v126, v31
	s_set_gpr_idx_off
	;; [unrolled: 4-line block ×3, first 2 shown]
	v_fmac_f32_e32 v122, v135, v128
	s_add_u32 s8, s8, 8
	s_waitcnt lgkmcnt(0)
	v_fmac_f32_e32 v122, v136, v129
	v_add_u32_e32 v123, s8, v124
	v_fmac_f32_e32 v122, v125, v130
	s_addc_u32 s9, s9, 0
	s_add_i32 s12, s12, 32
	s_add_i32 s13, s8, -7
	v_cmp_eq_u32_e32 vcc, 7, v123
	v_fmac_f32_e32 v122, v126, v131
	v_mov_b32_e32 v123, s13
	s_or_b64 s[10:11], vcc, s[10:11]
	v_fmac_f32_e32 v122, v127, v132
	s_andn2_b64 exec, exec, s[10:11]
	s_cbranch_execnz .LBB28_313
; %bb.314:
	s_or_b64 exec, exec, s[10:11]
.LBB28_315:
	s_or_b64 exec, exec, s[0:1]
	v_and_b32_e32 v60, 7, v0
	v_cmp_ne_u32_e32 vcc, 0, v60
	s_and_saveexec_b64 s[8:9], vcc
	s_cbranch_execz .LBB28_319
; %bb.316:
	v_mov_b32_e32 v61, 0x80
	v_lshl_add_u32 v61, v123, 2, v61
	v_mov_b32_e32 v62, 0
	s_mov_b64 s[10:11], 0
.LBB28_317:                             ; =>This Inner Loop Header: Depth=1
	v_cmp_eq_u32_e32 vcc, 1, v123
	v_cndmask_b32_e32 v124, v31, v32, vcc
	v_add_u32_e32 v60, -1, v60
	v_cmp_eq_u32_e32 vcc, 2, v123
	v_cndmask_b32_e32 v124, v124, v33, vcc
	v_cmp_eq_u32_e32 vcc, 0, v60
	v_cmp_eq_u32_e64 s[0:1], 3, v123
	v_cndmask_b32_e64 v124, v124, v34, s[0:1]
	s_or_b64 s[10:11], vcc, s[10:11]
	v_cmp_eq_u32_e32 vcc, 4, v123
	v_cndmask_b32_e32 v124, v124, v35, vcc
	v_cmp_eq_u32_e32 vcc, 5, v123
	v_cndmask_b32_e32 v124, v124, v36, vcc
	v_cmp_eq_u32_e32 vcc, 6, v123
	v_cndmask_b32_e32 v124, v124, v37, vcc
	v_cmp_eq_u32_e32 vcc, 7, v123
	v_cndmask_b32_e32 v124, v124, v38, vcc
	v_cmp_eq_u32_e32 vcc, 8, v123
	v_cndmask_b32_e32 v124, v124, v39, vcc
	v_cmp_eq_u32_e32 vcc, 9, v123
	v_cndmask_b32_e32 v124, v124, v40, vcc
	v_cmp_eq_u32_e32 vcc, 10, v123
	v_cndmask_b32_e32 v124, v124, v41, vcc
	v_cmp_eq_u32_e32 vcc, 11, v123
	v_cndmask_b32_e32 v124, v124, v42, vcc
	v_cmp_eq_u32_e32 vcc, 12, v123
	v_cndmask_b32_e32 v124, v124, v43, vcc
	v_cmp_eq_u32_e32 vcc, 13, v123
	v_cndmask_b32_e32 v124, v124, v44, vcc
	v_cmp_eq_u32_e32 vcc, 14, v123
	v_cndmask_b32_e32 v124, v124, v45, vcc
	v_cmp_eq_u32_e32 vcc, 15, v123
	v_cndmask_b32_e32 v124, v124, v46, vcc
	v_cmp_eq_u32_e32 vcc, 16, v123
	v_cndmask_b32_e32 v124, v124, v47, vcc
	v_cmp_eq_u32_e32 vcc, 17, v123
	v_cndmask_b32_e32 v124, v124, v48, vcc
	v_cmp_eq_u32_e32 vcc, 18, v123
	v_cndmask_b32_e32 v124, v124, v49, vcc
	v_cmp_eq_u32_e32 vcc, 19, v123
	v_cndmask_b32_e32 v124, v124, v50, vcc
	v_cmp_eq_u32_e32 vcc, 20, v123
	v_cndmask_b32_e32 v124, v124, v51, vcc
	v_cmp_eq_u32_e32 vcc, 21, v123
	v_cndmask_b32_e32 v124, v124, v52, vcc
	v_cmp_eq_u32_e32 vcc, 22, v123
	v_cndmask_b32_e32 v124, v124, v53, vcc
	v_cmp_eq_u32_e32 vcc, 23, v123
	v_cndmask_b32_e32 v124, v124, v54, vcc
	v_cmp_eq_u32_e32 vcc, 24, v123
	ds_read_b32 v125, v61
	v_cndmask_b32_e32 v124, v124, v55, vcc
	v_cmp_eq_u32_e32 vcc, 25, v123
	v_cndmask_b32_e32 v124, v124, v56, vcc
	v_cmp_eq_u32_e32 vcc, 26, v123
	;; [unrolled: 2-line block ×4, first 2 shown]
	v_add_co_u32_e64 v123, s[0:1], 1, v123
	v_cndmask_b32_e32 v124, v124, v59, vcc
	v_add_u32_e32 v61, 4, v61
	v_addc_co_u32_e64 v62, s[0:1], 0, v62, s[0:1]
	s_waitcnt lgkmcnt(0)
	v_fmac_f32_e32 v122, v124, v125
	s_andn2_b64 exec, exec, s[10:11]
	s_cbranch_execnz .LBB28_317
; %bb.318:
	s_or_b64 exec, exec, s[10:11]
.LBB28_319:
	s_or_b64 exec, exec, s[8:9]
.LBB28_320:
	s_or_b64 exec, exec, s[6:7]
	v_mov_b32_e32 v38, 0
	ds_read_b32 v38, v38 offset:28
	s_waitcnt lgkmcnt(0)
	v_mul_f32_e32 v38, v122, v38
.LBB28_321:
	s_or_b64 exec, exec, s[4:5]
	v_cmp_lt_u32_e64 s[0:1], 6, v0
	ds_write_b32 v121, v37
	s_waitcnt lgkmcnt(0)
	; wave barrier
	s_and_saveexec_b64 s[4:5], s[0:1]
	s_cbranch_execz .LBB28_337
; %bb.322:
	s_andn2_b64 vcc, exec, s[62:63]
	s_cbranch_vccnz .LBB28_324
; %bb.323:
	v_cmp_eq_u32_e32 vcc, 1, v0
	v_cndmask_b32_e32 v122, v31, v32, vcc
	v_cmp_eq_u32_e32 vcc, 2, v0
	v_cndmask_b32_e32 v122, v122, v33, vcc
	;; [unrolled: 2-line block ×24, first 2 shown]
	v_cmp_eq_u32_e32 vcc, 25, v0
	ds_read_b32 v123, v121
	v_cndmask_b32_e32 v122, v122, v56, vcc
	v_cmp_eq_u32_e32 vcc, 26, v0
	v_cndmask_b32_e32 v122, v122, v57, vcc
	v_cmp_eq_u32_e32 vcc, 27, v0
	;; [unrolled: 2-line block ×3, first 2 shown]
	v_cndmask_b32_e32 v122, v122, v59, vcc
	s_waitcnt lgkmcnt(0)
	v_mul_f32_e32 v122, v122, v123
	s_cbranch_execz .LBB28_325
	s_branch .LBB28_326
.LBB28_324:
                                        ; implicit-def: $vgpr122
.LBB28_325:
	ds_read_b32 v122, v121
.LBB28_326:
	s_and_saveexec_b64 s[6:7], s[2:3]
	s_cbranch_execz .LBB28_336
; %bb.327:
	v_add_u32_e32 v123, -8, v0
	v_add_u32_e32 v124, -7, v0
	v_cmp_lt_u32_e32 vcc, 6, v123
	v_mov_b32_e32 v123, 7
	s_and_saveexec_b64 s[2:3], vcc
	s_cbranch_execz .LBB28_331
; %bb.328:
	v_and_b32_e32 v123, -8, v124
	v_sub_u32_e32 v125, 0, v123
	s_mov_b64 s[8:9], 14
	s_movk_i32 s12, 0x9c
	s_mov_b64 s[10:11], 0
.LBB28_329:                             ; =>This Inner Loop Header: Depth=1
	s_add_i32 s13, s8, -7
	v_mov_b32_e32 v123, s12
	s_add_i32 s14, s8, -6
	s_set_gpr_idx_on s13, gpr_idx(SRC0)
	v_mov_b32_e32 v132, v31
	s_set_gpr_idx_off
	ds_read2_b32 v[126:127], v123 offset1:1
	s_add_i32 s15, s8, -5
	s_set_gpr_idx_on s14, gpr_idx(SRC0)
	v_mov_b32_e32 v133, v31
	s_set_gpr_idx_off
	s_add_i32 s16, s8, -4
	s_set_gpr_idx_on s15, gpr_idx(SRC0)
	v_mov_b32_e32 v134, v31
	s_set_gpr_idx_off
	ds_read2_b32 v[128:129], v123 offset0:2 offset1:3
	s_add_i32 s17, s8, -3
	s_set_gpr_idx_on s16, gpr_idx(SRC0)
	v_mov_b32_e32 v135, v31
	s_set_gpr_idx_off
	s_add_i32 s18, s8, -2
	s_set_gpr_idx_on s17, gpr_idx(SRC0)
	v_mov_b32_e32 v136, v31
	s_set_gpr_idx_off
	ds_read2_b32 v[130:131], v123 offset0:4 offset1:5
	s_add_i32 s19, s8, -1
	s_waitcnt lgkmcnt(2)
	v_fmac_f32_e32 v122, v132, v126
	s_set_gpr_idx_on s18, gpr_idx(SRC0)
	v_mov_b32_e32 v132, v31
	s_set_gpr_idx_off
	v_fmac_f32_e32 v122, v133, v127
	s_set_gpr_idx_on s19, gpr_idx(SRC0)
	v_mov_b32_e32 v133, v31
	s_set_gpr_idx_off
	ds_read2_b32 v[126:127], v123 offset0:6 offset1:7
	s_waitcnt lgkmcnt(2)
	v_fmac_f32_e32 v122, v134, v128
	s_set_gpr_idx_on s8, gpr_idx(SRC0)
	v_mov_b32_e32 v128, v31
	s_set_gpr_idx_off
	v_fmac_f32_e32 v122, v135, v129
	s_add_u32 s8, s8, 8
	s_waitcnt lgkmcnt(1)
	v_fmac_f32_e32 v122, v136, v130
	v_add_u32_e32 v123, s8, v125
	v_fmac_f32_e32 v122, v132, v131
	s_addc_u32 s9, s9, 0
	s_add_i32 s12, s12, 32
	s_add_i32 s13, s8, -7
	v_cmp_eq_u32_e32 vcc, 14, v123
	s_waitcnt lgkmcnt(0)
	v_fmac_f32_e32 v122, v133, v126
	v_mov_b32_e32 v123, s13
	s_or_b64 s[10:11], vcc, s[10:11]
	v_fmac_f32_e32 v122, v128, v127
	s_andn2_b64 exec, exec, s[10:11]
	s_cbranch_execnz .LBB28_329
; %bb.330:
	s_or_b64 exec, exec, s[10:11]
.LBB28_331:
	s_or_b64 exec, exec, s[2:3]
	v_and_b32_e32 v60, 7, v124
	v_cmp_ne_u32_e32 vcc, 0, v60
	s_and_saveexec_b64 s[8:9], vcc
	s_cbranch_execz .LBB28_335
; %bb.332:
	v_mov_b32_e32 v61, 0x80
	v_lshl_add_u32 v61, v123, 2, v61
	v_mov_b32_e32 v62, 0
	s_mov_b64 s[10:11], 0
.LBB28_333:                             ; =>This Inner Loop Header: Depth=1
	v_cmp_eq_u32_e32 vcc, 1, v123
	v_cndmask_b32_e32 v124, v31, v32, vcc
	v_add_u32_e32 v60, -1, v60
	v_cmp_eq_u32_e32 vcc, 2, v123
	v_cndmask_b32_e32 v124, v124, v33, vcc
	v_cmp_eq_u32_e32 vcc, 0, v60
	v_cmp_eq_u32_e64 s[2:3], 3, v123
	v_cndmask_b32_e64 v124, v124, v34, s[2:3]
	s_or_b64 s[10:11], vcc, s[10:11]
	v_cmp_eq_u32_e32 vcc, 4, v123
	v_cndmask_b32_e32 v124, v124, v35, vcc
	v_cmp_eq_u32_e32 vcc, 5, v123
	v_cndmask_b32_e32 v124, v124, v36, vcc
	;; [unrolled: 2-line block ×20, first 2 shown]
	v_cmp_eq_u32_e32 vcc, 24, v123
	ds_read_b32 v125, v61
	v_cndmask_b32_e32 v124, v124, v55, vcc
	v_cmp_eq_u32_e32 vcc, 25, v123
	v_cndmask_b32_e32 v124, v124, v56, vcc
	v_cmp_eq_u32_e32 vcc, 26, v123
	;; [unrolled: 2-line block ×4, first 2 shown]
	v_add_co_u32_e64 v123, s[2:3], 1, v123
	v_cndmask_b32_e32 v124, v124, v59, vcc
	v_add_u32_e32 v61, 4, v61
	v_addc_co_u32_e64 v62, s[2:3], 0, v62, s[2:3]
	s_waitcnt lgkmcnt(0)
	v_fmac_f32_e32 v122, v124, v125
	s_andn2_b64 exec, exec, s[10:11]
	s_cbranch_execnz .LBB28_333
; %bb.334:
	s_or_b64 exec, exec, s[10:11]
.LBB28_335:
	s_or_b64 exec, exec, s[8:9]
.LBB28_336:
	s_or_b64 exec, exec, s[6:7]
	v_mov_b32_e32 v37, 0
	ds_read_b32 v37, v37 offset:24
	s_waitcnt lgkmcnt(0)
	v_mul_f32_e32 v37, v122, v37
.LBB28_337:
	s_or_b64 exec, exec, s[4:5]
	v_cmp_lt_u32_e64 s[2:3], 5, v0
	ds_write_b32 v121, v36
	s_waitcnt lgkmcnt(0)
	; wave barrier
	s_and_saveexec_b64 s[4:5], s[2:3]
	s_cbranch_execz .LBB28_353
; %bb.338:
	s_andn2_b64 vcc, exec, s[62:63]
	s_cbranch_vccnz .LBB28_340
; %bb.339:
	v_cmp_eq_u32_e32 vcc, 1, v0
	v_cndmask_b32_e32 v122, v31, v32, vcc
	v_cmp_eq_u32_e32 vcc, 2, v0
	v_cndmask_b32_e32 v122, v122, v33, vcc
	;; [unrolled: 2-line block ×24, first 2 shown]
	v_cmp_eq_u32_e32 vcc, 25, v0
	ds_read_b32 v123, v121
	v_cndmask_b32_e32 v122, v122, v56, vcc
	v_cmp_eq_u32_e32 vcc, 26, v0
	v_cndmask_b32_e32 v122, v122, v57, vcc
	v_cmp_eq_u32_e32 vcc, 27, v0
	;; [unrolled: 2-line block ×3, first 2 shown]
	v_cndmask_b32_e32 v122, v122, v59, vcc
	s_waitcnt lgkmcnt(0)
	v_mul_f32_e32 v122, v122, v123
	s_cbranch_execz .LBB28_341
	s_branch .LBB28_342
.LBB28_340:
                                        ; implicit-def: $vgpr122
.LBB28_341:
	ds_read_b32 v122, v121
.LBB28_342:
	s_and_saveexec_b64 s[6:7], s[0:1]
	s_cbranch_execz .LBB28_352
; %bb.343:
	v_add_u32_e32 v125, -7, v0
	v_add_u32_e32 v124, -6, v0
	v_mov_b32_e32 v123, 6
	v_cmp_lt_u32_e32 vcc, 6, v125
	s_and_saveexec_b64 s[0:1], vcc
	s_cbranch_execz .LBB28_347
; %bb.344:
	v_and_b32_e32 v123, -8, v124
	v_sub_u32_e32 v125, 0, v123
	s_mov_b64 s[8:9], 13
	s_movk_i32 s12, 0x98
	s_mov_b64 s[10:11], 0
.LBB28_345:                             ; =>This Inner Loop Header: Depth=1
	s_add_i32 s13, s8, -7
	v_mov_b32_e32 v123, s12
	s_add_i32 s14, s8, -6
	s_set_gpr_idx_on s13, gpr_idx(SRC0)
	v_mov_b32_e32 v134, v31
	s_set_gpr_idx_off
	ds_read2_b64 v[126:129], v123 offset1:1
	s_add_i32 s15, s8, -5
	s_set_gpr_idx_on s14, gpr_idx(SRC0)
	v_mov_b32_e32 v135, v31
	s_set_gpr_idx_off
	s_add_i32 s16, s8, -4
	s_set_gpr_idx_on s15, gpr_idx(SRC0)
	v_mov_b32_e32 v136, v31
	s_set_gpr_idx_off
	;; [unrolled: 4-line block ×4, first 2 shown]
	ds_read2_b64 v[130:133], v123 offset0:2 offset1:3
	s_add_i32 s19, s8, -1
	s_waitcnt lgkmcnt(1)
	v_fmac_f32_e32 v122, v134, v126
	s_set_gpr_idx_on s18, gpr_idx(SRC0)
	v_mov_b32_e32 v126, v31
	s_set_gpr_idx_off
	v_fmac_f32_e32 v122, v135, v127
	s_set_gpr_idx_on s19, gpr_idx(SRC0)
	v_mov_b32_e32 v127, v31
	s_set_gpr_idx_off
	;; [unrolled: 4-line block ×3, first 2 shown]
	v_fmac_f32_e32 v122, v137, v129
	s_add_u32 s8, s8, 8
	s_waitcnt lgkmcnt(0)
	v_fmac_f32_e32 v122, v138, v130
	v_add_u32_e32 v123, s8, v125
	v_fmac_f32_e32 v122, v126, v131
	s_addc_u32 s9, s9, 0
	s_add_i32 s12, s12, 32
	s_add_i32 s13, s8, -7
	v_cmp_eq_u32_e32 vcc, 13, v123
	v_fmac_f32_e32 v122, v127, v132
	v_mov_b32_e32 v123, s13
	s_or_b64 s[10:11], vcc, s[10:11]
	v_fmac_f32_e32 v122, v128, v133
	s_andn2_b64 exec, exec, s[10:11]
	s_cbranch_execnz .LBB28_345
; %bb.346:
	s_or_b64 exec, exec, s[10:11]
.LBB28_347:
	s_or_b64 exec, exec, s[0:1]
	v_and_b32_e32 v60, 7, v124
	v_cmp_ne_u32_e32 vcc, 0, v60
	s_and_saveexec_b64 s[8:9], vcc
	s_cbranch_execz .LBB28_351
; %bb.348:
	v_mov_b32_e32 v61, 0x80
	v_lshl_add_u32 v61, v123, 2, v61
	v_mov_b32_e32 v62, 0
	s_mov_b64 s[10:11], 0
.LBB28_349:                             ; =>This Inner Loop Header: Depth=1
	v_cmp_eq_u32_e32 vcc, 1, v123
	v_cndmask_b32_e32 v124, v31, v32, vcc
	v_add_u32_e32 v60, -1, v60
	v_cmp_eq_u32_e32 vcc, 2, v123
	v_cndmask_b32_e32 v124, v124, v33, vcc
	v_cmp_eq_u32_e32 vcc, 0, v60
	v_cmp_eq_u32_e64 s[0:1], 3, v123
	v_cndmask_b32_e64 v124, v124, v34, s[0:1]
	s_or_b64 s[10:11], vcc, s[10:11]
	v_cmp_eq_u32_e32 vcc, 4, v123
	v_cndmask_b32_e32 v124, v124, v35, vcc
	v_cmp_eq_u32_e32 vcc, 5, v123
	v_cndmask_b32_e32 v124, v124, v36, vcc
	;; [unrolled: 2-line block ×20, first 2 shown]
	v_cmp_eq_u32_e32 vcc, 24, v123
	ds_read_b32 v125, v61
	v_cndmask_b32_e32 v124, v124, v55, vcc
	v_cmp_eq_u32_e32 vcc, 25, v123
	v_cndmask_b32_e32 v124, v124, v56, vcc
	v_cmp_eq_u32_e32 vcc, 26, v123
	;; [unrolled: 2-line block ×4, first 2 shown]
	v_add_co_u32_e64 v123, s[0:1], 1, v123
	v_cndmask_b32_e32 v124, v124, v59, vcc
	v_add_u32_e32 v61, 4, v61
	v_addc_co_u32_e64 v62, s[0:1], 0, v62, s[0:1]
	s_waitcnt lgkmcnt(0)
	v_fmac_f32_e32 v122, v124, v125
	s_andn2_b64 exec, exec, s[10:11]
	s_cbranch_execnz .LBB28_349
; %bb.350:
	s_or_b64 exec, exec, s[10:11]
.LBB28_351:
	s_or_b64 exec, exec, s[8:9]
.LBB28_352:
	s_or_b64 exec, exec, s[6:7]
	v_mov_b32_e32 v36, 0
	ds_read_b32 v36, v36 offset:20
	s_waitcnt lgkmcnt(0)
	v_mul_f32_e32 v36, v122, v36
.LBB28_353:
	s_or_b64 exec, exec, s[4:5]
	v_cmp_lt_u32_e64 s[0:1], 4, v0
	ds_write_b32 v121, v35
	s_waitcnt lgkmcnt(0)
	; wave barrier
	s_and_saveexec_b64 s[4:5], s[0:1]
	s_cbranch_execz .LBB28_369
; %bb.354:
	s_andn2_b64 vcc, exec, s[62:63]
	s_cbranch_vccnz .LBB28_356
; %bb.355:
	v_cmp_eq_u32_e32 vcc, 1, v0
	v_cndmask_b32_e32 v122, v31, v32, vcc
	v_cmp_eq_u32_e32 vcc, 2, v0
	v_cndmask_b32_e32 v122, v122, v33, vcc
	;; [unrolled: 2-line block ×24, first 2 shown]
	v_cmp_eq_u32_e32 vcc, 25, v0
	ds_read_b32 v123, v121
	v_cndmask_b32_e32 v122, v122, v56, vcc
	v_cmp_eq_u32_e32 vcc, 26, v0
	v_cndmask_b32_e32 v122, v122, v57, vcc
	v_cmp_eq_u32_e32 vcc, 27, v0
	;; [unrolled: 2-line block ×3, first 2 shown]
	v_cndmask_b32_e32 v122, v122, v59, vcc
	s_waitcnt lgkmcnt(0)
	v_mul_f32_e32 v122, v122, v123
	s_cbranch_execz .LBB28_357
	s_branch .LBB28_358
.LBB28_356:
                                        ; implicit-def: $vgpr122
.LBB28_357:
	ds_read_b32 v122, v121
.LBB28_358:
	s_and_saveexec_b64 s[6:7], s[2:3]
	s_cbranch_execz .LBB28_368
; %bb.359:
	v_add_u32_e32 v123, -6, v0
	v_add_u32_e32 v124, -5, v0
	v_cmp_lt_u32_e32 vcc, 6, v123
	v_mov_b32_e32 v123, 5
	s_and_saveexec_b64 s[2:3], vcc
	s_cbranch_execz .LBB28_363
; %bb.360:
	v_and_b32_e32 v123, -8, v124
	v_sub_u32_e32 v125, 0, v123
	s_mov_b64 s[8:9], 12
	s_movk_i32 s12, 0x94
	s_mov_b64 s[10:11], 0
.LBB28_361:                             ; =>This Inner Loop Header: Depth=1
	s_add_i32 s13, s8, -7
	v_mov_b32_e32 v123, s12
	s_add_i32 s14, s8, -6
	s_set_gpr_idx_on s13, gpr_idx(SRC0)
	v_mov_b32_e32 v132, v31
	s_set_gpr_idx_off
	ds_read2_b32 v[126:127], v123 offset1:1
	s_add_i32 s15, s8, -5
	s_set_gpr_idx_on s14, gpr_idx(SRC0)
	v_mov_b32_e32 v133, v31
	s_set_gpr_idx_off
	s_add_i32 s16, s8, -4
	s_set_gpr_idx_on s15, gpr_idx(SRC0)
	v_mov_b32_e32 v134, v31
	s_set_gpr_idx_off
	ds_read2_b32 v[128:129], v123 offset0:2 offset1:3
	s_add_i32 s17, s8, -3
	s_set_gpr_idx_on s16, gpr_idx(SRC0)
	v_mov_b32_e32 v135, v31
	s_set_gpr_idx_off
	s_add_i32 s18, s8, -2
	s_set_gpr_idx_on s17, gpr_idx(SRC0)
	v_mov_b32_e32 v136, v31
	s_set_gpr_idx_off
	ds_read2_b32 v[130:131], v123 offset0:4 offset1:5
	s_add_i32 s19, s8, -1
	s_waitcnt lgkmcnt(2)
	v_fmac_f32_e32 v122, v132, v126
	s_set_gpr_idx_on s18, gpr_idx(SRC0)
	v_mov_b32_e32 v132, v31
	s_set_gpr_idx_off
	v_fmac_f32_e32 v122, v133, v127
	s_set_gpr_idx_on s19, gpr_idx(SRC0)
	v_mov_b32_e32 v133, v31
	s_set_gpr_idx_off
	ds_read2_b32 v[126:127], v123 offset0:6 offset1:7
	s_waitcnt lgkmcnt(2)
	v_fmac_f32_e32 v122, v134, v128
	s_set_gpr_idx_on s8, gpr_idx(SRC0)
	v_mov_b32_e32 v128, v31
	s_set_gpr_idx_off
	v_fmac_f32_e32 v122, v135, v129
	s_add_u32 s8, s8, 8
	s_waitcnt lgkmcnt(1)
	v_fmac_f32_e32 v122, v136, v130
	v_add_u32_e32 v123, s8, v125
	v_fmac_f32_e32 v122, v132, v131
	s_addc_u32 s9, s9, 0
	s_add_i32 s12, s12, 32
	s_add_i32 s13, s8, -7
	v_cmp_eq_u32_e32 vcc, 12, v123
	s_waitcnt lgkmcnt(0)
	v_fmac_f32_e32 v122, v133, v126
	v_mov_b32_e32 v123, s13
	s_or_b64 s[10:11], vcc, s[10:11]
	v_fmac_f32_e32 v122, v128, v127
	s_andn2_b64 exec, exec, s[10:11]
	s_cbranch_execnz .LBB28_361
; %bb.362:
	s_or_b64 exec, exec, s[10:11]
.LBB28_363:
	s_or_b64 exec, exec, s[2:3]
	v_and_b32_e32 v60, 7, v124
	v_cmp_ne_u32_e32 vcc, 0, v60
	s_and_saveexec_b64 s[8:9], vcc
	s_cbranch_execz .LBB28_367
; %bb.364:
	v_mov_b32_e32 v61, 0x80
	v_lshl_add_u32 v61, v123, 2, v61
	v_mov_b32_e32 v62, 0
	s_mov_b64 s[10:11], 0
.LBB28_365:                             ; =>This Inner Loop Header: Depth=1
	v_cmp_eq_u32_e32 vcc, 1, v123
	v_cndmask_b32_e32 v124, v31, v32, vcc
	v_add_u32_e32 v60, -1, v60
	v_cmp_eq_u32_e32 vcc, 2, v123
	v_cndmask_b32_e32 v124, v124, v33, vcc
	v_cmp_eq_u32_e32 vcc, 0, v60
	v_cmp_eq_u32_e64 s[2:3], 3, v123
	v_cndmask_b32_e64 v124, v124, v34, s[2:3]
	s_or_b64 s[10:11], vcc, s[10:11]
	v_cmp_eq_u32_e32 vcc, 4, v123
	v_cndmask_b32_e32 v124, v124, v35, vcc
	v_cmp_eq_u32_e32 vcc, 5, v123
	v_cndmask_b32_e32 v124, v124, v36, vcc
	;; [unrolled: 2-line block ×20, first 2 shown]
	v_cmp_eq_u32_e32 vcc, 24, v123
	ds_read_b32 v125, v61
	v_cndmask_b32_e32 v124, v124, v55, vcc
	v_cmp_eq_u32_e32 vcc, 25, v123
	v_cndmask_b32_e32 v124, v124, v56, vcc
	v_cmp_eq_u32_e32 vcc, 26, v123
	;; [unrolled: 2-line block ×4, first 2 shown]
	v_add_co_u32_e64 v123, s[2:3], 1, v123
	v_cndmask_b32_e32 v124, v124, v59, vcc
	v_add_u32_e32 v61, 4, v61
	v_addc_co_u32_e64 v62, s[2:3], 0, v62, s[2:3]
	s_waitcnt lgkmcnt(0)
	v_fmac_f32_e32 v122, v124, v125
	s_andn2_b64 exec, exec, s[10:11]
	s_cbranch_execnz .LBB28_365
; %bb.366:
	s_or_b64 exec, exec, s[10:11]
.LBB28_367:
	s_or_b64 exec, exec, s[8:9]
.LBB28_368:
	s_or_b64 exec, exec, s[6:7]
	v_mov_b32_e32 v35, 0
	ds_read_b32 v35, v35 offset:16
	s_waitcnt lgkmcnt(0)
	v_mul_f32_e32 v35, v122, v35
.LBB28_369:
	s_or_b64 exec, exec, s[4:5]
	v_cmp_lt_u32_e64 s[2:3], 3, v0
	ds_write_b32 v121, v34
	s_waitcnt lgkmcnt(0)
	; wave barrier
	s_and_saveexec_b64 s[4:5], s[2:3]
	s_cbranch_execz .LBB28_385
; %bb.370:
	s_andn2_b64 vcc, exec, s[62:63]
	s_cbranch_vccnz .LBB28_372
; %bb.371:
	v_cmp_eq_u32_e32 vcc, 1, v0
	v_cndmask_b32_e32 v122, v31, v32, vcc
	v_cmp_eq_u32_e32 vcc, 2, v0
	v_cndmask_b32_e32 v122, v122, v33, vcc
	;; [unrolled: 2-line block ×24, first 2 shown]
	v_cmp_eq_u32_e32 vcc, 25, v0
	ds_read_b32 v123, v121
	v_cndmask_b32_e32 v122, v122, v56, vcc
	v_cmp_eq_u32_e32 vcc, 26, v0
	v_cndmask_b32_e32 v122, v122, v57, vcc
	v_cmp_eq_u32_e32 vcc, 27, v0
	v_cndmask_b32_e32 v122, v122, v58, vcc
	v_cmp_eq_u32_e32 vcc, 28, v0
	v_cndmask_b32_e32 v122, v122, v59, vcc
	s_waitcnt lgkmcnt(0)
	v_mul_f32_e32 v122, v122, v123
	s_cbranch_execz .LBB28_373
	s_branch .LBB28_374
.LBB28_372:
                                        ; implicit-def: $vgpr122
.LBB28_373:
	ds_read_b32 v122, v121
.LBB28_374:
	s_and_saveexec_b64 s[6:7], s[0:1]
	s_cbranch_execz .LBB28_384
; %bb.375:
	v_add_u32_e32 v123, -5, v0
	v_add_u32_e32 v124, -4, v0
	v_cmp_lt_u32_e32 vcc, 6, v123
	v_mov_b32_e32 v123, 4
	s_and_saveexec_b64 s[0:1], vcc
	s_cbranch_execz .LBB28_379
; %bb.376:
	v_and_b32_e32 v123, -8, v124
	v_sub_u32_e32 v125, 0, v123
	s_mov_b64 s[8:9], 5
	s_movk_i32 s12, 0x90
	s_mov_b64 s[10:11], 0
.LBB28_377:                             ; =>This Inner Loop Header: Depth=1
	s_add_i32 s13, s8, -1
	v_mov_b32_e32 v123, s12
	s_set_gpr_idx_on s13, gpr_idx(SRC0)
	v_mov_b32_e32 v134, v31
	s_set_gpr_idx_off
	s_add_i32 s14, s8, 1
	ds_read_b128 v[126:129], v123
	ds_read_b128 v[130:133], v123 offset:16
	s_set_gpr_idx_on s8, gpr_idx(SRC0)
	v_mov_b32_e32 v135, v31
	s_set_gpr_idx_off
	s_add_i32 s15, s8, 2
	s_set_gpr_idx_on s14, gpr_idx(SRC0)
	v_mov_b32_e32 v136, v31
	s_set_gpr_idx_off
	s_add_i32 s16, s8, 3
	;; [unrolled: 4-line block ×4, first 2 shown]
	s_waitcnt lgkmcnt(1)
	v_fmac_f32_e32 v122, v134, v126
	s_set_gpr_idx_on s17, gpr_idx(SRC0)
	v_mov_b32_e32 v126, v31
	s_set_gpr_idx_off
	s_add_i32 s19, s8, 6
	v_fmac_f32_e32 v122, v135, v127
	s_set_gpr_idx_on s18, gpr_idx(SRC0)
	v_mov_b32_e32 v127, v31
	s_set_gpr_idx_off
	v_fmac_f32_e32 v122, v136, v128
	s_set_gpr_idx_on s19, gpr_idx(SRC0)
	v_mov_b32_e32 v128, v31
	s_set_gpr_idx_off
	v_fmac_f32_e32 v122, v137, v129
	s_add_u32 s8, s8, 8
	s_waitcnt lgkmcnt(0)
	v_fmac_f32_e32 v122, v138, v130
	v_add_u32_e32 v123, s8, v125
	v_fmac_f32_e32 v122, v126, v131
	s_addc_u32 s9, s9, 0
	s_add_i32 s12, s12, 32
	s_add_i32 s13, s8, -1
	v_cmp_eq_u32_e32 vcc, 5, v123
	v_fmac_f32_e32 v122, v127, v132
	v_mov_b32_e32 v123, s13
	s_or_b64 s[10:11], vcc, s[10:11]
	v_fmac_f32_e32 v122, v128, v133
	s_andn2_b64 exec, exec, s[10:11]
	s_cbranch_execnz .LBB28_377
; %bb.378:
	s_or_b64 exec, exec, s[10:11]
.LBB28_379:
	s_or_b64 exec, exec, s[0:1]
	v_and_b32_e32 v60, 7, v124
	v_cmp_ne_u32_e32 vcc, 0, v60
	s_and_saveexec_b64 s[8:9], vcc
	s_cbranch_execz .LBB28_383
; %bb.380:
	v_mov_b32_e32 v61, 0x80
	v_lshl_add_u32 v61, v123, 2, v61
	v_mov_b32_e32 v62, 0
	s_mov_b64 s[10:11], 0
.LBB28_381:                             ; =>This Inner Loop Header: Depth=1
	v_cmp_eq_u32_e32 vcc, 1, v123
	v_cndmask_b32_e32 v124, v31, v32, vcc
	v_add_u32_e32 v60, -1, v60
	v_cmp_eq_u32_e32 vcc, 2, v123
	v_cndmask_b32_e32 v124, v124, v33, vcc
	v_cmp_eq_u32_e32 vcc, 0, v60
	v_cmp_eq_u32_e64 s[0:1], 3, v123
	v_cndmask_b32_e64 v124, v124, v34, s[0:1]
	s_or_b64 s[10:11], vcc, s[10:11]
	v_cmp_eq_u32_e32 vcc, 4, v123
	v_cndmask_b32_e32 v124, v124, v35, vcc
	v_cmp_eq_u32_e32 vcc, 5, v123
	v_cndmask_b32_e32 v124, v124, v36, vcc
	;; [unrolled: 2-line block ×20, first 2 shown]
	v_cmp_eq_u32_e32 vcc, 24, v123
	ds_read_b32 v125, v61
	v_cndmask_b32_e32 v124, v124, v55, vcc
	v_cmp_eq_u32_e32 vcc, 25, v123
	v_cndmask_b32_e32 v124, v124, v56, vcc
	v_cmp_eq_u32_e32 vcc, 26, v123
	;; [unrolled: 2-line block ×4, first 2 shown]
	v_add_co_u32_e64 v123, s[0:1], 1, v123
	v_cndmask_b32_e32 v124, v124, v59, vcc
	v_add_u32_e32 v61, 4, v61
	v_addc_co_u32_e64 v62, s[0:1], 0, v62, s[0:1]
	s_waitcnt lgkmcnt(0)
	v_fmac_f32_e32 v122, v124, v125
	s_andn2_b64 exec, exec, s[10:11]
	s_cbranch_execnz .LBB28_381
; %bb.382:
	s_or_b64 exec, exec, s[10:11]
.LBB28_383:
	s_or_b64 exec, exec, s[8:9]
.LBB28_384:
	s_or_b64 exec, exec, s[6:7]
	v_mov_b32_e32 v34, 0
	ds_read_b32 v34, v34 offset:12
	s_waitcnt lgkmcnt(0)
	v_mul_f32_e32 v34, v122, v34
.LBB28_385:
	s_or_b64 exec, exec, s[4:5]
	v_cmp_lt_u32_e64 s[0:1], 2, v0
	ds_write_b32 v121, v33
	s_waitcnt lgkmcnt(0)
	; wave barrier
	s_and_saveexec_b64 s[4:5], s[0:1]
	s_cbranch_execz .LBB28_401
; %bb.386:
	s_andn2_b64 vcc, exec, s[62:63]
	s_cbranch_vccnz .LBB28_388
; %bb.387:
	v_cmp_eq_u32_e32 vcc, 1, v0
	v_cndmask_b32_e32 v122, v31, v32, vcc
	v_cmp_eq_u32_e32 vcc, 2, v0
	v_cndmask_b32_e32 v122, v122, v33, vcc
	;; [unrolled: 2-line block ×24, first 2 shown]
	v_cmp_eq_u32_e32 vcc, 25, v0
	ds_read_b32 v123, v121
	v_cndmask_b32_e32 v122, v122, v56, vcc
	v_cmp_eq_u32_e32 vcc, 26, v0
	v_cndmask_b32_e32 v122, v122, v57, vcc
	v_cmp_eq_u32_e32 vcc, 27, v0
	;; [unrolled: 2-line block ×3, first 2 shown]
	v_cndmask_b32_e32 v122, v122, v59, vcc
	s_waitcnt lgkmcnt(0)
	v_mul_f32_e32 v122, v122, v123
	s_cbranch_execz .LBB28_389
	s_branch .LBB28_390
.LBB28_388:
                                        ; implicit-def: $vgpr122
.LBB28_389:
	ds_read_b32 v122, v121
.LBB28_390:
	s_and_saveexec_b64 s[6:7], s[2:3]
	s_cbranch_execz .LBB28_400
; %bb.391:
	v_add_u32_e32 v123, -4, v0
	v_add_u32_e32 v124, -3, v0
	v_cmp_lt_u32_e32 vcc, 6, v123
	v_mov_b32_e32 v123, 3
	s_and_saveexec_b64 s[2:3], vcc
	s_cbranch_execz .LBB28_395
; %bb.392:
	v_and_b32_e32 v123, -8, v124
	v_sub_u32_e32 v125, 0, v123
	s_mov_b64 s[8:9], 10
	s_movk_i32 s12, 0x8c
	s_mov_b64 s[10:11], 0
.LBB28_393:                             ; =>This Inner Loop Header: Depth=1
	s_add_i32 s13, s8, -7
	v_mov_b32_e32 v123, s12
	s_add_i32 s14, s8, -6
	s_set_gpr_idx_on s13, gpr_idx(SRC0)
	v_mov_b32_e32 v132, v31
	s_set_gpr_idx_off
	ds_read2_b32 v[126:127], v123 offset1:1
	s_add_i32 s15, s8, -5
	s_set_gpr_idx_on s14, gpr_idx(SRC0)
	v_mov_b32_e32 v133, v31
	s_set_gpr_idx_off
	s_add_i32 s16, s8, -4
	s_set_gpr_idx_on s15, gpr_idx(SRC0)
	v_mov_b32_e32 v134, v31
	s_set_gpr_idx_off
	ds_read2_b32 v[128:129], v123 offset0:2 offset1:3
	s_add_i32 s17, s8, -3
	s_set_gpr_idx_on s16, gpr_idx(SRC0)
	v_mov_b32_e32 v135, v31
	s_set_gpr_idx_off
	s_add_i32 s18, s8, -2
	s_set_gpr_idx_on s17, gpr_idx(SRC0)
	v_mov_b32_e32 v136, v31
	s_set_gpr_idx_off
	ds_read2_b32 v[130:131], v123 offset0:4 offset1:5
	s_add_i32 s19, s8, -1
	s_waitcnt lgkmcnt(2)
	v_fmac_f32_e32 v122, v132, v126
	s_set_gpr_idx_on s18, gpr_idx(SRC0)
	v_mov_b32_e32 v132, v31
	s_set_gpr_idx_off
	v_fmac_f32_e32 v122, v133, v127
	s_set_gpr_idx_on s19, gpr_idx(SRC0)
	v_mov_b32_e32 v133, v31
	s_set_gpr_idx_off
	ds_read2_b32 v[126:127], v123 offset0:6 offset1:7
	s_waitcnt lgkmcnt(2)
	v_fmac_f32_e32 v122, v134, v128
	s_set_gpr_idx_on s8, gpr_idx(SRC0)
	v_mov_b32_e32 v128, v31
	s_set_gpr_idx_off
	v_fmac_f32_e32 v122, v135, v129
	s_add_u32 s8, s8, 8
	s_waitcnt lgkmcnt(1)
	v_fmac_f32_e32 v122, v136, v130
	v_add_u32_e32 v123, s8, v125
	v_fmac_f32_e32 v122, v132, v131
	s_addc_u32 s9, s9, 0
	s_add_i32 s12, s12, 32
	s_add_i32 s13, s8, -7
	v_cmp_eq_u32_e32 vcc, 10, v123
	s_waitcnt lgkmcnt(0)
	v_fmac_f32_e32 v122, v133, v126
	v_mov_b32_e32 v123, s13
	s_or_b64 s[10:11], vcc, s[10:11]
	v_fmac_f32_e32 v122, v128, v127
	s_andn2_b64 exec, exec, s[10:11]
	s_cbranch_execnz .LBB28_393
; %bb.394:
	s_or_b64 exec, exec, s[10:11]
.LBB28_395:
	s_or_b64 exec, exec, s[2:3]
	v_and_b32_e32 v60, 7, v124
	v_cmp_ne_u32_e32 vcc, 0, v60
	s_and_saveexec_b64 s[8:9], vcc
	s_cbranch_execz .LBB28_399
; %bb.396:
	v_mov_b32_e32 v61, 0x80
	v_lshl_add_u32 v61, v123, 2, v61
	v_mov_b32_e32 v62, 0
	s_mov_b64 s[10:11], 0
.LBB28_397:                             ; =>This Inner Loop Header: Depth=1
	v_cmp_eq_u32_e32 vcc, 1, v123
	v_cndmask_b32_e32 v124, v31, v32, vcc
	v_add_u32_e32 v60, -1, v60
	v_cmp_eq_u32_e32 vcc, 2, v123
	v_cndmask_b32_e32 v124, v124, v33, vcc
	v_cmp_eq_u32_e32 vcc, 0, v60
	v_cmp_eq_u32_e64 s[2:3], 3, v123
	v_cndmask_b32_e64 v124, v124, v34, s[2:3]
	s_or_b64 s[10:11], vcc, s[10:11]
	v_cmp_eq_u32_e32 vcc, 4, v123
	v_cndmask_b32_e32 v124, v124, v35, vcc
	v_cmp_eq_u32_e32 vcc, 5, v123
	v_cndmask_b32_e32 v124, v124, v36, vcc
	;; [unrolled: 2-line block ×20, first 2 shown]
	v_cmp_eq_u32_e32 vcc, 24, v123
	ds_read_b32 v125, v61
	v_cndmask_b32_e32 v124, v124, v55, vcc
	v_cmp_eq_u32_e32 vcc, 25, v123
	v_cndmask_b32_e32 v124, v124, v56, vcc
	v_cmp_eq_u32_e32 vcc, 26, v123
	;; [unrolled: 2-line block ×4, first 2 shown]
	v_add_co_u32_e64 v123, s[2:3], 1, v123
	v_cndmask_b32_e32 v124, v124, v59, vcc
	v_add_u32_e32 v61, 4, v61
	v_addc_co_u32_e64 v62, s[2:3], 0, v62, s[2:3]
	s_waitcnt lgkmcnt(0)
	v_fmac_f32_e32 v122, v124, v125
	s_andn2_b64 exec, exec, s[10:11]
	s_cbranch_execnz .LBB28_397
; %bb.398:
	s_or_b64 exec, exec, s[10:11]
.LBB28_399:
	s_or_b64 exec, exec, s[8:9]
.LBB28_400:
	s_or_b64 exec, exec, s[6:7]
	v_mov_b32_e32 v33, 0
	ds_read_b32 v33, v33 offset:8
	s_waitcnt lgkmcnt(0)
	v_mul_f32_e32 v33, v122, v33
.LBB28_401:
	s_or_b64 exec, exec, s[4:5]
	v_cmp_lt_u32_e64 s[2:3], 1, v0
	ds_write_b32 v121, v32
	s_waitcnt lgkmcnt(0)
	; wave barrier
	s_and_saveexec_b64 s[4:5], s[2:3]
	s_cbranch_execz .LBB28_417
; %bb.402:
	s_andn2_b64 vcc, exec, s[62:63]
	s_cbranch_vccnz .LBB28_404
; %bb.403:
	v_cmp_eq_u32_e32 vcc, 1, v0
	v_cndmask_b32_e32 v122, v31, v32, vcc
	v_cmp_eq_u32_e32 vcc, 2, v0
	v_cndmask_b32_e32 v122, v122, v33, vcc
	;; [unrolled: 2-line block ×24, first 2 shown]
	v_cmp_eq_u32_e32 vcc, 25, v0
	ds_read_b32 v123, v121
	v_cndmask_b32_e32 v122, v122, v56, vcc
	v_cmp_eq_u32_e32 vcc, 26, v0
	v_cndmask_b32_e32 v122, v122, v57, vcc
	v_cmp_eq_u32_e32 vcc, 27, v0
	;; [unrolled: 2-line block ×3, first 2 shown]
	v_cndmask_b32_e32 v122, v122, v59, vcc
	s_waitcnt lgkmcnt(0)
	v_mul_f32_e32 v122, v122, v123
	s_cbranch_execz .LBB28_405
	s_branch .LBB28_406
.LBB28_404:
                                        ; implicit-def: $vgpr122
.LBB28_405:
	ds_read_b32 v122, v121
.LBB28_406:
	s_and_saveexec_b64 s[6:7], s[0:1]
	s_cbranch_execz .LBB28_416
; %bb.407:
	v_add_u32_e32 v123, -3, v0
	v_add_u32_e32 v124, -2, v0
	v_cmp_lt_u32_e32 vcc, 6, v123
	v_mov_b32_e32 v123, 2
	s_and_saveexec_b64 s[0:1], vcc
	s_cbranch_execz .LBB28_411
; %bb.408:
	v_and_b32_e32 v123, -8, v124
	v_sub_u32_e32 v125, 0, v123
	s_mov_b64 s[8:9], 9
	s_movk_i32 s12, 0x88
	s_mov_b64 s[10:11], 0
.LBB28_409:                             ; =>This Inner Loop Header: Depth=1
	s_add_i32 s13, s8, -7
	v_mov_b32_e32 v123, s12
	s_add_i32 s14, s8, -6
	s_set_gpr_idx_on s13, gpr_idx(SRC0)
	v_mov_b32_e32 v134, v31
	s_set_gpr_idx_off
	ds_read2_b64 v[126:129], v123 offset1:1
	s_add_i32 s15, s8, -5
	s_set_gpr_idx_on s14, gpr_idx(SRC0)
	v_mov_b32_e32 v135, v31
	s_set_gpr_idx_off
	s_add_i32 s16, s8, -4
	s_set_gpr_idx_on s15, gpr_idx(SRC0)
	v_mov_b32_e32 v136, v31
	s_set_gpr_idx_off
	;; [unrolled: 4-line block ×4, first 2 shown]
	ds_read2_b64 v[130:133], v123 offset0:2 offset1:3
	s_add_i32 s19, s8, -1
	s_waitcnt lgkmcnt(1)
	v_fmac_f32_e32 v122, v134, v126
	s_set_gpr_idx_on s18, gpr_idx(SRC0)
	v_mov_b32_e32 v126, v31
	s_set_gpr_idx_off
	v_fmac_f32_e32 v122, v135, v127
	s_set_gpr_idx_on s19, gpr_idx(SRC0)
	v_mov_b32_e32 v127, v31
	s_set_gpr_idx_off
	;; [unrolled: 4-line block ×3, first 2 shown]
	v_fmac_f32_e32 v122, v137, v129
	s_add_u32 s8, s8, 8
	s_waitcnt lgkmcnt(0)
	v_fmac_f32_e32 v122, v138, v130
	v_add_u32_e32 v123, s8, v125
	v_fmac_f32_e32 v122, v126, v131
	s_addc_u32 s9, s9, 0
	s_add_i32 s12, s12, 32
	s_add_i32 s13, s8, -7
	v_cmp_eq_u32_e32 vcc, 9, v123
	v_fmac_f32_e32 v122, v127, v132
	v_mov_b32_e32 v123, s13
	s_or_b64 s[10:11], vcc, s[10:11]
	v_fmac_f32_e32 v122, v128, v133
	s_andn2_b64 exec, exec, s[10:11]
	s_cbranch_execnz .LBB28_409
; %bb.410:
	s_or_b64 exec, exec, s[10:11]
.LBB28_411:
	s_or_b64 exec, exec, s[0:1]
	v_and_b32_e32 v60, 7, v124
	v_cmp_ne_u32_e32 vcc, 0, v60
	s_and_saveexec_b64 s[8:9], vcc
	s_cbranch_execz .LBB28_415
; %bb.412:
	v_mov_b32_e32 v61, 0x80
	v_lshl_add_u32 v61, v123, 2, v61
	v_mov_b32_e32 v62, 0
	s_mov_b64 s[10:11], 0
.LBB28_413:                             ; =>This Inner Loop Header: Depth=1
	v_cmp_eq_u32_e32 vcc, 1, v123
	v_cndmask_b32_e32 v124, v31, v32, vcc
	v_add_u32_e32 v60, -1, v60
	v_cmp_eq_u32_e32 vcc, 2, v123
	v_cndmask_b32_e32 v124, v124, v33, vcc
	v_cmp_eq_u32_e32 vcc, 0, v60
	v_cmp_eq_u32_e64 s[0:1], 3, v123
	v_cndmask_b32_e64 v124, v124, v34, s[0:1]
	s_or_b64 s[10:11], vcc, s[10:11]
	v_cmp_eq_u32_e32 vcc, 4, v123
	v_cndmask_b32_e32 v124, v124, v35, vcc
	v_cmp_eq_u32_e32 vcc, 5, v123
	v_cndmask_b32_e32 v124, v124, v36, vcc
	;; [unrolled: 2-line block ×20, first 2 shown]
	v_cmp_eq_u32_e32 vcc, 24, v123
	ds_read_b32 v125, v61
	v_cndmask_b32_e32 v124, v124, v55, vcc
	v_cmp_eq_u32_e32 vcc, 25, v123
	v_cndmask_b32_e32 v124, v124, v56, vcc
	v_cmp_eq_u32_e32 vcc, 26, v123
	;; [unrolled: 2-line block ×4, first 2 shown]
	v_add_co_u32_e64 v123, s[0:1], 1, v123
	v_cndmask_b32_e32 v124, v124, v59, vcc
	v_add_u32_e32 v61, 4, v61
	v_addc_co_u32_e64 v62, s[0:1], 0, v62, s[0:1]
	s_waitcnt lgkmcnt(0)
	v_fmac_f32_e32 v122, v124, v125
	s_andn2_b64 exec, exec, s[10:11]
	s_cbranch_execnz .LBB28_413
; %bb.414:
	s_or_b64 exec, exec, s[10:11]
.LBB28_415:
	s_or_b64 exec, exec, s[8:9]
.LBB28_416:
	s_or_b64 exec, exec, s[6:7]
	v_mov_b32_e32 v32, 0
	ds_read_b32 v32, v32 offset:4
	s_waitcnt lgkmcnt(0)
	v_mul_f32_e32 v32, v122, v32
.LBB28_417:
	s_or_b64 exec, exec, s[4:5]
	v_cmp_ne_u32_e32 vcc, 0, v0
	ds_write_b32 v121, v31
	s_waitcnt lgkmcnt(0)
	; wave barrier
	s_and_saveexec_b64 s[4:5], vcc
	s_cbranch_execz .LBB28_433
; %bb.418:
	s_andn2_b64 vcc, exec, s[62:63]
	s_cbranch_vccnz .LBB28_420
; %bb.419:
	v_cmp_eq_u32_e32 vcc, 1, v0
	v_cndmask_b32_e32 v122, v31, v32, vcc
	v_cmp_eq_u32_e32 vcc, 2, v0
	v_cndmask_b32_e32 v122, v122, v33, vcc
	v_cmp_eq_u32_e32 vcc, 3, v0
	v_cndmask_b32_e32 v122, v122, v34, vcc
	v_cmp_eq_u32_e32 vcc, 4, v0
	v_cndmask_b32_e32 v122, v122, v35, vcc
	v_cmp_eq_u32_e32 vcc, 5, v0
	v_cndmask_b32_e32 v122, v122, v36, vcc
	v_cmp_eq_u32_e32 vcc, 6, v0
	v_cndmask_b32_e32 v122, v122, v37, vcc
	v_cmp_eq_u32_e32 vcc, 7, v0
	v_cndmask_b32_e32 v122, v122, v38, vcc
	v_cmp_eq_u32_e32 vcc, 8, v0
	v_cndmask_b32_e32 v122, v122, v39, vcc
	v_cmp_eq_u32_e32 vcc, 9, v0
	v_cndmask_b32_e32 v122, v122, v40, vcc
	v_cmp_eq_u32_e32 vcc, 10, v0
	v_cndmask_b32_e32 v122, v122, v41, vcc
	v_cmp_eq_u32_e32 vcc, 11, v0
	v_cndmask_b32_e32 v122, v122, v42, vcc
	v_cmp_eq_u32_e32 vcc, 12, v0
	v_cndmask_b32_e32 v122, v122, v43, vcc
	v_cmp_eq_u32_e32 vcc, 13, v0
	v_cndmask_b32_e32 v122, v122, v44, vcc
	v_cmp_eq_u32_e32 vcc, 14, v0
	v_cndmask_b32_e32 v122, v122, v45, vcc
	v_cmp_eq_u32_e32 vcc, 15, v0
	v_cndmask_b32_e32 v122, v122, v46, vcc
	v_cmp_eq_u32_e32 vcc, 16, v0
	v_cndmask_b32_e32 v122, v122, v47, vcc
	v_cmp_eq_u32_e32 vcc, 17, v0
	v_cndmask_b32_e32 v122, v122, v48, vcc
	v_cmp_eq_u32_e32 vcc, 18, v0
	v_cndmask_b32_e32 v122, v122, v49, vcc
	v_cmp_eq_u32_e32 vcc, 19, v0
	v_cndmask_b32_e32 v122, v122, v50, vcc
	v_cmp_eq_u32_e32 vcc, 20, v0
	v_cndmask_b32_e32 v122, v122, v51, vcc
	v_cmp_eq_u32_e32 vcc, 21, v0
	v_cndmask_b32_e32 v122, v122, v52, vcc
	v_cmp_eq_u32_e32 vcc, 22, v0
	v_cndmask_b32_e32 v122, v122, v53, vcc
	v_cmp_eq_u32_e32 vcc, 23, v0
	v_cndmask_b32_e32 v122, v122, v54, vcc
	v_cmp_eq_u32_e32 vcc, 24, v0
	v_cndmask_b32_e32 v122, v122, v55, vcc
	v_cmp_eq_u32_e32 vcc, 25, v0
	ds_read_b32 v123, v121
	v_cndmask_b32_e32 v122, v122, v56, vcc
	v_cmp_eq_u32_e32 vcc, 26, v0
	v_cndmask_b32_e32 v122, v122, v57, vcc
	v_cmp_eq_u32_e32 vcc, 27, v0
	;; [unrolled: 2-line block ×3, first 2 shown]
	v_cndmask_b32_e32 v122, v122, v59, vcc
	s_waitcnt lgkmcnt(0)
	v_mul_f32_e32 v122, v122, v123
	s_cbranch_execz .LBB28_421
	s_branch .LBB28_422
.LBB28_420:
                                        ; implicit-def: $vgpr122
.LBB28_421:
	ds_read_b32 v122, v121
.LBB28_422:
	s_and_saveexec_b64 s[6:7], s[2:3]
	s_cbranch_execz .LBB28_432
; %bb.423:
	v_add_u32_e32 v123, -2, v0
	v_add_u32_e32 v124, -1, v0
	v_cmp_lt_u32_e32 vcc, 6, v123
	v_mov_b32_e32 v123, 1
	s_and_saveexec_b64 s[0:1], vcc
	s_cbranch_execz .LBB28_427
; %bb.424:
	v_and_b32_e32 v123, -8, v124
	v_sub_u32_e32 v125, 0, v123
	s_mov_b64 s[2:3], 8
	s_movk_i32 s10, 0x84
	s_mov_b64 s[8:9], 0
.LBB28_425:                             ; =>This Inner Loop Header: Depth=1
	s_add_i32 s11, s2, -7
	v_mov_b32_e32 v123, s10
	s_add_i32 s12, s2, -6
	s_set_gpr_idx_on s11, gpr_idx(SRC0)
	v_mov_b32_e32 v132, v31
	s_set_gpr_idx_off
	ds_read2_b32 v[126:127], v123 offset1:1
	s_add_i32 s13, s2, -5
	s_set_gpr_idx_on s12, gpr_idx(SRC0)
	v_mov_b32_e32 v133, v31
	s_set_gpr_idx_off
	s_add_i32 s14, s2, -4
	s_set_gpr_idx_on s13, gpr_idx(SRC0)
	v_mov_b32_e32 v134, v31
	s_set_gpr_idx_off
	ds_read2_b32 v[128:129], v123 offset0:2 offset1:3
	s_add_i32 s15, s2, -3
	s_set_gpr_idx_on s14, gpr_idx(SRC0)
	v_mov_b32_e32 v135, v31
	s_set_gpr_idx_off
	s_add_i32 s16, s2, -2
	s_set_gpr_idx_on s15, gpr_idx(SRC0)
	v_mov_b32_e32 v136, v31
	s_set_gpr_idx_off
	ds_read2_b32 v[130:131], v123 offset0:4 offset1:5
	s_add_i32 s17, s2, -1
	s_waitcnt lgkmcnt(2)
	v_fmac_f32_e32 v122, v132, v126
	s_set_gpr_idx_on s16, gpr_idx(SRC0)
	v_mov_b32_e32 v132, v31
	s_set_gpr_idx_off
	v_fmac_f32_e32 v122, v133, v127
	s_set_gpr_idx_on s17, gpr_idx(SRC0)
	v_mov_b32_e32 v133, v31
	s_set_gpr_idx_off
	ds_read2_b32 v[126:127], v123 offset0:6 offset1:7
	s_waitcnt lgkmcnt(2)
	v_fmac_f32_e32 v122, v134, v128
	s_set_gpr_idx_on s2, gpr_idx(SRC0)
	v_mov_b32_e32 v128, v31
	s_set_gpr_idx_off
	v_fmac_f32_e32 v122, v135, v129
	s_add_u32 s2, s2, 8
	s_waitcnt lgkmcnt(1)
	v_fmac_f32_e32 v122, v136, v130
	v_add_u32_e32 v123, s2, v125
	v_fmac_f32_e32 v122, v132, v131
	s_addc_u32 s3, s3, 0
	s_add_i32 s10, s10, 32
	s_add_i32 s11, s2, -7
	v_cmp_eq_u32_e32 vcc, 8, v123
	s_waitcnt lgkmcnt(0)
	v_fmac_f32_e32 v122, v133, v126
	v_mov_b32_e32 v123, s11
	s_or_b64 s[8:9], vcc, s[8:9]
	v_fmac_f32_e32 v122, v128, v127
	s_andn2_b64 exec, exec, s[8:9]
	s_cbranch_execnz .LBB28_425
; %bb.426:
	s_or_b64 exec, exec, s[8:9]
.LBB28_427:
	s_or_b64 exec, exec, s[0:1]
	v_and_b32_e32 v60, 7, v124
	v_cmp_ne_u32_e32 vcc, 0, v60
	s_and_saveexec_b64 s[2:3], vcc
	s_cbranch_execz .LBB28_431
; %bb.428:
	v_mov_b32_e32 v61, 0x80
	v_lshl_add_u32 v61, v123, 2, v61
	v_mov_b32_e32 v62, 0
	s_mov_b64 s[8:9], 0
.LBB28_429:                             ; =>This Inner Loop Header: Depth=1
	v_cmp_eq_u32_e32 vcc, 1, v123
	v_cndmask_b32_e32 v124, v31, v32, vcc
	v_add_u32_e32 v60, -1, v60
	v_cmp_eq_u32_e32 vcc, 2, v123
	v_cndmask_b32_e32 v124, v124, v33, vcc
	v_cmp_eq_u32_e32 vcc, 0, v60
	v_cmp_eq_u32_e64 s[0:1], 3, v123
	v_cndmask_b32_e64 v124, v124, v34, s[0:1]
	s_or_b64 s[8:9], vcc, s[8:9]
	v_cmp_eq_u32_e32 vcc, 4, v123
	v_cndmask_b32_e32 v124, v124, v35, vcc
	v_cmp_eq_u32_e32 vcc, 5, v123
	v_cndmask_b32_e32 v124, v124, v36, vcc
	;; [unrolled: 2-line block ×20, first 2 shown]
	v_cmp_eq_u32_e32 vcc, 24, v123
	ds_read_b32 v125, v61
	v_cndmask_b32_e32 v124, v124, v55, vcc
	v_cmp_eq_u32_e32 vcc, 25, v123
	v_cndmask_b32_e32 v124, v124, v56, vcc
	v_cmp_eq_u32_e32 vcc, 26, v123
	;; [unrolled: 2-line block ×4, first 2 shown]
	v_add_co_u32_e64 v123, s[0:1], 1, v123
	v_cndmask_b32_e32 v124, v124, v59, vcc
	v_add_u32_e32 v61, 4, v61
	v_addc_co_u32_e64 v62, s[0:1], 0, v62, s[0:1]
	s_waitcnt lgkmcnt(0)
	v_fmac_f32_e32 v122, v124, v125
	s_andn2_b64 exec, exec, s[8:9]
	s_cbranch_execnz .LBB28_429
; %bb.430:
	s_or_b64 exec, exec, s[8:9]
.LBB28_431:
	s_or_b64 exec, exec, s[2:3]
.LBB28_432:
	s_or_b64 exec, exec, s[6:7]
	v_mov_b32_e32 v31, 0
	ds_read_b32 v31, v31
	s_waitcnt lgkmcnt(0)
	v_mul_f32_e32 v31, v122, v31
.LBB28_433:
	s_or_b64 exec, exec, s[4:5]
	s_branch .LBB28_717
.LBB28_434:
	v_cmp_eq_u32_e64 s[2:3], 0, v0
	s_waitcnt vmcnt(28)
	ds_write_b32 v121, v3
	s_waitcnt lgkmcnt(0)
	; wave barrier
	s_and_saveexec_b64 s[0:1], s[2:3]
	s_cbranch_execz .LBB28_440
; %bb.435:
	s_and_b64 vcc, exec, s[62:63]
	s_cbranch_vccz .LBB28_437
; %bb.436:
	v_cmp_eq_u32_e32 vcc, 1, v0
	s_waitcnt vmcnt(4)
	v_cndmask_b32_e32 v3, v2, v3, vcc
	v_cmp_eq_u32_e32 vcc, 2, v0
	v_cndmask_b32_e32 v3, v3, v4, vcc
	v_cmp_eq_u32_e32 vcc, 3, v0
	;; [unrolled: 2-line block ×24, first 2 shown]
	ds_read_b32 v31, v121
	s_waitcnt vmcnt(3)
	v_cndmask_b32_e32 v3, v3, v27, vcc
	v_cmp_eq_u32_e32 vcc, 26, v0
	s_waitcnt vmcnt(2)
	v_cndmask_b32_e32 v3, v3, v28, vcc
	v_cmp_eq_u32_e32 vcc, 27, v0
	;; [unrolled: 3-line block ×3, first 2 shown]
	s_waitcnt vmcnt(0)
	v_cndmask_b32_e32 v3, v3, v30, vcc
	s_waitcnt lgkmcnt(0)
	v_mul_f32_e32 v3, v3, v31
	s_cbranch_execz .LBB28_438
	s_branch .LBB28_439
.LBB28_437:
                                        ; implicit-def: $vgpr3
.LBB28_438:
	ds_read_b32 v3, v121
.LBB28_439:
	v_mov_b32_e32 v31, 0
	ds_read_b32 v31, v31 offset:4
	s_waitcnt lgkmcnt(0)
	v_mul_f32_e32 v3, v3, v31
.LBB28_440:
	s_or_b64 exec, exec, s[0:1]
	v_cndmask_b32_e64 v31, 0, 1, s[62:63]
	v_cmp_gt_u32_e32 vcc, 2, v0
	v_cmp_ne_u32_e64 s[0:1], 1, v31
	s_waitcnt vmcnt(27)
	ds_write_b32 v121, v4
	s_waitcnt lgkmcnt(0)
	; wave barrier
	s_and_saveexec_b64 s[4:5], vcc
	s_cbranch_execz .LBB28_446
; %bb.441:
	s_and_b64 vcc, exec, s[0:1]
	s_cbranch_vccnz .LBB28_443
; %bb.442:
	v_cmp_eq_u32_e32 vcc, 1, v0
	s_waitcnt vmcnt(4)
	v_cndmask_b32_e32 v31, v2, v3, vcc
	v_cmp_eq_u32_e32 vcc, 2, v0
	v_cndmask_b32_e32 v4, v31, v4, vcc
	v_cmp_eq_u32_e32 vcc, 3, v0
	;; [unrolled: 2-line block ×24, first 2 shown]
	ds_read_b32 v31, v121
	s_waitcnt vmcnt(3)
	v_cndmask_b32_e32 v4, v4, v27, vcc
	v_cmp_eq_u32_e32 vcc, 26, v0
	s_waitcnt vmcnt(2)
	v_cndmask_b32_e32 v4, v4, v28, vcc
	v_cmp_eq_u32_e32 vcc, 27, v0
	;; [unrolled: 3-line block ×3, first 2 shown]
	s_waitcnt vmcnt(0)
	v_cndmask_b32_e32 v4, v4, v30, vcc
	s_waitcnt lgkmcnt(0)
	v_mul_f32_e32 v4, v4, v31
	s_cbranch_execz .LBB28_444
	s_branch .LBB28_445
.LBB28_443:
                                        ; implicit-def: $vgpr4
.LBB28_444:
	ds_read_b32 v4, v121
.LBB28_445:
	v_mov_b32_e32 v31, 0
	ds_read2_b32 v[31:32], v31 offset0:2 offset1:33
	s_waitcnt lgkmcnt(0)
	v_fma_f32 v32, v3, v32, v4
	v_cndmask_b32_e64 v4, v4, v32, s[2:3]
	v_mul_f32_e32 v4, v4, v31
.LBB28_446:
	s_or_b64 exec, exec, s[4:5]
	v_add_u32_e32 v33, 1, v0
	v_cmp_gt_u32_e64 s[4:5], 3, v0
	s_waitcnt vmcnt(26)
	ds_write_b32 v121, v5
	s_waitcnt lgkmcnt(0)
	; wave barrier
	s_and_saveexec_b64 s[6:7], s[4:5]
	s_cbranch_execz .LBB28_454
; %bb.447:
	s_and_b64 vcc, exec, s[0:1]
	s_cbranch_vccnz .LBB28_449
; %bb.448:
	v_cmp_eq_u32_e32 vcc, 1, v0
	s_waitcnt vmcnt(4)
	v_cndmask_b32_e32 v31, v2, v3, vcc
	v_cmp_eq_u32_e32 vcc, 2, v0
	v_cndmask_b32_e32 v31, v31, v4, vcc
	v_cmp_eq_u32_e32 vcc, 3, v0
	;; [unrolled: 2-line block ×24, first 2 shown]
	ds_read_b32 v32, v121
	s_waitcnt vmcnt(3)
	v_cndmask_b32_e32 v31, v31, v27, vcc
	v_cmp_eq_u32_e32 vcc, 26, v0
	s_waitcnt vmcnt(2)
	v_cndmask_b32_e32 v31, v31, v28, vcc
	v_cmp_eq_u32_e32 vcc, 27, v0
	;; [unrolled: 3-line block ×3, first 2 shown]
	s_waitcnt vmcnt(0)
	v_cndmask_b32_e32 v31, v31, v30, vcc
	s_waitcnt lgkmcnt(0)
	v_mul_f32_e32 v31, v31, v32
	s_cbranch_execz .LBB28_450
	s_branch .LBB28_451
.LBB28_449:
                                        ; implicit-def: $vgpr31
.LBB28_450:
	ds_read_b32 v31, v121
.LBB28_451:
	v_cmp_ne_u32_e32 vcc, 2, v0
	s_and_saveexec_b64 s[8:9], vcc
	s_cbranch_execz .LBB28_453
; %bb.452:
	v_cmp_eq_u32_e32 vcc, 1, v33
	s_waitcnt vmcnt(4)
	v_cndmask_b32_e32 v32, v2, v3, vcc
	v_cmp_eq_u32_e32 vcc, 2, v33
	v_cndmask_b32_e32 v32, v32, v4, vcc
	v_cmp_eq_u32_e32 vcc, 3, v33
	;; [unrolled: 2-line block ×24, first 2 shown]
	v_mov_b32_e32 v32, 0
	s_waitcnt vmcnt(3)
	v_cndmask_b32_e32 v5, v5, v27, vcc
	v_cmp_eq_u32_e32 vcc, 26, v33
	ds_read_b32 v34, v121 offset:4
	ds_read_b32 v32, v32 offset:136
	s_waitcnt vmcnt(2)
	v_cndmask_b32_e32 v5, v5, v28, vcc
	v_cmp_eq_u32_e32 vcc, 27, v33
	s_waitcnt vmcnt(1)
	v_cndmask_b32_e32 v5, v5, v29, vcc
	v_cmp_eq_u32_e32 vcc, 28, v33
	s_waitcnt vmcnt(0)
	v_cndmask_b32_e32 v5, v5, v30, vcc
	s_waitcnt lgkmcnt(1)
	v_fmac_f32_e32 v31, v5, v34
	s_waitcnt lgkmcnt(0)
	v_fma_f32 v5, v4, v32, v31
	v_cndmask_b32_e64 v31, v31, v5, s[2:3]
.LBB28_453:
	s_or_b64 exec, exec, s[8:9]
	v_mov_b32_e32 v5, 0
	ds_read_b32 v5, v5 offset:12
	s_waitcnt lgkmcnt(0)
	v_mul_f32_e32 v5, v31, v5
.LBB28_454:
	s_or_b64 exec, exec, s[6:7]
	v_cmp_gt_u32_e32 vcc, 4, v0
	s_waitcnt vmcnt(25)
	ds_write_b32 v121, v6
	s_waitcnt lgkmcnt(0)
	; wave barrier
	s_and_saveexec_b64 s[8:9], vcc
	s_cbranch_execz .LBB28_464
; %bb.455:
	s_and_b64 vcc, exec, s[0:1]
	s_cbranch_vccnz .LBB28_457
; %bb.456:
	v_cmp_eq_u32_e32 vcc, 1, v0
	s_waitcnt vmcnt(4)
	v_cndmask_b32_e32 v31, v2, v3, vcc
	v_cmp_eq_u32_e32 vcc, 2, v0
	v_cndmask_b32_e32 v31, v31, v4, vcc
	v_cmp_eq_u32_e32 vcc, 3, v0
	;; [unrolled: 2-line block ×24, first 2 shown]
	ds_read_b32 v32, v121
	s_waitcnt vmcnt(3)
	v_cndmask_b32_e32 v31, v31, v27, vcc
	v_cmp_eq_u32_e32 vcc, 26, v0
	s_waitcnt vmcnt(2)
	v_cndmask_b32_e32 v31, v31, v28, vcc
	v_cmp_eq_u32_e32 vcc, 27, v0
	;; [unrolled: 3-line block ×3, first 2 shown]
	s_waitcnt vmcnt(0)
	v_cndmask_b32_e32 v31, v31, v30, vcc
	s_waitcnt lgkmcnt(0)
	v_mul_f32_e32 v34, v31, v32
	s_cbranch_execz .LBB28_458
	s_branch .LBB28_459
.LBB28_457:
                                        ; implicit-def: $vgpr34
.LBB28_458:
	ds_read_b32 v34, v121
.LBB28_459:
	v_cmp_ne_u32_e32 vcc, 3, v0
	s_and_saveexec_b64 s[10:11], vcc
	s_cbranch_execz .LBB28_463
; %bb.460:
	v_mov_b32_e32 v31, 0x84
	v_lshl_add_u32 v35, v0, 2, v31
	v_mov_b32_e32 v32, v1
	s_mov_b64 s[12:13], 0
	v_mov_b32_e32 v31, v0
.LBB28_461:                             ; =>This Inner Loop Header: Depth=1
	v_add_co_u32_e32 v31, vcc, 1, v31
	v_addc_co_u32_e32 v32, vcc, 0, v32, vcc
	v_cmp_eq_u32_e32 vcc, 1, v31
	s_waitcnt vmcnt(4)
	v_cndmask_b32_e32 v37, v2, v3, vcc
	v_cmp_lt_u32_e32 vcc, 2, v31
	v_cmp_eq_u32_e64 s[6:7], 2, v31
	v_cndmask_b32_e64 v37, v37, v4, s[6:7]
	s_or_b64 s[12:13], vcc, s[12:13]
	v_cmp_eq_u32_e32 vcc, 3, v31
	v_cndmask_b32_e32 v37, v37, v5, vcc
	v_cmp_eq_u32_e32 vcc, 4, v31
	v_cndmask_b32_e32 v37, v37, v6, vcc
	;; [unrolled: 2-line block ×21, first 2 shown]
	v_cmp_eq_u32_e32 vcc, 24, v31
	ds_read_b32 v36, v35
	v_cndmask_b32_e32 v37, v37, v26, vcc
	v_cmp_eq_u32_e32 vcc, 25, v31
	s_waitcnt vmcnt(3)
	v_cndmask_b32_e32 v37, v37, v27, vcc
	v_cmp_eq_u32_e32 vcc, 26, v31
	s_waitcnt vmcnt(2)
	;; [unrolled: 3-line block ×4, first 2 shown]
	v_cndmask_b32_e32 v37, v37, v30, vcc
	v_add_u32_e32 v35, 4, v35
	s_waitcnt lgkmcnt(0)
	v_fmac_f32_e32 v34, v37, v36
	s_andn2_b64 exec, exec, s[12:13]
	s_cbranch_execnz .LBB28_461
; %bb.462:
	s_or_b64 exec, exec, s[12:13]
.LBB28_463:
	s_or_b64 exec, exec, s[10:11]
	v_mov_b32_e32 v6, 0
	ds_read_b32 v6, v6 offset:16
	s_waitcnt lgkmcnt(0)
	v_mul_f32_e32 v6, v34, v6
.LBB28_464:
	s_or_b64 exec, exec, s[8:9]
	v_cmp_gt_u32_e64 s[6:7], 5, v0
	s_waitcnt vmcnt(24)
	ds_write_b32 v121, v7
	s_waitcnt lgkmcnt(0)
	; wave barrier
	s_and_saveexec_b64 s[10:11], s[6:7]
	s_cbranch_execz .LBB28_474
; %bb.465:
	s_and_b64 vcc, exec, s[0:1]
	s_cbranch_vccnz .LBB28_467
; %bb.466:
	v_cmp_eq_u32_e32 vcc, 1, v0
	s_waitcnt vmcnt(4)
	v_cndmask_b32_e32 v31, v2, v3, vcc
	v_cmp_eq_u32_e32 vcc, 2, v0
	v_cndmask_b32_e32 v31, v31, v4, vcc
	v_cmp_eq_u32_e32 vcc, 3, v0
	;; [unrolled: 2-line block ×24, first 2 shown]
	ds_read_b32 v32, v121
	s_waitcnt vmcnt(3)
	v_cndmask_b32_e32 v31, v31, v27, vcc
	v_cmp_eq_u32_e32 vcc, 26, v0
	s_waitcnt vmcnt(2)
	v_cndmask_b32_e32 v31, v31, v28, vcc
	v_cmp_eq_u32_e32 vcc, 27, v0
	;; [unrolled: 3-line block ×3, first 2 shown]
	s_waitcnt vmcnt(0)
	v_cndmask_b32_e32 v31, v31, v30, vcc
	s_waitcnt lgkmcnt(0)
	v_mul_f32_e32 v34, v31, v32
	s_cbranch_execz .LBB28_468
	s_branch .LBB28_469
.LBB28_467:
                                        ; implicit-def: $vgpr34
.LBB28_468:
	ds_read_b32 v34, v121
.LBB28_469:
	v_cmp_ne_u32_e32 vcc, 4, v0
	s_and_saveexec_b64 s[12:13], vcc
	s_cbranch_execz .LBB28_473
; %bb.470:
	v_mov_b32_e32 v31, 0x84
	v_lshl_add_u32 v35, v0, 2, v31
	v_mov_b32_e32 v32, v1
	s_mov_b64 s[14:15], 0
	v_mov_b32_e32 v31, v0
.LBB28_471:                             ; =>This Inner Loop Header: Depth=1
	v_add_co_u32_e32 v31, vcc, 1, v31
	v_addc_co_u32_e32 v32, vcc, 0, v32, vcc
	v_cmp_eq_u32_e32 vcc, 1, v31
	s_waitcnt vmcnt(4)
	v_cndmask_b32_e32 v37, v2, v3, vcc
	v_cmp_lt_u32_e32 vcc, 3, v31
	v_cmp_eq_u32_e64 s[8:9], 2, v31
	v_cndmask_b32_e64 v37, v37, v4, s[8:9]
	s_or_b64 s[14:15], vcc, s[14:15]
	v_cmp_eq_u32_e32 vcc, 3, v31
	v_cndmask_b32_e32 v37, v37, v5, vcc
	v_cmp_eq_u32_e32 vcc, 4, v31
	v_cndmask_b32_e32 v37, v37, v6, vcc
	;; [unrolled: 2-line block ×21, first 2 shown]
	v_cmp_eq_u32_e32 vcc, 24, v31
	ds_read_b32 v36, v35
	v_cndmask_b32_e32 v37, v37, v26, vcc
	v_cmp_eq_u32_e32 vcc, 25, v31
	s_waitcnt vmcnt(3)
	v_cndmask_b32_e32 v37, v37, v27, vcc
	v_cmp_eq_u32_e32 vcc, 26, v31
	s_waitcnt vmcnt(2)
	;; [unrolled: 3-line block ×4, first 2 shown]
	v_cndmask_b32_e32 v37, v37, v30, vcc
	v_add_u32_e32 v35, 4, v35
	s_waitcnt lgkmcnt(0)
	v_fmac_f32_e32 v34, v37, v36
	s_andn2_b64 exec, exec, s[14:15]
	s_cbranch_execnz .LBB28_471
; %bb.472:
	s_or_b64 exec, exec, s[14:15]
.LBB28_473:
	s_or_b64 exec, exec, s[12:13]
	v_mov_b32_e32 v7, 0
	ds_read_b32 v7, v7 offset:20
	s_waitcnt lgkmcnt(0)
	v_mul_f32_e32 v7, v34, v7
.LBB28_474:
	s_or_b64 exec, exec, s[10:11]
	v_cmp_gt_u32_e32 vcc, 6, v0
	s_waitcnt vmcnt(23)
	ds_write_b32 v121, v8
	s_waitcnt lgkmcnt(0)
	; wave barrier
	s_and_saveexec_b64 s[10:11], vcc
	s_cbranch_execz .LBB28_484
; %bb.475:
	s_and_b64 vcc, exec, s[0:1]
	s_cbranch_vccnz .LBB28_477
; %bb.476:
	v_cmp_eq_u32_e32 vcc, 1, v0
	s_waitcnt vmcnt(4)
	v_cndmask_b32_e32 v31, v2, v3, vcc
	v_cmp_eq_u32_e32 vcc, 2, v0
	v_cndmask_b32_e32 v31, v31, v4, vcc
	v_cmp_eq_u32_e32 vcc, 3, v0
	;; [unrolled: 2-line block ×24, first 2 shown]
	ds_read_b32 v32, v121
	s_waitcnt vmcnt(3)
	v_cndmask_b32_e32 v31, v31, v27, vcc
	v_cmp_eq_u32_e32 vcc, 26, v0
	s_waitcnt vmcnt(2)
	v_cndmask_b32_e32 v31, v31, v28, vcc
	v_cmp_eq_u32_e32 vcc, 27, v0
	;; [unrolled: 3-line block ×3, first 2 shown]
	s_waitcnt vmcnt(0)
	v_cndmask_b32_e32 v31, v31, v30, vcc
	s_waitcnt lgkmcnt(0)
	v_mul_f32_e32 v34, v31, v32
	s_cbranch_execz .LBB28_478
	s_branch .LBB28_479
.LBB28_477:
                                        ; implicit-def: $vgpr34
.LBB28_478:
	ds_read_b32 v34, v121
.LBB28_479:
	v_cmp_ne_u32_e32 vcc, 5, v0
	s_and_saveexec_b64 s[12:13], vcc
	s_cbranch_execz .LBB28_483
; %bb.480:
	v_mov_b32_e32 v31, 0x84
	v_lshl_add_u32 v35, v0, 2, v31
	v_mov_b32_e32 v32, v1
	s_mov_b64 s[14:15], 0
	v_mov_b32_e32 v31, v0
.LBB28_481:                             ; =>This Inner Loop Header: Depth=1
	v_add_co_u32_e32 v31, vcc, 1, v31
	v_addc_co_u32_e32 v32, vcc, 0, v32, vcc
	v_cmp_eq_u32_e32 vcc, 1, v31
	s_waitcnt vmcnt(4)
	v_cndmask_b32_e32 v37, v2, v3, vcc
	v_cmp_lt_u32_e32 vcc, 4, v31
	v_cmp_eq_u32_e64 s[8:9], 2, v31
	v_cndmask_b32_e64 v37, v37, v4, s[8:9]
	s_or_b64 s[14:15], vcc, s[14:15]
	v_cmp_eq_u32_e32 vcc, 3, v31
	v_cndmask_b32_e32 v37, v37, v5, vcc
	v_cmp_eq_u32_e32 vcc, 4, v31
	v_cndmask_b32_e32 v37, v37, v6, vcc
	v_cmp_eq_u32_e32 vcc, 5, v31
	v_cndmask_b32_e32 v37, v37, v7, vcc
	v_cmp_eq_u32_e32 vcc, 6, v31
	v_cndmask_b32_e32 v37, v37, v8, vcc
	v_cmp_eq_u32_e32 vcc, 7, v31
	v_cndmask_b32_e32 v37, v37, v9, vcc
	v_cmp_eq_u32_e32 vcc, 8, v31
	v_cndmask_b32_e32 v37, v37, v10, vcc
	v_cmp_eq_u32_e32 vcc, 9, v31
	v_cndmask_b32_e32 v37, v37, v11, vcc
	v_cmp_eq_u32_e32 vcc, 10, v31
	v_cndmask_b32_e32 v37, v37, v12, vcc
	v_cmp_eq_u32_e32 vcc, 11, v31
	v_cndmask_b32_e32 v37, v37, v13, vcc
	v_cmp_eq_u32_e32 vcc, 12, v31
	v_cndmask_b32_e32 v37, v37, v14, vcc
	v_cmp_eq_u32_e32 vcc, 13, v31
	v_cndmask_b32_e32 v37, v37, v15, vcc
	v_cmp_eq_u32_e32 vcc, 14, v31
	v_cndmask_b32_e32 v37, v37, v16, vcc
	v_cmp_eq_u32_e32 vcc, 15, v31
	v_cndmask_b32_e32 v37, v37, v17, vcc
	v_cmp_eq_u32_e32 vcc, 16, v31
	v_cndmask_b32_e32 v37, v37, v18, vcc
	v_cmp_eq_u32_e32 vcc, 17, v31
	v_cndmask_b32_e32 v37, v37, v19, vcc
	v_cmp_eq_u32_e32 vcc, 18, v31
	v_cndmask_b32_e32 v37, v37, v20, vcc
	v_cmp_eq_u32_e32 vcc, 19, v31
	v_cndmask_b32_e32 v37, v37, v21, vcc
	v_cmp_eq_u32_e32 vcc, 20, v31
	v_cndmask_b32_e32 v37, v37, v22, vcc
	v_cmp_eq_u32_e32 vcc, 21, v31
	v_cndmask_b32_e32 v37, v37, v23, vcc
	v_cmp_eq_u32_e32 vcc, 22, v31
	v_cndmask_b32_e32 v37, v37, v24, vcc
	v_cmp_eq_u32_e32 vcc, 23, v31
	v_cndmask_b32_e32 v37, v37, v25, vcc
	v_cmp_eq_u32_e32 vcc, 24, v31
	ds_read_b32 v36, v35
	v_cndmask_b32_e32 v37, v37, v26, vcc
	v_cmp_eq_u32_e32 vcc, 25, v31
	s_waitcnt vmcnt(3)
	v_cndmask_b32_e32 v37, v37, v27, vcc
	v_cmp_eq_u32_e32 vcc, 26, v31
	s_waitcnt vmcnt(2)
	;; [unrolled: 3-line block ×4, first 2 shown]
	v_cndmask_b32_e32 v37, v37, v30, vcc
	v_add_u32_e32 v35, 4, v35
	s_waitcnt lgkmcnt(0)
	v_fmac_f32_e32 v34, v37, v36
	s_andn2_b64 exec, exec, s[14:15]
	s_cbranch_execnz .LBB28_481
; %bb.482:
	s_or_b64 exec, exec, s[14:15]
.LBB28_483:
	s_or_b64 exec, exec, s[12:13]
	v_mov_b32_e32 v8, 0
	ds_read_b32 v8, v8 offset:24
	s_waitcnt lgkmcnt(0)
	v_mul_f32_e32 v8, v34, v8
.LBB28_484:
	s_or_b64 exec, exec, s[10:11]
	v_cmp_gt_u32_e64 s[8:9], 7, v0
	s_waitcnt vmcnt(22)
	ds_write_b32 v121, v9
	s_waitcnt lgkmcnt(0)
	; wave barrier
	s_and_saveexec_b64 s[12:13], s[8:9]
	s_cbranch_execz .LBB28_494
; %bb.485:
	s_and_b64 vcc, exec, s[0:1]
	s_cbranch_vccnz .LBB28_487
; %bb.486:
	v_cmp_eq_u32_e32 vcc, 1, v0
	s_waitcnt vmcnt(4)
	v_cndmask_b32_e32 v31, v2, v3, vcc
	v_cmp_eq_u32_e32 vcc, 2, v0
	v_cndmask_b32_e32 v31, v31, v4, vcc
	v_cmp_eq_u32_e32 vcc, 3, v0
	;; [unrolled: 2-line block ×24, first 2 shown]
	ds_read_b32 v32, v121
	s_waitcnt vmcnt(3)
	v_cndmask_b32_e32 v31, v31, v27, vcc
	v_cmp_eq_u32_e32 vcc, 26, v0
	s_waitcnt vmcnt(2)
	v_cndmask_b32_e32 v31, v31, v28, vcc
	v_cmp_eq_u32_e32 vcc, 27, v0
	;; [unrolled: 3-line block ×3, first 2 shown]
	s_waitcnt vmcnt(0)
	v_cndmask_b32_e32 v31, v31, v30, vcc
	s_waitcnt lgkmcnt(0)
	v_mul_f32_e32 v34, v31, v32
	s_cbranch_execz .LBB28_488
	s_branch .LBB28_489
.LBB28_487:
                                        ; implicit-def: $vgpr34
.LBB28_488:
	ds_read_b32 v34, v121
.LBB28_489:
	v_cmp_ne_u32_e32 vcc, 6, v0
	s_and_saveexec_b64 s[14:15], vcc
	s_cbranch_execz .LBB28_493
; %bb.490:
	v_mov_b32_e32 v31, 0x84
	v_lshl_add_u32 v35, v0, 2, v31
	v_mov_b32_e32 v32, v1
	s_mov_b64 s[16:17], 0
	v_mov_b32_e32 v31, v0
.LBB28_491:                             ; =>This Inner Loop Header: Depth=1
	v_add_co_u32_e32 v31, vcc, 1, v31
	v_addc_co_u32_e32 v32, vcc, 0, v32, vcc
	v_cmp_eq_u32_e32 vcc, 1, v31
	s_waitcnt vmcnt(4)
	v_cndmask_b32_e32 v37, v2, v3, vcc
	v_cmp_lt_u32_e32 vcc, 5, v31
	v_cmp_eq_u32_e64 s[10:11], 2, v31
	v_cndmask_b32_e64 v37, v37, v4, s[10:11]
	s_or_b64 s[16:17], vcc, s[16:17]
	v_cmp_eq_u32_e32 vcc, 3, v31
	v_cndmask_b32_e32 v37, v37, v5, vcc
	v_cmp_eq_u32_e32 vcc, 4, v31
	v_cndmask_b32_e32 v37, v37, v6, vcc
	;; [unrolled: 2-line block ×21, first 2 shown]
	v_cmp_eq_u32_e32 vcc, 24, v31
	ds_read_b32 v36, v35
	v_cndmask_b32_e32 v37, v37, v26, vcc
	v_cmp_eq_u32_e32 vcc, 25, v31
	s_waitcnt vmcnt(3)
	v_cndmask_b32_e32 v37, v37, v27, vcc
	v_cmp_eq_u32_e32 vcc, 26, v31
	s_waitcnt vmcnt(2)
	;; [unrolled: 3-line block ×4, first 2 shown]
	v_cndmask_b32_e32 v37, v37, v30, vcc
	v_add_u32_e32 v35, 4, v35
	s_waitcnt lgkmcnt(0)
	v_fmac_f32_e32 v34, v37, v36
	s_andn2_b64 exec, exec, s[16:17]
	s_cbranch_execnz .LBB28_491
; %bb.492:
	s_or_b64 exec, exec, s[16:17]
.LBB28_493:
	s_or_b64 exec, exec, s[14:15]
	v_mov_b32_e32 v9, 0
	ds_read_b32 v9, v9 offset:28
	s_waitcnt lgkmcnt(0)
	v_mul_f32_e32 v9, v34, v9
.LBB28_494:
	s_or_b64 exec, exec, s[12:13]
	v_cmp_gt_u32_e32 vcc, 8, v0
	s_waitcnt vmcnt(21)
	ds_write_b32 v121, v10
	s_waitcnt lgkmcnt(0)
	; wave barrier
	s_and_saveexec_b64 s[12:13], vcc
	s_cbranch_execz .LBB28_504
; %bb.495:
	s_and_b64 vcc, exec, s[0:1]
	s_cbranch_vccnz .LBB28_497
; %bb.496:
	v_cmp_eq_u32_e32 vcc, 1, v0
	s_waitcnt vmcnt(4)
	v_cndmask_b32_e32 v31, v2, v3, vcc
	v_cmp_eq_u32_e32 vcc, 2, v0
	v_cndmask_b32_e32 v31, v31, v4, vcc
	v_cmp_eq_u32_e32 vcc, 3, v0
	;; [unrolled: 2-line block ×24, first 2 shown]
	ds_read_b32 v32, v121
	s_waitcnt vmcnt(3)
	v_cndmask_b32_e32 v31, v31, v27, vcc
	v_cmp_eq_u32_e32 vcc, 26, v0
	s_waitcnt vmcnt(2)
	v_cndmask_b32_e32 v31, v31, v28, vcc
	v_cmp_eq_u32_e32 vcc, 27, v0
	;; [unrolled: 3-line block ×3, first 2 shown]
	s_waitcnt vmcnt(0)
	v_cndmask_b32_e32 v31, v31, v30, vcc
	s_waitcnt lgkmcnt(0)
	v_mul_f32_e32 v34, v31, v32
	s_cbranch_execz .LBB28_498
	s_branch .LBB28_499
.LBB28_497:
                                        ; implicit-def: $vgpr34
.LBB28_498:
	ds_read_b32 v34, v121
.LBB28_499:
	v_cmp_ne_u32_e32 vcc, 7, v0
	s_and_saveexec_b64 s[14:15], vcc
	s_cbranch_execz .LBB28_503
; %bb.500:
	v_mov_b32_e32 v31, 0x84
	v_lshl_add_u32 v35, v0, 2, v31
	v_mov_b32_e32 v32, v1
	s_mov_b64 s[16:17], 0
	v_mov_b32_e32 v31, v0
.LBB28_501:                             ; =>This Inner Loop Header: Depth=1
	v_add_co_u32_e32 v31, vcc, 1, v31
	v_addc_co_u32_e32 v32, vcc, 0, v32, vcc
	v_cmp_eq_u32_e32 vcc, 1, v31
	s_waitcnt vmcnt(4)
	v_cndmask_b32_e32 v37, v2, v3, vcc
	v_cmp_lt_u32_e32 vcc, 6, v31
	v_cmp_eq_u32_e64 s[10:11], 2, v31
	v_cndmask_b32_e64 v37, v37, v4, s[10:11]
	s_or_b64 s[16:17], vcc, s[16:17]
	v_cmp_eq_u32_e32 vcc, 3, v31
	v_cndmask_b32_e32 v37, v37, v5, vcc
	v_cmp_eq_u32_e32 vcc, 4, v31
	v_cndmask_b32_e32 v37, v37, v6, vcc
	;; [unrolled: 2-line block ×21, first 2 shown]
	v_cmp_eq_u32_e32 vcc, 24, v31
	ds_read_b32 v36, v35
	v_cndmask_b32_e32 v37, v37, v26, vcc
	v_cmp_eq_u32_e32 vcc, 25, v31
	s_waitcnt vmcnt(3)
	v_cndmask_b32_e32 v37, v37, v27, vcc
	v_cmp_eq_u32_e32 vcc, 26, v31
	s_waitcnt vmcnt(2)
	;; [unrolled: 3-line block ×4, first 2 shown]
	v_cndmask_b32_e32 v37, v37, v30, vcc
	v_add_u32_e32 v35, 4, v35
	s_waitcnt lgkmcnt(0)
	v_fmac_f32_e32 v34, v37, v36
	s_andn2_b64 exec, exec, s[16:17]
	s_cbranch_execnz .LBB28_501
; %bb.502:
	s_or_b64 exec, exec, s[16:17]
.LBB28_503:
	s_or_b64 exec, exec, s[14:15]
	v_mov_b32_e32 v10, 0
	ds_read_b32 v10, v10 offset:32
	s_waitcnt lgkmcnt(0)
	v_mul_f32_e32 v10, v34, v10
.LBB28_504:
	s_or_b64 exec, exec, s[12:13]
	v_cmp_gt_u32_e32 vcc, 9, v0
	s_waitcnt vmcnt(20)
	ds_write_b32 v121, v11
	s_waitcnt lgkmcnt(0)
	; wave barrier
	s_and_saveexec_b64 s[10:11], vcc
	s_cbranch_execz .LBB28_526
; %bb.505:
	s_and_b64 vcc, exec, s[0:1]
	s_cbranch_vccnz .LBB28_507
; %bb.506:
	v_cmp_eq_u32_e32 vcc, 1, v0
	s_waitcnt vmcnt(4)
	v_cndmask_b32_e32 v31, v2, v3, vcc
	v_cmp_eq_u32_e32 vcc, 2, v0
	v_cndmask_b32_e32 v31, v31, v4, vcc
	v_cmp_eq_u32_e32 vcc, 3, v0
	;; [unrolled: 2-line block ×24, first 2 shown]
	ds_read_b32 v32, v121
	s_waitcnt vmcnt(3)
	v_cndmask_b32_e32 v31, v31, v27, vcc
	v_cmp_eq_u32_e32 vcc, 26, v0
	s_waitcnt vmcnt(2)
	v_cndmask_b32_e32 v31, v31, v28, vcc
	v_cmp_eq_u32_e32 vcc, 27, v0
	;; [unrolled: 3-line block ×3, first 2 shown]
	s_waitcnt vmcnt(0)
	v_cndmask_b32_e32 v31, v31, v30, vcc
	s_waitcnt lgkmcnt(0)
	v_mul_f32_e32 v31, v31, v32
	s_cbranch_execz .LBB28_508
	s_branch .LBB28_509
.LBB28_507:
                                        ; implicit-def: $vgpr31
.LBB28_508:
	ds_read_b32 v31, v121
.LBB28_509:
	v_cmp_ne_u32_e32 vcc, 8, v0
	s_and_saveexec_b64 s[12:13], vcc
	s_cbranch_execz .LBB28_525
; %bb.510:
	v_cmp_eq_u32_e32 vcc, 1, v33
	s_waitcnt vmcnt(4)
	v_cndmask_b32_e32 v32, v2, v3, vcc
	v_cmp_eq_u32_e32 vcc, 2, v33
	v_cndmask_b32_e32 v32, v32, v4, vcc
	v_cmp_eq_u32_e32 vcc, 3, v33
	;; [unrolled: 2-line block ×24, first 2 shown]
	ds_read_b32 v34, v121 offset:4
	s_waitcnt vmcnt(3)
	v_cndmask_b32_e32 v32, v32, v27, vcc
	v_cmp_eq_u32_e32 vcc, 26, v33
	s_waitcnt vmcnt(2)
	v_cndmask_b32_e32 v32, v32, v28, vcc
	v_cmp_eq_u32_e32 vcc, 27, v33
	;; [unrolled: 3-line block ×3, first 2 shown]
	s_waitcnt vmcnt(0)
	v_cndmask_b32_e32 v32, v32, v30, vcc
	s_waitcnt lgkmcnt(0)
	v_fmac_f32_e32 v31, v32, v34
	s_and_saveexec_b64 s[14:15], s[8:9]
	s_cbranch_execz .LBB28_524
; %bb.511:
	v_add_u32_e32 v32, 2, v0
	v_cmp_eq_u32_e32 vcc, 1, v32
	v_cndmask_b32_e32 v33, v2, v3, vcc
	v_cmp_eq_u32_e32 vcc, 2, v32
	v_cndmask_b32_e32 v33, v33, v4, vcc
	;; [unrolled: 2-line block ×24, first 2 shown]
	v_cmp_eq_u32_e32 vcc, 25, v32
	ds_read_b32 v34, v121 offset:8
	v_cndmask_b32_e32 v33, v33, v27, vcc
	v_cmp_eq_u32_e32 vcc, 26, v32
	v_cndmask_b32_e32 v33, v33, v28, vcc
	v_cmp_eq_u32_e32 vcc, 27, v32
	;; [unrolled: 2-line block ×3, first 2 shown]
	v_cndmask_b32_e32 v32, v33, v30, vcc
	s_waitcnt lgkmcnt(0)
	v_fmac_f32_e32 v31, v32, v34
	v_cmp_ne_u32_e32 vcc, 6, v0
	s_and_saveexec_b64 s[8:9], vcc
	s_cbranch_execz .LBB28_523
; %bb.512:
	v_add_u32_e32 v32, 3, v0
	v_cmp_eq_u32_e32 vcc, 1, v32
	v_cndmask_b32_e32 v33, v2, v3, vcc
	v_cmp_eq_u32_e32 vcc, 2, v32
	v_cndmask_b32_e32 v33, v33, v4, vcc
	;; [unrolled: 2-line block ×24, first 2 shown]
	v_cmp_eq_u32_e32 vcc, 25, v32
	ds_read_b32 v34, v121 offset:12
	v_cndmask_b32_e32 v33, v33, v27, vcc
	v_cmp_eq_u32_e32 vcc, 26, v32
	v_cndmask_b32_e32 v33, v33, v28, vcc
	v_cmp_eq_u32_e32 vcc, 27, v32
	;; [unrolled: 2-line block ×3, first 2 shown]
	v_cndmask_b32_e32 v32, v33, v30, vcc
	s_waitcnt lgkmcnt(0)
	v_fmac_f32_e32 v31, v32, v34
	s_and_saveexec_b64 s[16:17], s[6:7]
	s_cbranch_execz .LBB28_522
; %bb.513:
	v_add_u32_e32 v32, 4, v0
	v_cmp_eq_u32_e32 vcc, 1, v32
	v_cndmask_b32_e32 v33, v2, v3, vcc
	v_cmp_eq_u32_e32 vcc, 2, v32
	v_cndmask_b32_e32 v33, v33, v4, vcc
	v_cmp_eq_u32_e32 vcc, 3, v32
	v_cndmask_b32_e32 v33, v33, v5, vcc
	v_cmp_eq_u32_e32 vcc, 4, v32
	v_cndmask_b32_e32 v33, v33, v6, vcc
	v_cmp_eq_u32_e32 vcc, 5, v32
	v_cndmask_b32_e32 v33, v33, v7, vcc
	v_cmp_eq_u32_e32 vcc, 6, v32
	v_cndmask_b32_e32 v33, v33, v8, vcc
	v_cmp_eq_u32_e32 vcc, 7, v32
	v_cndmask_b32_e32 v33, v33, v9, vcc
	v_cmp_eq_u32_e32 vcc, 8, v32
	v_cndmask_b32_e32 v33, v33, v10, vcc
	v_cmp_eq_u32_e32 vcc, 9, v32
	v_cndmask_b32_e32 v33, v33, v11, vcc
	v_cmp_eq_u32_e32 vcc, 10, v32
	v_cndmask_b32_e32 v33, v33, v12, vcc
	v_cmp_eq_u32_e32 vcc, 11, v32
	v_cndmask_b32_e32 v33, v33, v13, vcc
	v_cmp_eq_u32_e32 vcc, 12, v32
	v_cndmask_b32_e32 v33, v33, v14, vcc
	v_cmp_eq_u32_e32 vcc, 13, v32
	v_cndmask_b32_e32 v33, v33, v15, vcc
	v_cmp_eq_u32_e32 vcc, 14, v32
	v_cndmask_b32_e32 v33, v33, v16, vcc
	v_cmp_eq_u32_e32 vcc, 15, v32
	v_cndmask_b32_e32 v33, v33, v17, vcc
	v_cmp_eq_u32_e32 vcc, 16, v32
	v_cndmask_b32_e32 v33, v33, v18, vcc
	v_cmp_eq_u32_e32 vcc, 17, v32
	v_cndmask_b32_e32 v33, v33, v19, vcc
	v_cmp_eq_u32_e32 vcc, 18, v32
	v_cndmask_b32_e32 v33, v33, v20, vcc
	v_cmp_eq_u32_e32 vcc, 19, v32
	v_cndmask_b32_e32 v33, v33, v21, vcc
	v_cmp_eq_u32_e32 vcc, 20, v32
	v_cndmask_b32_e32 v33, v33, v22, vcc
	v_cmp_eq_u32_e32 vcc, 21, v32
	v_cndmask_b32_e32 v33, v33, v23, vcc
	v_cmp_eq_u32_e32 vcc, 22, v32
	v_cndmask_b32_e32 v33, v33, v24, vcc
	v_cmp_eq_u32_e32 vcc, 23, v32
	v_cndmask_b32_e32 v33, v33, v25, vcc
	v_cmp_eq_u32_e32 vcc, 24, v32
	v_cndmask_b32_e32 v33, v33, v26, vcc
	v_cmp_eq_u32_e32 vcc, 25, v32
	ds_read_b32 v34, v121 offset:16
	v_cndmask_b32_e32 v33, v33, v27, vcc
	v_cmp_eq_u32_e32 vcc, 26, v32
	v_cndmask_b32_e32 v33, v33, v28, vcc
	v_cmp_eq_u32_e32 vcc, 27, v32
	;; [unrolled: 2-line block ×3, first 2 shown]
	v_cndmask_b32_e32 v32, v33, v30, vcc
	s_waitcnt lgkmcnt(0)
	v_fmac_f32_e32 v31, v32, v34
	v_cmp_ne_u32_e32 vcc, 4, v0
	s_and_saveexec_b64 s[6:7], vcc
	s_cbranch_execz .LBB28_521
; %bb.514:
	v_add_u32_e32 v32, 5, v0
	v_cmp_eq_u32_e32 vcc, 1, v32
	v_cndmask_b32_e32 v33, v2, v3, vcc
	v_cmp_eq_u32_e32 vcc, 2, v32
	v_cndmask_b32_e32 v33, v33, v4, vcc
	;; [unrolled: 2-line block ×24, first 2 shown]
	v_cmp_eq_u32_e32 vcc, 25, v32
	ds_read_b32 v34, v121 offset:20
	v_cndmask_b32_e32 v33, v33, v27, vcc
	v_cmp_eq_u32_e32 vcc, 26, v32
	v_cndmask_b32_e32 v33, v33, v28, vcc
	v_cmp_eq_u32_e32 vcc, 27, v32
	;; [unrolled: 2-line block ×3, first 2 shown]
	v_cndmask_b32_e32 v32, v33, v30, vcc
	s_waitcnt lgkmcnt(0)
	v_fmac_f32_e32 v31, v32, v34
	s_and_saveexec_b64 s[18:19], s[4:5]
	s_cbranch_execz .LBB28_520
; %bb.515:
	v_add_u32_e32 v32, 6, v0
	v_cmp_eq_u32_e32 vcc, 1, v32
	v_cndmask_b32_e32 v33, v2, v3, vcc
	v_cmp_eq_u32_e32 vcc, 2, v32
	v_cndmask_b32_e32 v33, v33, v4, vcc
	;; [unrolled: 2-line block ×24, first 2 shown]
	v_cmp_eq_u32_e32 vcc, 25, v32
	ds_read_b32 v34, v121 offset:24
	v_cndmask_b32_e32 v33, v33, v27, vcc
	v_cmp_eq_u32_e32 vcc, 26, v32
	v_cndmask_b32_e32 v33, v33, v28, vcc
	v_cmp_eq_u32_e32 vcc, 27, v32
	;; [unrolled: 2-line block ×3, first 2 shown]
	v_cndmask_b32_e32 v32, v33, v30, vcc
	s_waitcnt lgkmcnt(0)
	v_fmac_f32_e32 v31, v32, v34
	v_cmp_ne_u32_e32 vcc, 2, v0
	s_and_saveexec_b64 s[4:5], vcc
	s_cbranch_execz .LBB28_519
; %bb.516:
	v_add_u32_e32 v32, 7, v0
	v_cmp_eq_u32_e32 vcc, 1, v32
	v_cndmask_b32_e32 v33, v2, v3, vcc
	v_cmp_eq_u32_e32 vcc, 2, v32
	v_cndmask_b32_e32 v33, v33, v4, vcc
	;; [unrolled: 2-line block ×24, first 2 shown]
	v_cmp_eq_u32_e32 vcc, 25, v32
	ds_read_b32 v33, v121 offset:28
	v_cndmask_b32_e32 v11, v11, v27, vcc
	v_cmp_eq_u32_e32 vcc, 26, v32
	v_cndmask_b32_e32 v11, v11, v28, vcc
	v_cmp_eq_u32_e32 vcc, 27, v32
	v_cndmask_b32_e32 v11, v11, v29, vcc
	v_cmp_eq_u32_e32 vcc, 28, v32
	v_cndmask_b32_e32 v11, v11, v30, vcc
	s_waitcnt lgkmcnt(0)
	v_fmac_f32_e32 v31, v11, v33
	s_and_saveexec_b64 s[20:21], s[2:3]
	s_cbranch_execz .LBB28_518
; %bb.517:
	ds_read_b32 v11, v121 offset:32
	s_waitcnt lgkmcnt(0)
	v_fmac_f32_e32 v31, v10, v11
.LBB28_518:
	s_or_b64 exec, exec, s[20:21]
.LBB28_519:
	s_or_b64 exec, exec, s[4:5]
.LBB28_520:
	s_or_b64 exec, exec, s[18:19]
.LBB28_521:
	s_or_b64 exec, exec, s[6:7]
.LBB28_522:
	s_or_b64 exec, exec, s[16:17]
.LBB28_523:
	s_or_b64 exec, exec, s[8:9]
.LBB28_524:
	s_or_b64 exec, exec, s[14:15]
.LBB28_525:
	s_or_b64 exec, exec, s[12:13]
	v_mov_b32_e32 v11, 0
	ds_read_b32 v11, v11 offset:36
	s_waitcnt lgkmcnt(0)
	v_mul_f32_e32 v11, v31, v11
.LBB28_526:
	s_or_b64 exec, exec, s[10:11]
	v_cmp_gt_u32_e32 vcc, 10, v0
	s_waitcnt vmcnt(19)
	ds_write_b32 v121, v12
	s_waitcnt lgkmcnt(0)
	; wave barrier
	s_and_saveexec_b64 s[4:5], vcc
	s_cbranch_execz .LBB28_536
; %bb.527:
	s_and_b64 vcc, exec, s[0:1]
	s_cbranch_vccnz .LBB28_529
; %bb.528:
	v_cmp_eq_u32_e32 vcc, 1, v0
	s_waitcnt vmcnt(4)
	v_cndmask_b32_e32 v31, v2, v3, vcc
	v_cmp_eq_u32_e32 vcc, 2, v0
	v_cndmask_b32_e32 v31, v31, v4, vcc
	v_cmp_eq_u32_e32 vcc, 3, v0
	;; [unrolled: 2-line block ×24, first 2 shown]
	ds_read_b32 v32, v121
	s_waitcnt vmcnt(3)
	v_cndmask_b32_e32 v31, v31, v27, vcc
	v_cmp_eq_u32_e32 vcc, 26, v0
	s_waitcnt vmcnt(2)
	v_cndmask_b32_e32 v31, v31, v28, vcc
	v_cmp_eq_u32_e32 vcc, 27, v0
	;; [unrolled: 3-line block ×3, first 2 shown]
	s_waitcnt vmcnt(0)
	v_cndmask_b32_e32 v31, v31, v30, vcc
	s_waitcnt lgkmcnt(0)
	v_mul_f32_e32 v33, v31, v32
	s_cbranch_execz .LBB28_530
	s_branch .LBB28_531
.LBB28_529:
                                        ; implicit-def: $vgpr33
.LBB28_530:
	ds_read_b32 v33, v121
.LBB28_531:
	v_cmp_ne_u32_e32 vcc, 9, v0
	s_and_saveexec_b64 s[6:7], vcc
	s_cbranch_execz .LBB28_535
; %bb.532:
	v_mov_b32_e32 v31, 0x84
	v_lshl_add_u32 v34, v0, 2, v31
	v_mov_b32_e32 v32, v1
	s_mov_b64 s[8:9], 0
	v_mov_b32_e32 v31, v0
.LBB28_533:                             ; =>This Inner Loop Header: Depth=1
	v_add_co_u32_e32 v31, vcc, 1, v31
	v_addc_co_u32_e32 v32, vcc, 0, v32, vcc
	v_cmp_eq_u32_e32 vcc, 1, v31
	s_waitcnt vmcnt(4)
	v_cndmask_b32_e32 v36, v2, v3, vcc
	v_cmp_lt_u32_e32 vcc, 8, v31
	v_cmp_eq_u32_e64 s[2:3], 2, v31
	v_cndmask_b32_e64 v36, v36, v4, s[2:3]
	s_or_b64 s[8:9], vcc, s[8:9]
	v_cmp_eq_u32_e32 vcc, 3, v31
	v_cndmask_b32_e32 v36, v36, v5, vcc
	v_cmp_eq_u32_e32 vcc, 4, v31
	v_cndmask_b32_e32 v36, v36, v6, vcc
	v_cmp_eq_u32_e32 vcc, 5, v31
	v_cndmask_b32_e32 v36, v36, v7, vcc
	v_cmp_eq_u32_e32 vcc, 6, v31
	v_cndmask_b32_e32 v36, v36, v8, vcc
	v_cmp_eq_u32_e32 vcc, 7, v31
	v_cndmask_b32_e32 v36, v36, v9, vcc
	v_cmp_eq_u32_e32 vcc, 8, v31
	v_cndmask_b32_e32 v36, v36, v10, vcc
	v_cmp_eq_u32_e32 vcc, 9, v31
	v_cndmask_b32_e32 v36, v36, v11, vcc
	v_cmp_eq_u32_e32 vcc, 10, v31
	v_cndmask_b32_e32 v36, v36, v12, vcc
	v_cmp_eq_u32_e32 vcc, 11, v31
	v_cndmask_b32_e32 v36, v36, v13, vcc
	v_cmp_eq_u32_e32 vcc, 12, v31
	v_cndmask_b32_e32 v36, v36, v14, vcc
	v_cmp_eq_u32_e32 vcc, 13, v31
	v_cndmask_b32_e32 v36, v36, v15, vcc
	v_cmp_eq_u32_e32 vcc, 14, v31
	v_cndmask_b32_e32 v36, v36, v16, vcc
	v_cmp_eq_u32_e32 vcc, 15, v31
	v_cndmask_b32_e32 v36, v36, v17, vcc
	v_cmp_eq_u32_e32 vcc, 16, v31
	v_cndmask_b32_e32 v36, v36, v18, vcc
	v_cmp_eq_u32_e32 vcc, 17, v31
	v_cndmask_b32_e32 v36, v36, v19, vcc
	v_cmp_eq_u32_e32 vcc, 18, v31
	v_cndmask_b32_e32 v36, v36, v20, vcc
	v_cmp_eq_u32_e32 vcc, 19, v31
	v_cndmask_b32_e32 v36, v36, v21, vcc
	v_cmp_eq_u32_e32 vcc, 20, v31
	v_cndmask_b32_e32 v36, v36, v22, vcc
	v_cmp_eq_u32_e32 vcc, 21, v31
	v_cndmask_b32_e32 v36, v36, v23, vcc
	v_cmp_eq_u32_e32 vcc, 22, v31
	v_cndmask_b32_e32 v36, v36, v24, vcc
	v_cmp_eq_u32_e32 vcc, 23, v31
	v_cndmask_b32_e32 v36, v36, v25, vcc
	v_cmp_eq_u32_e32 vcc, 24, v31
	ds_read_b32 v35, v34
	v_cndmask_b32_e32 v36, v36, v26, vcc
	v_cmp_eq_u32_e32 vcc, 25, v31
	s_waitcnt vmcnt(3)
	v_cndmask_b32_e32 v36, v36, v27, vcc
	v_cmp_eq_u32_e32 vcc, 26, v31
	s_waitcnt vmcnt(2)
	;; [unrolled: 3-line block ×4, first 2 shown]
	v_cndmask_b32_e32 v36, v36, v30, vcc
	v_add_u32_e32 v34, 4, v34
	s_waitcnt lgkmcnt(0)
	v_fmac_f32_e32 v33, v36, v35
	s_andn2_b64 exec, exec, s[8:9]
	s_cbranch_execnz .LBB28_533
; %bb.534:
	s_or_b64 exec, exec, s[8:9]
.LBB28_535:
	s_or_b64 exec, exec, s[6:7]
	v_mov_b32_e32 v12, 0
	ds_read_b32 v12, v12 offset:40
	s_waitcnt lgkmcnt(0)
	v_mul_f32_e32 v12, v33, v12
.LBB28_536:
	s_or_b64 exec, exec, s[4:5]
	v_cmp_gt_u32_e32 vcc, 11, v0
	s_waitcnt vmcnt(18)
	ds_write_b32 v121, v13
	s_waitcnt lgkmcnt(0)
	; wave barrier
	s_and_saveexec_b64 s[4:5], vcc
	s_cbranch_execz .LBB28_546
; %bb.537:
	s_and_b64 vcc, exec, s[0:1]
	s_cbranch_vccnz .LBB28_539
; %bb.538:
	v_cmp_eq_u32_e32 vcc, 1, v0
	s_waitcnt vmcnt(4)
	v_cndmask_b32_e32 v31, v2, v3, vcc
	v_cmp_eq_u32_e32 vcc, 2, v0
	v_cndmask_b32_e32 v31, v31, v4, vcc
	v_cmp_eq_u32_e32 vcc, 3, v0
	;; [unrolled: 2-line block ×24, first 2 shown]
	ds_read_b32 v32, v121
	s_waitcnt vmcnt(3)
	v_cndmask_b32_e32 v31, v31, v27, vcc
	v_cmp_eq_u32_e32 vcc, 26, v0
	s_waitcnt vmcnt(2)
	v_cndmask_b32_e32 v31, v31, v28, vcc
	v_cmp_eq_u32_e32 vcc, 27, v0
	;; [unrolled: 3-line block ×3, first 2 shown]
	s_waitcnt vmcnt(0)
	v_cndmask_b32_e32 v31, v31, v30, vcc
	s_waitcnt lgkmcnt(0)
	v_mul_f32_e32 v33, v31, v32
	s_cbranch_execz .LBB28_540
	s_branch .LBB28_541
.LBB28_539:
                                        ; implicit-def: $vgpr33
.LBB28_540:
	ds_read_b32 v33, v121
.LBB28_541:
	v_cmp_ne_u32_e32 vcc, 10, v0
	s_and_saveexec_b64 s[6:7], vcc
	s_cbranch_execz .LBB28_545
; %bb.542:
	v_mov_b32_e32 v31, 0x84
	v_lshl_add_u32 v34, v0, 2, v31
	v_mov_b32_e32 v32, v1
	s_mov_b64 s[8:9], 0
	v_mov_b32_e32 v31, v0
.LBB28_543:                             ; =>This Inner Loop Header: Depth=1
	v_add_co_u32_e32 v31, vcc, 1, v31
	v_addc_co_u32_e32 v32, vcc, 0, v32, vcc
	v_cmp_eq_u32_e32 vcc, 1, v31
	s_waitcnt vmcnt(4)
	v_cndmask_b32_e32 v36, v2, v3, vcc
	v_cmp_lt_u32_e32 vcc, 9, v31
	v_cmp_eq_u32_e64 s[2:3], 2, v31
	v_cndmask_b32_e64 v36, v36, v4, s[2:3]
	s_or_b64 s[8:9], vcc, s[8:9]
	v_cmp_eq_u32_e32 vcc, 3, v31
	v_cndmask_b32_e32 v36, v36, v5, vcc
	v_cmp_eq_u32_e32 vcc, 4, v31
	v_cndmask_b32_e32 v36, v36, v6, vcc
	;; [unrolled: 2-line block ×21, first 2 shown]
	v_cmp_eq_u32_e32 vcc, 24, v31
	ds_read_b32 v35, v34
	v_cndmask_b32_e32 v36, v36, v26, vcc
	v_cmp_eq_u32_e32 vcc, 25, v31
	s_waitcnt vmcnt(3)
	v_cndmask_b32_e32 v36, v36, v27, vcc
	v_cmp_eq_u32_e32 vcc, 26, v31
	s_waitcnt vmcnt(2)
	;; [unrolled: 3-line block ×4, first 2 shown]
	v_cndmask_b32_e32 v36, v36, v30, vcc
	v_add_u32_e32 v34, 4, v34
	s_waitcnt lgkmcnt(0)
	v_fmac_f32_e32 v33, v36, v35
	s_andn2_b64 exec, exec, s[8:9]
	s_cbranch_execnz .LBB28_543
; %bb.544:
	s_or_b64 exec, exec, s[8:9]
.LBB28_545:
	s_or_b64 exec, exec, s[6:7]
	v_mov_b32_e32 v13, 0
	ds_read_b32 v13, v13 offset:44
	s_waitcnt lgkmcnt(0)
	v_mul_f32_e32 v13, v33, v13
.LBB28_546:
	s_or_b64 exec, exec, s[4:5]
	v_cmp_gt_u32_e32 vcc, 12, v0
	s_waitcnt vmcnt(17)
	ds_write_b32 v121, v14
	s_waitcnt lgkmcnt(0)
	; wave barrier
	s_and_saveexec_b64 s[4:5], vcc
	s_cbranch_execz .LBB28_556
; %bb.547:
	s_and_b64 vcc, exec, s[0:1]
	s_cbranch_vccnz .LBB28_549
; %bb.548:
	v_cmp_eq_u32_e32 vcc, 1, v0
	s_waitcnt vmcnt(4)
	v_cndmask_b32_e32 v31, v2, v3, vcc
	v_cmp_eq_u32_e32 vcc, 2, v0
	v_cndmask_b32_e32 v31, v31, v4, vcc
	v_cmp_eq_u32_e32 vcc, 3, v0
	;; [unrolled: 2-line block ×24, first 2 shown]
	ds_read_b32 v32, v121
	s_waitcnt vmcnt(3)
	v_cndmask_b32_e32 v31, v31, v27, vcc
	v_cmp_eq_u32_e32 vcc, 26, v0
	s_waitcnt vmcnt(2)
	v_cndmask_b32_e32 v31, v31, v28, vcc
	v_cmp_eq_u32_e32 vcc, 27, v0
	;; [unrolled: 3-line block ×3, first 2 shown]
	s_waitcnt vmcnt(0)
	v_cndmask_b32_e32 v31, v31, v30, vcc
	s_waitcnt lgkmcnt(0)
	v_mul_f32_e32 v33, v31, v32
	s_cbranch_execz .LBB28_550
	s_branch .LBB28_551
.LBB28_549:
                                        ; implicit-def: $vgpr33
.LBB28_550:
	ds_read_b32 v33, v121
.LBB28_551:
	v_cmp_ne_u32_e32 vcc, 11, v0
	s_and_saveexec_b64 s[6:7], vcc
	s_cbranch_execz .LBB28_555
; %bb.552:
	v_mov_b32_e32 v31, 0x84
	v_lshl_add_u32 v34, v0, 2, v31
	v_mov_b32_e32 v32, v1
	s_mov_b64 s[8:9], 0
	v_mov_b32_e32 v31, v0
.LBB28_553:                             ; =>This Inner Loop Header: Depth=1
	v_add_co_u32_e32 v31, vcc, 1, v31
	v_addc_co_u32_e32 v32, vcc, 0, v32, vcc
	v_cmp_eq_u32_e32 vcc, 1, v31
	s_waitcnt vmcnt(4)
	v_cndmask_b32_e32 v36, v2, v3, vcc
	v_cmp_lt_u32_e32 vcc, 10, v31
	v_cmp_eq_u32_e64 s[2:3], 2, v31
	v_cndmask_b32_e64 v36, v36, v4, s[2:3]
	s_or_b64 s[8:9], vcc, s[8:9]
	v_cmp_eq_u32_e32 vcc, 3, v31
	v_cndmask_b32_e32 v36, v36, v5, vcc
	v_cmp_eq_u32_e32 vcc, 4, v31
	v_cndmask_b32_e32 v36, v36, v6, vcc
	;; [unrolled: 2-line block ×21, first 2 shown]
	v_cmp_eq_u32_e32 vcc, 24, v31
	ds_read_b32 v35, v34
	v_cndmask_b32_e32 v36, v36, v26, vcc
	v_cmp_eq_u32_e32 vcc, 25, v31
	s_waitcnt vmcnt(3)
	v_cndmask_b32_e32 v36, v36, v27, vcc
	v_cmp_eq_u32_e32 vcc, 26, v31
	s_waitcnt vmcnt(2)
	v_cndmask_b32_e32 v36, v36, v28, vcc
	v_cmp_eq_u32_e32 vcc, 27, v31
	s_waitcnt vmcnt(1)
	v_cndmask_b32_e32 v36, v36, v29, vcc
	v_cmp_eq_u32_e32 vcc, 28, v31
	s_waitcnt vmcnt(0)
	v_cndmask_b32_e32 v36, v36, v30, vcc
	v_add_u32_e32 v34, 4, v34
	s_waitcnt lgkmcnt(0)
	v_fmac_f32_e32 v33, v36, v35
	s_andn2_b64 exec, exec, s[8:9]
	s_cbranch_execnz .LBB28_553
; %bb.554:
	s_or_b64 exec, exec, s[8:9]
.LBB28_555:
	s_or_b64 exec, exec, s[6:7]
	v_mov_b32_e32 v14, 0
	ds_read_b32 v14, v14 offset:48
	s_waitcnt lgkmcnt(0)
	v_mul_f32_e32 v14, v33, v14
.LBB28_556:
	s_or_b64 exec, exec, s[4:5]
	v_cmp_gt_u32_e32 vcc, 13, v0
	s_waitcnt vmcnt(16)
	ds_write_b32 v121, v15
	s_waitcnt lgkmcnt(0)
	; wave barrier
	s_and_saveexec_b64 s[4:5], vcc
	s_cbranch_execz .LBB28_566
; %bb.557:
	s_and_b64 vcc, exec, s[0:1]
	s_cbranch_vccnz .LBB28_559
; %bb.558:
	v_cmp_eq_u32_e32 vcc, 1, v0
	s_waitcnt vmcnt(4)
	v_cndmask_b32_e32 v31, v2, v3, vcc
	v_cmp_eq_u32_e32 vcc, 2, v0
	v_cndmask_b32_e32 v31, v31, v4, vcc
	v_cmp_eq_u32_e32 vcc, 3, v0
	;; [unrolled: 2-line block ×24, first 2 shown]
	ds_read_b32 v32, v121
	s_waitcnt vmcnt(3)
	v_cndmask_b32_e32 v31, v31, v27, vcc
	v_cmp_eq_u32_e32 vcc, 26, v0
	s_waitcnt vmcnt(2)
	v_cndmask_b32_e32 v31, v31, v28, vcc
	v_cmp_eq_u32_e32 vcc, 27, v0
	;; [unrolled: 3-line block ×3, first 2 shown]
	s_waitcnt vmcnt(0)
	v_cndmask_b32_e32 v31, v31, v30, vcc
	s_waitcnt lgkmcnt(0)
	v_mul_f32_e32 v33, v31, v32
	s_cbranch_execz .LBB28_560
	s_branch .LBB28_561
.LBB28_559:
                                        ; implicit-def: $vgpr33
.LBB28_560:
	ds_read_b32 v33, v121
.LBB28_561:
	v_cmp_ne_u32_e32 vcc, 12, v0
	s_and_saveexec_b64 s[6:7], vcc
	s_cbranch_execz .LBB28_565
; %bb.562:
	v_mov_b32_e32 v31, 0x84
	v_lshl_add_u32 v34, v0, 2, v31
	v_mov_b32_e32 v32, v1
	s_mov_b64 s[8:9], 0
	v_mov_b32_e32 v31, v0
.LBB28_563:                             ; =>This Inner Loop Header: Depth=1
	v_add_co_u32_e32 v31, vcc, 1, v31
	v_addc_co_u32_e32 v32, vcc, 0, v32, vcc
	v_cmp_eq_u32_e32 vcc, 1, v31
	s_waitcnt vmcnt(4)
	v_cndmask_b32_e32 v36, v2, v3, vcc
	v_cmp_lt_u32_e32 vcc, 11, v31
	v_cmp_eq_u32_e64 s[2:3], 2, v31
	v_cndmask_b32_e64 v36, v36, v4, s[2:3]
	s_or_b64 s[8:9], vcc, s[8:9]
	v_cmp_eq_u32_e32 vcc, 3, v31
	v_cndmask_b32_e32 v36, v36, v5, vcc
	v_cmp_eq_u32_e32 vcc, 4, v31
	v_cndmask_b32_e32 v36, v36, v6, vcc
	;; [unrolled: 2-line block ×21, first 2 shown]
	v_cmp_eq_u32_e32 vcc, 24, v31
	ds_read_b32 v35, v34
	v_cndmask_b32_e32 v36, v36, v26, vcc
	v_cmp_eq_u32_e32 vcc, 25, v31
	s_waitcnt vmcnt(3)
	v_cndmask_b32_e32 v36, v36, v27, vcc
	v_cmp_eq_u32_e32 vcc, 26, v31
	s_waitcnt vmcnt(2)
	;; [unrolled: 3-line block ×4, first 2 shown]
	v_cndmask_b32_e32 v36, v36, v30, vcc
	v_add_u32_e32 v34, 4, v34
	s_waitcnt lgkmcnt(0)
	v_fmac_f32_e32 v33, v36, v35
	s_andn2_b64 exec, exec, s[8:9]
	s_cbranch_execnz .LBB28_563
; %bb.564:
	s_or_b64 exec, exec, s[8:9]
.LBB28_565:
	s_or_b64 exec, exec, s[6:7]
	v_mov_b32_e32 v15, 0
	ds_read_b32 v15, v15 offset:52
	s_waitcnt lgkmcnt(0)
	v_mul_f32_e32 v15, v33, v15
.LBB28_566:
	s_or_b64 exec, exec, s[4:5]
	v_cmp_gt_u32_e32 vcc, 14, v0
	s_waitcnt vmcnt(15)
	ds_write_b32 v121, v16
	s_waitcnt lgkmcnt(0)
	; wave barrier
	s_and_saveexec_b64 s[4:5], vcc
	s_cbranch_execz .LBB28_576
; %bb.567:
	s_and_b64 vcc, exec, s[0:1]
	s_cbranch_vccnz .LBB28_569
; %bb.568:
	v_cmp_eq_u32_e32 vcc, 1, v0
	s_waitcnt vmcnt(4)
	v_cndmask_b32_e32 v31, v2, v3, vcc
	v_cmp_eq_u32_e32 vcc, 2, v0
	v_cndmask_b32_e32 v31, v31, v4, vcc
	v_cmp_eq_u32_e32 vcc, 3, v0
	;; [unrolled: 2-line block ×24, first 2 shown]
	ds_read_b32 v32, v121
	s_waitcnt vmcnt(3)
	v_cndmask_b32_e32 v31, v31, v27, vcc
	v_cmp_eq_u32_e32 vcc, 26, v0
	s_waitcnt vmcnt(2)
	v_cndmask_b32_e32 v31, v31, v28, vcc
	v_cmp_eq_u32_e32 vcc, 27, v0
	s_waitcnt vmcnt(1)
	v_cndmask_b32_e32 v31, v31, v29, vcc
	v_cmp_eq_u32_e32 vcc, 28, v0
	s_waitcnt vmcnt(0)
	v_cndmask_b32_e32 v31, v31, v30, vcc
	s_waitcnt lgkmcnt(0)
	v_mul_f32_e32 v33, v31, v32
	s_cbranch_execz .LBB28_570
	s_branch .LBB28_571
.LBB28_569:
                                        ; implicit-def: $vgpr33
.LBB28_570:
	ds_read_b32 v33, v121
.LBB28_571:
	v_cmp_ne_u32_e32 vcc, 13, v0
	s_and_saveexec_b64 s[6:7], vcc
	s_cbranch_execz .LBB28_575
; %bb.572:
	v_mov_b32_e32 v31, 0x84
	v_lshl_add_u32 v34, v0, 2, v31
	v_mov_b32_e32 v32, v1
	s_mov_b64 s[8:9], 0
	v_mov_b32_e32 v31, v0
.LBB28_573:                             ; =>This Inner Loop Header: Depth=1
	v_add_co_u32_e32 v31, vcc, 1, v31
	v_addc_co_u32_e32 v32, vcc, 0, v32, vcc
	v_cmp_eq_u32_e32 vcc, 1, v31
	s_waitcnt vmcnt(4)
	v_cndmask_b32_e32 v36, v2, v3, vcc
	v_cmp_lt_u32_e32 vcc, 12, v31
	v_cmp_eq_u32_e64 s[2:3], 2, v31
	v_cndmask_b32_e64 v36, v36, v4, s[2:3]
	s_or_b64 s[8:9], vcc, s[8:9]
	v_cmp_eq_u32_e32 vcc, 3, v31
	v_cndmask_b32_e32 v36, v36, v5, vcc
	v_cmp_eq_u32_e32 vcc, 4, v31
	v_cndmask_b32_e32 v36, v36, v6, vcc
	;; [unrolled: 2-line block ×21, first 2 shown]
	v_cmp_eq_u32_e32 vcc, 24, v31
	ds_read_b32 v35, v34
	v_cndmask_b32_e32 v36, v36, v26, vcc
	v_cmp_eq_u32_e32 vcc, 25, v31
	s_waitcnt vmcnt(3)
	v_cndmask_b32_e32 v36, v36, v27, vcc
	v_cmp_eq_u32_e32 vcc, 26, v31
	s_waitcnt vmcnt(2)
	;; [unrolled: 3-line block ×4, first 2 shown]
	v_cndmask_b32_e32 v36, v36, v30, vcc
	v_add_u32_e32 v34, 4, v34
	s_waitcnt lgkmcnt(0)
	v_fmac_f32_e32 v33, v36, v35
	s_andn2_b64 exec, exec, s[8:9]
	s_cbranch_execnz .LBB28_573
; %bb.574:
	s_or_b64 exec, exec, s[8:9]
.LBB28_575:
	s_or_b64 exec, exec, s[6:7]
	v_mov_b32_e32 v16, 0
	ds_read_b32 v16, v16 offset:56
	s_waitcnt lgkmcnt(0)
	v_mul_f32_e32 v16, v33, v16
.LBB28_576:
	s_or_b64 exec, exec, s[4:5]
	v_cmp_gt_u32_e32 vcc, 15, v0
	s_waitcnt vmcnt(14)
	ds_write_b32 v121, v17
	s_waitcnt lgkmcnt(0)
	; wave barrier
	s_and_saveexec_b64 s[4:5], vcc
	s_cbranch_execz .LBB28_586
; %bb.577:
	s_and_b64 vcc, exec, s[0:1]
	s_cbranch_vccnz .LBB28_579
; %bb.578:
	v_cmp_eq_u32_e32 vcc, 1, v0
	s_waitcnt vmcnt(4)
	v_cndmask_b32_e32 v31, v2, v3, vcc
	v_cmp_eq_u32_e32 vcc, 2, v0
	v_cndmask_b32_e32 v31, v31, v4, vcc
	v_cmp_eq_u32_e32 vcc, 3, v0
	;; [unrolled: 2-line block ×24, first 2 shown]
	ds_read_b32 v32, v121
	s_waitcnt vmcnt(3)
	v_cndmask_b32_e32 v31, v31, v27, vcc
	v_cmp_eq_u32_e32 vcc, 26, v0
	s_waitcnt vmcnt(2)
	v_cndmask_b32_e32 v31, v31, v28, vcc
	v_cmp_eq_u32_e32 vcc, 27, v0
	s_waitcnt vmcnt(1)
	v_cndmask_b32_e32 v31, v31, v29, vcc
	v_cmp_eq_u32_e32 vcc, 28, v0
	s_waitcnt vmcnt(0)
	v_cndmask_b32_e32 v31, v31, v30, vcc
	s_waitcnt lgkmcnt(0)
	v_mul_f32_e32 v33, v31, v32
	s_cbranch_execz .LBB28_580
	s_branch .LBB28_581
.LBB28_579:
                                        ; implicit-def: $vgpr33
.LBB28_580:
	ds_read_b32 v33, v121
.LBB28_581:
	v_cmp_ne_u32_e32 vcc, 14, v0
	s_and_saveexec_b64 s[6:7], vcc
	s_cbranch_execz .LBB28_585
; %bb.582:
	v_mov_b32_e32 v31, 0x84
	v_lshl_add_u32 v34, v0, 2, v31
	v_mov_b32_e32 v32, v1
	s_mov_b64 s[8:9], 0
	v_mov_b32_e32 v31, v0
.LBB28_583:                             ; =>This Inner Loop Header: Depth=1
	v_add_co_u32_e32 v31, vcc, 1, v31
	v_addc_co_u32_e32 v32, vcc, 0, v32, vcc
	v_cmp_eq_u32_e32 vcc, 1, v31
	s_waitcnt vmcnt(4)
	v_cndmask_b32_e32 v36, v2, v3, vcc
	v_cmp_lt_u32_e32 vcc, 13, v31
	v_cmp_eq_u32_e64 s[2:3], 2, v31
	v_cndmask_b32_e64 v36, v36, v4, s[2:3]
	s_or_b64 s[8:9], vcc, s[8:9]
	v_cmp_eq_u32_e32 vcc, 3, v31
	v_cndmask_b32_e32 v36, v36, v5, vcc
	v_cmp_eq_u32_e32 vcc, 4, v31
	v_cndmask_b32_e32 v36, v36, v6, vcc
	;; [unrolled: 2-line block ×21, first 2 shown]
	v_cmp_eq_u32_e32 vcc, 24, v31
	ds_read_b32 v35, v34
	v_cndmask_b32_e32 v36, v36, v26, vcc
	v_cmp_eq_u32_e32 vcc, 25, v31
	s_waitcnt vmcnt(3)
	v_cndmask_b32_e32 v36, v36, v27, vcc
	v_cmp_eq_u32_e32 vcc, 26, v31
	s_waitcnt vmcnt(2)
	;; [unrolled: 3-line block ×4, first 2 shown]
	v_cndmask_b32_e32 v36, v36, v30, vcc
	v_add_u32_e32 v34, 4, v34
	s_waitcnt lgkmcnt(0)
	v_fmac_f32_e32 v33, v36, v35
	s_andn2_b64 exec, exec, s[8:9]
	s_cbranch_execnz .LBB28_583
; %bb.584:
	s_or_b64 exec, exec, s[8:9]
.LBB28_585:
	s_or_b64 exec, exec, s[6:7]
	v_mov_b32_e32 v17, 0
	ds_read_b32 v17, v17 offset:60
	s_waitcnt lgkmcnt(0)
	v_mul_f32_e32 v17, v33, v17
.LBB28_586:
	s_or_b64 exec, exec, s[4:5]
	v_cmp_gt_u32_e32 vcc, 16, v0
	s_waitcnt vmcnt(13)
	ds_write_b32 v121, v18
	s_waitcnt lgkmcnt(0)
	; wave barrier
	s_and_saveexec_b64 s[4:5], vcc
	s_cbranch_execz .LBB28_596
; %bb.587:
	s_and_b64 vcc, exec, s[0:1]
	s_cbranch_vccnz .LBB28_589
; %bb.588:
	v_cmp_eq_u32_e32 vcc, 1, v0
	s_waitcnt vmcnt(4)
	v_cndmask_b32_e32 v31, v2, v3, vcc
	v_cmp_eq_u32_e32 vcc, 2, v0
	v_cndmask_b32_e32 v31, v31, v4, vcc
	v_cmp_eq_u32_e32 vcc, 3, v0
	v_cndmask_b32_e32 v31, v31, v5, vcc
	v_cmp_eq_u32_e32 vcc, 4, v0
	v_cndmask_b32_e32 v31, v31, v6, vcc
	v_cmp_eq_u32_e32 vcc, 5, v0
	v_cndmask_b32_e32 v31, v31, v7, vcc
	v_cmp_eq_u32_e32 vcc, 6, v0
	v_cndmask_b32_e32 v31, v31, v8, vcc
	v_cmp_eq_u32_e32 vcc, 7, v0
	v_cndmask_b32_e32 v31, v31, v9, vcc
	v_cmp_eq_u32_e32 vcc, 8, v0
	v_cndmask_b32_e32 v31, v31, v10, vcc
	v_cmp_eq_u32_e32 vcc, 9, v0
	v_cndmask_b32_e32 v31, v31, v11, vcc
	v_cmp_eq_u32_e32 vcc, 10, v0
	v_cndmask_b32_e32 v31, v31, v12, vcc
	v_cmp_eq_u32_e32 vcc, 11, v0
	v_cndmask_b32_e32 v31, v31, v13, vcc
	v_cmp_eq_u32_e32 vcc, 12, v0
	v_cndmask_b32_e32 v31, v31, v14, vcc
	v_cmp_eq_u32_e32 vcc, 13, v0
	v_cndmask_b32_e32 v31, v31, v15, vcc
	v_cmp_eq_u32_e32 vcc, 14, v0
	v_cndmask_b32_e32 v31, v31, v16, vcc
	v_cmp_eq_u32_e32 vcc, 15, v0
	v_cndmask_b32_e32 v31, v31, v17, vcc
	v_cmp_eq_u32_e32 vcc, 16, v0
	v_cndmask_b32_e32 v31, v31, v18, vcc
	v_cmp_eq_u32_e32 vcc, 17, v0
	v_cndmask_b32_e32 v31, v31, v19, vcc
	v_cmp_eq_u32_e32 vcc, 18, v0
	v_cndmask_b32_e32 v31, v31, v20, vcc
	v_cmp_eq_u32_e32 vcc, 19, v0
	v_cndmask_b32_e32 v31, v31, v21, vcc
	v_cmp_eq_u32_e32 vcc, 20, v0
	v_cndmask_b32_e32 v31, v31, v22, vcc
	v_cmp_eq_u32_e32 vcc, 21, v0
	v_cndmask_b32_e32 v31, v31, v23, vcc
	v_cmp_eq_u32_e32 vcc, 22, v0
	v_cndmask_b32_e32 v31, v31, v24, vcc
	v_cmp_eq_u32_e32 vcc, 23, v0
	v_cndmask_b32_e32 v31, v31, v25, vcc
	v_cmp_eq_u32_e32 vcc, 24, v0
	v_cndmask_b32_e32 v31, v31, v26, vcc
	v_cmp_eq_u32_e32 vcc, 25, v0
	ds_read_b32 v32, v121
	s_waitcnt vmcnt(3)
	v_cndmask_b32_e32 v31, v31, v27, vcc
	v_cmp_eq_u32_e32 vcc, 26, v0
	s_waitcnt vmcnt(2)
	v_cndmask_b32_e32 v31, v31, v28, vcc
	v_cmp_eq_u32_e32 vcc, 27, v0
	;; [unrolled: 3-line block ×3, first 2 shown]
	s_waitcnt vmcnt(0)
	v_cndmask_b32_e32 v31, v31, v30, vcc
	s_waitcnt lgkmcnt(0)
	v_mul_f32_e32 v33, v31, v32
	s_cbranch_execz .LBB28_590
	s_branch .LBB28_591
.LBB28_589:
                                        ; implicit-def: $vgpr33
.LBB28_590:
	ds_read_b32 v33, v121
.LBB28_591:
	v_cmp_ne_u32_e32 vcc, 15, v0
	s_and_saveexec_b64 s[6:7], vcc
	s_cbranch_execz .LBB28_595
; %bb.592:
	v_mov_b32_e32 v31, 0x84
	v_lshl_add_u32 v34, v0, 2, v31
	v_mov_b32_e32 v32, v1
	s_mov_b64 s[8:9], 0
	v_mov_b32_e32 v31, v0
.LBB28_593:                             ; =>This Inner Loop Header: Depth=1
	v_add_co_u32_e32 v31, vcc, 1, v31
	v_addc_co_u32_e32 v32, vcc, 0, v32, vcc
	v_cmp_eq_u32_e32 vcc, 1, v31
	s_waitcnt vmcnt(4)
	v_cndmask_b32_e32 v36, v2, v3, vcc
	v_cmp_lt_u32_e32 vcc, 14, v31
	v_cmp_eq_u32_e64 s[2:3], 2, v31
	v_cndmask_b32_e64 v36, v36, v4, s[2:3]
	s_or_b64 s[8:9], vcc, s[8:9]
	v_cmp_eq_u32_e32 vcc, 3, v31
	v_cndmask_b32_e32 v36, v36, v5, vcc
	v_cmp_eq_u32_e32 vcc, 4, v31
	v_cndmask_b32_e32 v36, v36, v6, vcc
	;; [unrolled: 2-line block ×21, first 2 shown]
	v_cmp_eq_u32_e32 vcc, 24, v31
	ds_read_b32 v35, v34
	v_cndmask_b32_e32 v36, v36, v26, vcc
	v_cmp_eq_u32_e32 vcc, 25, v31
	s_waitcnt vmcnt(3)
	v_cndmask_b32_e32 v36, v36, v27, vcc
	v_cmp_eq_u32_e32 vcc, 26, v31
	s_waitcnt vmcnt(2)
	;; [unrolled: 3-line block ×4, first 2 shown]
	v_cndmask_b32_e32 v36, v36, v30, vcc
	v_add_u32_e32 v34, 4, v34
	s_waitcnt lgkmcnt(0)
	v_fmac_f32_e32 v33, v36, v35
	s_andn2_b64 exec, exec, s[8:9]
	s_cbranch_execnz .LBB28_593
; %bb.594:
	s_or_b64 exec, exec, s[8:9]
.LBB28_595:
	s_or_b64 exec, exec, s[6:7]
	v_mov_b32_e32 v18, 0
	ds_read_b32 v18, v18 offset:64
	s_waitcnt lgkmcnt(0)
	v_mul_f32_e32 v18, v33, v18
.LBB28_596:
	s_or_b64 exec, exec, s[4:5]
	v_cmp_gt_u32_e32 vcc, 17, v0
	s_waitcnt vmcnt(12)
	ds_write_b32 v121, v19
	s_waitcnt lgkmcnt(0)
	; wave barrier
	s_and_saveexec_b64 s[4:5], vcc
	s_cbranch_execz .LBB28_606
; %bb.597:
	s_and_b64 vcc, exec, s[0:1]
	s_cbranch_vccnz .LBB28_599
; %bb.598:
	v_cmp_eq_u32_e32 vcc, 1, v0
	s_waitcnt vmcnt(4)
	v_cndmask_b32_e32 v31, v2, v3, vcc
	v_cmp_eq_u32_e32 vcc, 2, v0
	v_cndmask_b32_e32 v31, v31, v4, vcc
	v_cmp_eq_u32_e32 vcc, 3, v0
	;; [unrolled: 2-line block ×24, first 2 shown]
	ds_read_b32 v32, v121
	s_waitcnt vmcnt(3)
	v_cndmask_b32_e32 v31, v31, v27, vcc
	v_cmp_eq_u32_e32 vcc, 26, v0
	s_waitcnt vmcnt(2)
	v_cndmask_b32_e32 v31, v31, v28, vcc
	v_cmp_eq_u32_e32 vcc, 27, v0
	;; [unrolled: 3-line block ×3, first 2 shown]
	s_waitcnt vmcnt(0)
	v_cndmask_b32_e32 v31, v31, v30, vcc
	s_waitcnt lgkmcnt(0)
	v_mul_f32_e32 v33, v31, v32
	s_cbranch_execz .LBB28_600
	s_branch .LBB28_601
.LBB28_599:
                                        ; implicit-def: $vgpr33
.LBB28_600:
	ds_read_b32 v33, v121
.LBB28_601:
	v_cmp_ne_u32_e32 vcc, 16, v0
	s_and_saveexec_b64 s[6:7], vcc
	s_cbranch_execz .LBB28_605
; %bb.602:
	v_mov_b32_e32 v31, 0x84
	v_lshl_add_u32 v34, v0, 2, v31
	v_mov_b32_e32 v32, v1
	s_mov_b64 s[8:9], 0
	v_mov_b32_e32 v31, v0
.LBB28_603:                             ; =>This Inner Loop Header: Depth=1
	v_add_co_u32_e32 v31, vcc, 1, v31
	v_addc_co_u32_e32 v32, vcc, 0, v32, vcc
	v_cmp_eq_u32_e32 vcc, 1, v31
	s_waitcnt vmcnt(4)
	v_cndmask_b32_e32 v36, v2, v3, vcc
	v_cmp_lt_u32_e32 vcc, 15, v31
	v_cmp_eq_u32_e64 s[2:3], 2, v31
	v_cndmask_b32_e64 v36, v36, v4, s[2:3]
	s_or_b64 s[8:9], vcc, s[8:9]
	v_cmp_eq_u32_e32 vcc, 3, v31
	v_cndmask_b32_e32 v36, v36, v5, vcc
	v_cmp_eq_u32_e32 vcc, 4, v31
	v_cndmask_b32_e32 v36, v36, v6, vcc
	v_cmp_eq_u32_e32 vcc, 5, v31
	v_cndmask_b32_e32 v36, v36, v7, vcc
	v_cmp_eq_u32_e32 vcc, 6, v31
	v_cndmask_b32_e32 v36, v36, v8, vcc
	v_cmp_eq_u32_e32 vcc, 7, v31
	v_cndmask_b32_e32 v36, v36, v9, vcc
	v_cmp_eq_u32_e32 vcc, 8, v31
	v_cndmask_b32_e32 v36, v36, v10, vcc
	v_cmp_eq_u32_e32 vcc, 9, v31
	v_cndmask_b32_e32 v36, v36, v11, vcc
	v_cmp_eq_u32_e32 vcc, 10, v31
	v_cndmask_b32_e32 v36, v36, v12, vcc
	v_cmp_eq_u32_e32 vcc, 11, v31
	v_cndmask_b32_e32 v36, v36, v13, vcc
	v_cmp_eq_u32_e32 vcc, 12, v31
	v_cndmask_b32_e32 v36, v36, v14, vcc
	v_cmp_eq_u32_e32 vcc, 13, v31
	v_cndmask_b32_e32 v36, v36, v15, vcc
	v_cmp_eq_u32_e32 vcc, 14, v31
	v_cndmask_b32_e32 v36, v36, v16, vcc
	v_cmp_eq_u32_e32 vcc, 15, v31
	v_cndmask_b32_e32 v36, v36, v17, vcc
	v_cmp_eq_u32_e32 vcc, 16, v31
	v_cndmask_b32_e32 v36, v36, v18, vcc
	v_cmp_eq_u32_e32 vcc, 17, v31
	v_cndmask_b32_e32 v36, v36, v19, vcc
	v_cmp_eq_u32_e32 vcc, 18, v31
	v_cndmask_b32_e32 v36, v36, v20, vcc
	v_cmp_eq_u32_e32 vcc, 19, v31
	v_cndmask_b32_e32 v36, v36, v21, vcc
	v_cmp_eq_u32_e32 vcc, 20, v31
	v_cndmask_b32_e32 v36, v36, v22, vcc
	v_cmp_eq_u32_e32 vcc, 21, v31
	v_cndmask_b32_e32 v36, v36, v23, vcc
	v_cmp_eq_u32_e32 vcc, 22, v31
	v_cndmask_b32_e32 v36, v36, v24, vcc
	v_cmp_eq_u32_e32 vcc, 23, v31
	v_cndmask_b32_e32 v36, v36, v25, vcc
	v_cmp_eq_u32_e32 vcc, 24, v31
	ds_read_b32 v35, v34
	v_cndmask_b32_e32 v36, v36, v26, vcc
	v_cmp_eq_u32_e32 vcc, 25, v31
	s_waitcnt vmcnt(3)
	v_cndmask_b32_e32 v36, v36, v27, vcc
	v_cmp_eq_u32_e32 vcc, 26, v31
	s_waitcnt vmcnt(2)
	;; [unrolled: 3-line block ×4, first 2 shown]
	v_cndmask_b32_e32 v36, v36, v30, vcc
	v_add_u32_e32 v34, 4, v34
	s_waitcnt lgkmcnt(0)
	v_fmac_f32_e32 v33, v36, v35
	s_andn2_b64 exec, exec, s[8:9]
	s_cbranch_execnz .LBB28_603
; %bb.604:
	s_or_b64 exec, exec, s[8:9]
.LBB28_605:
	s_or_b64 exec, exec, s[6:7]
	v_mov_b32_e32 v19, 0
	ds_read_b32 v19, v19 offset:68
	s_waitcnt lgkmcnt(0)
	v_mul_f32_e32 v19, v33, v19
.LBB28_606:
	s_or_b64 exec, exec, s[4:5]
	v_cmp_gt_u32_e32 vcc, 18, v0
	s_waitcnt vmcnt(11)
	ds_write_b32 v121, v20
	s_waitcnt lgkmcnt(0)
	; wave barrier
	s_and_saveexec_b64 s[4:5], vcc
	s_cbranch_execz .LBB28_616
; %bb.607:
	s_and_b64 vcc, exec, s[0:1]
	s_cbranch_vccnz .LBB28_609
; %bb.608:
	v_cmp_eq_u32_e32 vcc, 1, v0
	s_waitcnt vmcnt(4)
	v_cndmask_b32_e32 v31, v2, v3, vcc
	v_cmp_eq_u32_e32 vcc, 2, v0
	v_cndmask_b32_e32 v31, v31, v4, vcc
	v_cmp_eq_u32_e32 vcc, 3, v0
	;; [unrolled: 2-line block ×24, first 2 shown]
	ds_read_b32 v32, v121
	s_waitcnt vmcnt(3)
	v_cndmask_b32_e32 v31, v31, v27, vcc
	v_cmp_eq_u32_e32 vcc, 26, v0
	s_waitcnt vmcnt(2)
	v_cndmask_b32_e32 v31, v31, v28, vcc
	v_cmp_eq_u32_e32 vcc, 27, v0
	;; [unrolled: 3-line block ×3, first 2 shown]
	s_waitcnt vmcnt(0)
	v_cndmask_b32_e32 v31, v31, v30, vcc
	s_waitcnt lgkmcnt(0)
	v_mul_f32_e32 v33, v31, v32
	s_cbranch_execz .LBB28_610
	s_branch .LBB28_611
.LBB28_609:
                                        ; implicit-def: $vgpr33
.LBB28_610:
	ds_read_b32 v33, v121
.LBB28_611:
	v_cmp_ne_u32_e32 vcc, 17, v0
	s_and_saveexec_b64 s[6:7], vcc
	s_cbranch_execz .LBB28_615
; %bb.612:
	v_mov_b32_e32 v31, 0x84
	v_lshl_add_u32 v34, v0, 2, v31
	v_mov_b32_e32 v32, v1
	s_mov_b64 s[8:9], 0
	v_mov_b32_e32 v31, v0
.LBB28_613:                             ; =>This Inner Loop Header: Depth=1
	v_add_co_u32_e32 v31, vcc, 1, v31
	v_addc_co_u32_e32 v32, vcc, 0, v32, vcc
	v_cmp_eq_u32_e32 vcc, 1, v31
	s_waitcnt vmcnt(4)
	v_cndmask_b32_e32 v36, v2, v3, vcc
	v_cmp_lt_u32_e32 vcc, 16, v31
	v_cmp_eq_u32_e64 s[2:3], 2, v31
	v_cndmask_b32_e64 v36, v36, v4, s[2:3]
	s_or_b64 s[8:9], vcc, s[8:9]
	v_cmp_eq_u32_e32 vcc, 3, v31
	v_cndmask_b32_e32 v36, v36, v5, vcc
	v_cmp_eq_u32_e32 vcc, 4, v31
	v_cndmask_b32_e32 v36, v36, v6, vcc
	;; [unrolled: 2-line block ×21, first 2 shown]
	v_cmp_eq_u32_e32 vcc, 24, v31
	ds_read_b32 v35, v34
	v_cndmask_b32_e32 v36, v36, v26, vcc
	v_cmp_eq_u32_e32 vcc, 25, v31
	s_waitcnt vmcnt(3)
	v_cndmask_b32_e32 v36, v36, v27, vcc
	v_cmp_eq_u32_e32 vcc, 26, v31
	s_waitcnt vmcnt(2)
	;; [unrolled: 3-line block ×4, first 2 shown]
	v_cndmask_b32_e32 v36, v36, v30, vcc
	v_add_u32_e32 v34, 4, v34
	s_waitcnt lgkmcnt(0)
	v_fmac_f32_e32 v33, v36, v35
	s_andn2_b64 exec, exec, s[8:9]
	s_cbranch_execnz .LBB28_613
; %bb.614:
	s_or_b64 exec, exec, s[8:9]
.LBB28_615:
	s_or_b64 exec, exec, s[6:7]
	v_mov_b32_e32 v20, 0
	ds_read_b32 v20, v20 offset:72
	s_waitcnt lgkmcnt(0)
	v_mul_f32_e32 v20, v33, v20
.LBB28_616:
	s_or_b64 exec, exec, s[4:5]
	v_cmp_gt_u32_e32 vcc, 19, v0
	s_waitcnt vmcnt(10)
	ds_write_b32 v121, v21
	s_waitcnt lgkmcnt(0)
	; wave barrier
	s_and_saveexec_b64 s[4:5], vcc
	s_cbranch_execz .LBB28_626
; %bb.617:
	s_and_b64 vcc, exec, s[0:1]
	s_cbranch_vccnz .LBB28_619
; %bb.618:
	v_cmp_eq_u32_e32 vcc, 1, v0
	s_waitcnt vmcnt(4)
	v_cndmask_b32_e32 v31, v2, v3, vcc
	v_cmp_eq_u32_e32 vcc, 2, v0
	v_cndmask_b32_e32 v31, v31, v4, vcc
	v_cmp_eq_u32_e32 vcc, 3, v0
	;; [unrolled: 2-line block ×24, first 2 shown]
	ds_read_b32 v32, v121
	s_waitcnt vmcnt(3)
	v_cndmask_b32_e32 v31, v31, v27, vcc
	v_cmp_eq_u32_e32 vcc, 26, v0
	s_waitcnt vmcnt(2)
	v_cndmask_b32_e32 v31, v31, v28, vcc
	v_cmp_eq_u32_e32 vcc, 27, v0
	;; [unrolled: 3-line block ×3, first 2 shown]
	s_waitcnt vmcnt(0)
	v_cndmask_b32_e32 v31, v31, v30, vcc
	s_waitcnt lgkmcnt(0)
	v_mul_f32_e32 v33, v31, v32
	s_cbranch_execz .LBB28_620
	s_branch .LBB28_621
.LBB28_619:
                                        ; implicit-def: $vgpr33
.LBB28_620:
	ds_read_b32 v33, v121
.LBB28_621:
	v_cmp_ne_u32_e32 vcc, 18, v0
	s_and_saveexec_b64 s[6:7], vcc
	s_cbranch_execz .LBB28_625
; %bb.622:
	v_mov_b32_e32 v31, 0x84
	v_lshl_add_u32 v34, v0, 2, v31
	v_mov_b32_e32 v32, v1
	s_mov_b64 s[8:9], 0
	v_mov_b32_e32 v31, v0
.LBB28_623:                             ; =>This Inner Loop Header: Depth=1
	v_add_co_u32_e32 v31, vcc, 1, v31
	v_addc_co_u32_e32 v32, vcc, 0, v32, vcc
	v_cmp_eq_u32_e32 vcc, 1, v31
	s_waitcnt vmcnt(4)
	v_cndmask_b32_e32 v36, v2, v3, vcc
	v_cmp_lt_u32_e32 vcc, 17, v31
	v_cmp_eq_u32_e64 s[2:3], 2, v31
	v_cndmask_b32_e64 v36, v36, v4, s[2:3]
	s_or_b64 s[8:9], vcc, s[8:9]
	v_cmp_eq_u32_e32 vcc, 3, v31
	v_cndmask_b32_e32 v36, v36, v5, vcc
	v_cmp_eq_u32_e32 vcc, 4, v31
	v_cndmask_b32_e32 v36, v36, v6, vcc
	;; [unrolled: 2-line block ×21, first 2 shown]
	v_cmp_eq_u32_e32 vcc, 24, v31
	ds_read_b32 v35, v34
	v_cndmask_b32_e32 v36, v36, v26, vcc
	v_cmp_eq_u32_e32 vcc, 25, v31
	s_waitcnt vmcnt(3)
	v_cndmask_b32_e32 v36, v36, v27, vcc
	v_cmp_eq_u32_e32 vcc, 26, v31
	s_waitcnt vmcnt(2)
	v_cndmask_b32_e32 v36, v36, v28, vcc
	v_cmp_eq_u32_e32 vcc, 27, v31
	s_waitcnt vmcnt(1)
	v_cndmask_b32_e32 v36, v36, v29, vcc
	v_cmp_eq_u32_e32 vcc, 28, v31
	s_waitcnt vmcnt(0)
	v_cndmask_b32_e32 v36, v36, v30, vcc
	v_add_u32_e32 v34, 4, v34
	s_waitcnt lgkmcnt(0)
	v_fmac_f32_e32 v33, v36, v35
	s_andn2_b64 exec, exec, s[8:9]
	s_cbranch_execnz .LBB28_623
; %bb.624:
	s_or_b64 exec, exec, s[8:9]
.LBB28_625:
	s_or_b64 exec, exec, s[6:7]
	v_mov_b32_e32 v21, 0
	ds_read_b32 v21, v21 offset:76
	s_waitcnt lgkmcnt(0)
	v_mul_f32_e32 v21, v33, v21
.LBB28_626:
	s_or_b64 exec, exec, s[4:5]
	v_cmp_gt_u32_e32 vcc, 20, v0
	s_waitcnt vmcnt(9)
	ds_write_b32 v121, v22
	s_waitcnt lgkmcnt(0)
	; wave barrier
	s_and_saveexec_b64 s[4:5], vcc
	s_cbranch_execz .LBB28_636
; %bb.627:
	s_and_b64 vcc, exec, s[0:1]
	s_cbranch_vccnz .LBB28_629
; %bb.628:
	v_cmp_eq_u32_e32 vcc, 1, v0
	s_waitcnt vmcnt(4)
	v_cndmask_b32_e32 v31, v2, v3, vcc
	v_cmp_eq_u32_e32 vcc, 2, v0
	v_cndmask_b32_e32 v31, v31, v4, vcc
	v_cmp_eq_u32_e32 vcc, 3, v0
	;; [unrolled: 2-line block ×24, first 2 shown]
	ds_read_b32 v32, v121
	s_waitcnt vmcnt(3)
	v_cndmask_b32_e32 v31, v31, v27, vcc
	v_cmp_eq_u32_e32 vcc, 26, v0
	s_waitcnt vmcnt(2)
	v_cndmask_b32_e32 v31, v31, v28, vcc
	v_cmp_eq_u32_e32 vcc, 27, v0
	;; [unrolled: 3-line block ×3, first 2 shown]
	s_waitcnt vmcnt(0)
	v_cndmask_b32_e32 v31, v31, v30, vcc
	s_waitcnt lgkmcnt(0)
	v_mul_f32_e32 v33, v31, v32
	s_cbranch_execz .LBB28_630
	s_branch .LBB28_631
.LBB28_629:
                                        ; implicit-def: $vgpr33
.LBB28_630:
	ds_read_b32 v33, v121
.LBB28_631:
	v_cmp_ne_u32_e32 vcc, 19, v0
	s_and_saveexec_b64 s[6:7], vcc
	s_cbranch_execz .LBB28_635
; %bb.632:
	v_mov_b32_e32 v31, 0x84
	v_lshl_add_u32 v34, v0, 2, v31
	v_mov_b32_e32 v32, v1
	s_mov_b64 s[8:9], 0
	v_mov_b32_e32 v31, v0
.LBB28_633:                             ; =>This Inner Loop Header: Depth=1
	v_add_co_u32_e32 v31, vcc, 1, v31
	v_addc_co_u32_e32 v32, vcc, 0, v32, vcc
	v_cmp_eq_u32_e32 vcc, 1, v31
	s_waitcnt vmcnt(4)
	v_cndmask_b32_e32 v36, v2, v3, vcc
	v_cmp_lt_u32_e32 vcc, 18, v31
	v_cmp_eq_u32_e64 s[2:3], 2, v31
	v_cndmask_b32_e64 v36, v36, v4, s[2:3]
	s_or_b64 s[8:9], vcc, s[8:9]
	v_cmp_eq_u32_e32 vcc, 3, v31
	v_cndmask_b32_e32 v36, v36, v5, vcc
	v_cmp_eq_u32_e32 vcc, 4, v31
	v_cndmask_b32_e32 v36, v36, v6, vcc
	;; [unrolled: 2-line block ×21, first 2 shown]
	v_cmp_eq_u32_e32 vcc, 24, v31
	ds_read_b32 v35, v34
	v_cndmask_b32_e32 v36, v36, v26, vcc
	v_cmp_eq_u32_e32 vcc, 25, v31
	s_waitcnt vmcnt(3)
	v_cndmask_b32_e32 v36, v36, v27, vcc
	v_cmp_eq_u32_e32 vcc, 26, v31
	s_waitcnt vmcnt(2)
	;; [unrolled: 3-line block ×4, first 2 shown]
	v_cndmask_b32_e32 v36, v36, v30, vcc
	v_add_u32_e32 v34, 4, v34
	s_waitcnt lgkmcnt(0)
	v_fmac_f32_e32 v33, v36, v35
	s_andn2_b64 exec, exec, s[8:9]
	s_cbranch_execnz .LBB28_633
; %bb.634:
	s_or_b64 exec, exec, s[8:9]
.LBB28_635:
	s_or_b64 exec, exec, s[6:7]
	v_mov_b32_e32 v22, 0
	ds_read_b32 v22, v22 offset:80
	s_waitcnt lgkmcnt(0)
	v_mul_f32_e32 v22, v33, v22
.LBB28_636:
	s_or_b64 exec, exec, s[4:5]
	v_cmp_gt_u32_e32 vcc, 21, v0
	s_waitcnt vmcnt(8)
	ds_write_b32 v121, v23
	s_waitcnt lgkmcnt(0)
	; wave barrier
	s_and_saveexec_b64 s[4:5], vcc
	s_cbranch_execz .LBB28_646
; %bb.637:
	s_and_b64 vcc, exec, s[0:1]
	s_cbranch_vccnz .LBB28_639
; %bb.638:
	v_cmp_eq_u32_e32 vcc, 1, v0
	s_waitcnt vmcnt(4)
	v_cndmask_b32_e32 v31, v2, v3, vcc
	v_cmp_eq_u32_e32 vcc, 2, v0
	v_cndmask_b32_e32 v31, v31, v4, vcc
	v_cmp_eq_u32_e32 vcc, 3, v0
	;; [unrolled: 2-line block ×24, first 2 shown]
	ds_read_b32 v32, v121
	s_waitcnt vmcnt(3)
	v_cndmask_b32_e32 v31, v31, v27, vcc
	v_cmp_eq_u32_e32 vcc, 26, v0
	s_waitcnt vmcnt(2)
	v_cndmask_b32_e32 v31, v31, v28, vcc
	v_cmp_eq_u32_e32 vcc, 27, v0
	;; [unrolled: 3-line block ×3, first 2 shown]
	s_waitcnt vmcnt(0)
	v_cndmask_b32_e32 v31, v31, v30, vcc
	s_waitcnt lgkmcnt(0)
	v_mul_f32_e32 v33, v31, v32
	s_cbranch_execz .LBB28_640
	s_branch .LBB28_641
.LBB28_639:
                                        ; implicit-def: $vgpr33
.LBB28_640:
	ds_read_b32 v33, v121
.LBB28_641:
	v_cmp_ne_u32_e32 vcc, 20, v0
	s_and_saveexec_b64 s[6:7], vcc
	s_cbranch_execz .LBB28_645
; %bb.642:
	v_mov_b32_e32 v31, 0x84
	v_lshl_add_u32 v34, v0, 2, v31
	v_mov_b32_e32 v32, v1
	s_mov_b64 s[8:9], 0
	v_mov_b32_e32 v31, v0
.LBB28_643:                             ; =>This Inner Loop Header: Depth=1
	v_add_co_u32_e32 v31, vcc, 1, v31
	v_addc_co_u32_e32 v32, vcc, 0, v32, vcc
	v_cmp_eq_u32_e32 vcc, 1, v31
	s_waitcnt vmcnt(4)
	v_cndmask_b32_e32 v36, v2, v3, vcc
	v_cmp_lt_u32_e32 vcc, 19, v31
	v_cmp_eq_u32_e64 s[2:3], 2, v31
	v_cndmask_b32_e64 v36, v36, v4, s[2:3]
	s_or_b64 s[8:9], vcc, s[8:9]
	v_cmp_eq_u32_e32 vcc, 3, v31
	v_cndmask_b32_e32 v36, v36, v5, vcc
	v_cmp_eq_u32_e32 vcc, 4, v31
	v_cndmask_b32_e32 v36, v36, v6, vcc
	;; [unrolled: 2-line block ×21, first 2 shown]
	v_cmp_eq_u32_e32 vcc, 24, v31
	ds_read_b32 v35, v34
	v_cndmask_b32_e32 v36, v36, v26, vcc
	v_cmp_eq_u32_e32 vcc, 25, v31
	s_waitcnt vmcnt(3)
	v_cndmask_b32_e32 v36, v36, v27, vcc
	v_cmp_eq_u32_e32 vcc, 26, v31
	s_waitcnt vmcnt(2)
	v_cndmask_b32_e32 v36, v36, v28, vcc
	v_cmp_eq_u32_e32 vcc, 27, v31
	s_waitcnt vmcnt(1)
	v_cndmask_b32_e32 v36, v36, v29, vcc
	v_cmp_eq_u32_e32 vcc, 28, v31
	s_waitcnt vmcnt(0)
	v_cndmask_b32_e32 v36, v36, v30, vcc
	v_add_u32_e32 v34, 4, v34
	s_waitcnt lgkmcnt(0)
	v_fmac_f32_e32 v33, v36, v35
	s_andn2_b64 exec, exec, s[8:9]
	s_cbranch_execnz .LBB28_643
; %bb.644:
	s_or_b64 exec, exec, s[8:9]
.LBB28_645:
	s_or_b64 exec, exec, s[6:7]
	v_mov_b32_e32 v23, 0
	ds_read_b32 v23, v23 offset:84
	s_waitcnt lgkmcnt(0)
	v_mul_f32_e32 v23, v33, v23
.LBB28_646:
	s_or_b64 exec, exec, s[4:5]
	v_cmp_gt_u32_e32 vcc, 22, v0
	s_waitcnt vmcnt(7)
	ds_write_b32 v121, v24
	s_waitcnt lgkmcnt(0)
	; wave barrier
	s_and_saveexec_b64 s[4:5], vcc
	s_cbranch_execz .LBB28_656
; %bb.647:
	s_and_b64 vcc, exec, s[0:1]
	s_cbranch_vccnz .LBB28_649
; %bb.648:
	v_cmp_eq_u32_e32 vcc, 1, v0
	s_waitcnt vmcnt(4)
	v_cndmask_b32_e32 v31, v2, v3, vcc
	v_cmp_eq_u32_e32 vcc, 2, v0
	v_cndmask_b32_e32 v31, v31, v4, vcc
	v_cmp_eq_u32_e32 vcc, 3, v0
	;; [unrolled: 2-line block ×24, first 2 shown]
	ds_read_b32 v32, v121
	s_waitcnt vmcnt(3)
	v_cndmask_b32_e32 v31, v31, v27, vcc
	v_cmp_eq_u32_e32 vcc, 26, v0
	s_waitcnt vmcnt(2)
	v_cndmask_b32_e32 v31, v31, v28, vcc
	v_cmp_eq_u32_e32 vcc, 27, v0
	s_waitcnt vmcnt(1)
	v_cndmask_b32_e32 v31, v31, v29, vcc
	v_cmp_eq_u32_e32 vcc, 28, v0
	s_waitcnt vmcnt(0)
	v_cndmask_b32_e32 v31, v31, v30, vcc
	s_waitcnt lgkmcnt(0)
	v_mul_f32_e32 v33, v31, v32
	s_cbranch_execz .LBB28_650
	s_branch .LBB28_651
.LBB28_649:
                                        ; implicit-def: $vgpr33
.LBB28_650:
	ds_read_b32 v33, v121
.LBB28_651:
	v_cmp_ne_u32_e32 vcc, 21, v0
	s_and_saveexec_b64 s[6:7], vcc
	s_cbranch_execz .LBB28_655
; %bb.652:
	v_mov_b32_e32 v31, 0x84
	v_lshl_add_u32 v34, v0, 2, v31
	v_mov_b32_e32 v32, v1
	s_mov_b64 s[8:9], 0
	v_mov_b32_e32 v31, v0
.LBB28_653:                             ; =>This Inner Loop Header: Depth=1
	v_add_co_u32_e32 v31, vcc, 1, v31
	v_addc_co_u32_e32 v32, vcc, 0, v32, vcc
	v_cmp_eq_u32_e32 vcc, 1, v31
	s_waitcnt vmcnt(4)
	v_cndmask_b32_e32 v36, v2, v3, vcc
	v_cmp_lt_u32_e32 vcc, 20, v31
	v_cmp_eq_u32_e64 s[2:3], 2, v31
	v_cndmask_b32_e64 v36, v36, v4, s[2:3]
	s_or_b64 s[8:9], vcc, s[8:9]
	v_cmp_eq_u32_e32 vcc, 3, v31
	v_cndmask_b32_e32 v36, v36, v5, vcc
	v_cmp_eq_u32_e32 vcc, 4, v31
	v_cndmask_b32_e32 v36, v36, v6, vcc
	;; [unrolled: 2-line block ×21, first 2 shown]
	v_cmp_eq_u32_e32 vcc, 24, v31
	ds_read_b32 v35, v34
	v_cndmask_b32_e32 v36, v36, v26, vcc
	v_cmp_eq_u32_e32 vcc, 25, v31
	s_waitcnt vmcnt(3)
	v_cndmask_b32_e32 v36, v36, v27, vcc
	v_cmp_eq_u32_e32 vcc, 26, v31
	s_waitcnt vmcnt(2)
	;; [unrolled: 3-line block ×4, first 2 shown]
	v_cndmask_b32_e32 v36, v36, v30, vcc
	v_add_u32_e32 v34, 4, v34
	s_waitcnt lgkmcnt(0)
	v_fmac_f32_e32 v33, v36, v35
	s_andn2_b64 exec, exec, s[8:9]
	s_cbranch_execnz .LBB28_653
; %bb.654:
	s_or_b64 exec, exec, s[8:9]
.LBB28_655:
	s_or_b64 exec, exec, s[6:7]
	v_mov_b32_e32 v24, 0
	ds_read_b32 v24, v24 offset:88
	s_waitcnt lgkmcnt(0)
	v_mul_f32_e32 v24, v33, v24
.LBB28_656:
	s_or_b64 exec, exec, s[4:5]
	v_cmp_gt_u32_e32 vcc, 23, v0
	s_waitcnt vmcnt(6)
	ds_write_b32 v121, v25
	s_waitcnt lgkmcnt(0)
	; wave barrier
	s_and_saveexec_b64 s[4:5], vcc
	s_cbranch_execz .LBB28_666
; %bb.657:
	s_and_b64 vcc, exec, s[0:1]
	s_cbranch_vccnz .LBB28_659
; %bb.658:
	v_cmp_eq_u32_e32 vcc, 1, v0
	s_waitcnt vmcnt(4)
	v_cndmask_b32_e32 v31, v2, v3, vcc
	v_cmp_eq_u32_e32 vcc, 2, v0
	v_cndmask_b32_e32 v31, v31, v4, vcc
	v_cmp_eq_u32_e32 vcc, 3, v0
	;; [unrolled: 2-line block ×24, first 2 shown]
	ds_read_b32 v32, v121
	s_waitcnt vmcnt(3)
	v_cndmask_b32_e32 v31, v31, v27, vcc
	v_cmp_eq_u32_e32 vcc, 26, v0
	s_waitcnt vmcnt(2)
	v_cndmask_b32_e32 v31, v31, v28, vcc
	v_cmp_eq_u32_e32 vcc, 27, v0
	;; [unrolled: 3-line block ×3, first 2 shown]
	s_waitcnt vmcnt(0)
	v_cndmask_b32_e32 v31, v31, v30, vcc
	s_waitcnt lgkmcnt(0)
	v_mul_f32_e32 v33, v31, v32
	s_cbranch_execz .LBB28_660
	s_branch .LBB28_661
.LBB28_659:
                                        ; implicit-def: $vgpr33
.LBB28_660:
	ds_read_b32 v33, v121
.LBB28_661:
	v_cmp_ne_u32_e32 vcc, 22, v0
	s_and_saveexec_b64 s[6:7], vcc
	s_cbranch_execz .LBB28_665
; %bb.662:
	v_mov_b32_e32 v31, 0x84
	v_lshl_add_u32 v34, v0, 2, v31
	v_mov_b32_e32 v32, v1
	s_mov_b64 s[8:9], 0
	v_mov_b32_e32 v31, v0
.LBB28_663:                             ; =>This Inner Loop Header: Depth=1
	v_add_co_u32_e32 v31, vcc, 1, v31
	v_addc_co_u32_e32 v32, vcc, 0, v32, vcc
	v_cmp_eq_u32_e32 vcc, 1, v31
	s_waitcnt vmcnt(4)
	v_cndmask_b32_e32 v36, v2, v3, vcc
	v_cmp_lt_u32_e32 vcc, 21, v31
	v_cmp_eq_u32_e64 s[2:3], 2, v31
	v_cndmask_b32_e64 v36, v36, v4, s[2:3]
	s_or_b64 s[8:9], vcc, s[8:9]
	v_cmp_eq_u32_e32 vcc, 3, v31
	v_cndmask_b32_e32 v36, v36, v5, vcc
	v_cmp_eq_u32_e32 vcc, 4, v31
	v_cndmask_b32_e32 v36, v36, v6, vcc
	;; [unrolled: 2-line block ×21, first 2 shown]
	v_cmp_eq_u32_e32 vcc, 24, v31
	ds_read_b32 v35, v34
	v_cndmask_b32_e32 v36, v36, v26, vcc
	v_cmp_eq_u32_e32 vcc, 25, v31
	s_waitcnt vmcnt(3)
	v_cndmask_b32_e32 v36, v36, v27, vcc
	v_cmp_eq_u32_e32 vcc, 26, v31
	s_waitcnt vmcnt(2)
	;; [unrolled: 3-line block ×4, first 2 shown]
	v_cndmask_b32_e32 v36, v36, v30, vcc
	v_add_u32_e32 v34, 4, v34
	s_waitcnt lgkmcnt(0)
	v_fmac_f32_e32 v33, v36, v35
	s_andn2_b64 exec, exec, s[8:9]
	s_cbranch_execnz .LBB28_663
; %bb.664:
	s_or_b64 exec, exec, s[8:9]
.LBB28_665:
	s_or_b64 exec, exec, s[6:7]
	v_mov_b32_e32 v25, 0
	ds_read_b32 v25, v25 offset:92
	s_waitcnt lgkmcnt(0)
	v_mul_f32_e32 v25, v33, v25
.LBB28_666:
	s_or_b64 exec, exec, s[4:5]
	v_cmp_gt_u32_e32 vcc, 24, v0
	s_waitcnt vmcnt(5)
	ds_write_b32 v121, v26
	s_waitcnt lgkmcnt(0)
	; wave barrier
	s_and_saveexec_b64 s[4:5], vcc
	s_cbranch_execz .LBB28_676
; %bb.667:
	s_and_b64 vcc, exec, s[0:1]
	s_cbranch_vccnz .LBB28_669
; %bb.668:
	v_cmp_eq_u32_e32 vcc, 1, v0
	s_waitcnt vmcnt(4)
	v_cndmask_b32_e32 v31, v2, v3, vcc
	v_cmp_eq_u32_e32 vcc, 2, v0
	v_cndmask_b32_e32 v31, v31, v4, vcc
	v_cmp_eq_u32_e32 vcc, 3, v0
	;; [unrolled: 2-line block ×24, first 2 shown]
	ds_read_b32 v32, v121
	s_waitcnt vmcnt(3)
	v_cndmask_b32_e32 v31, v31, v27, vcc
	v_cmp_eq_u32_e32 vcc, 26, v0
	s_waitcnt vmcnt(2)
	v_cndmask_b32_e32 v31, v31, v28, vcc
	v_cmp_eq_u32_e32 vcc, 27, v0
	;; [unrolled: 3-line block ×3, first 2 shown]
	s_waitcnt vmcnt(0)
	v_cndmask_b32_e32 v31, v31, v30, vcc
	s_waitcnt lgkmcnt(0)
	v_mul_f32_e32 v33, v31, v32
	s_cbranch_execz .LBB28_670
	s_branch .LBB28_671
.LBB28_669:
                                        ; implicit-def: $vgpr33
.LBB28_670:
	ds_read_b32 v33, v121
.LBB28_671:
	v_cmp_ne_u32_e32 vcc, 23, v0
	s_and_saveexec_b64 s[6:7], vcc
	s_cbranch_execz .LBB28_675
; %bb.672:
	v_mov_b32_e32 v31, 0x84
	v_lshl_add_u32 v34, v0, 2, v31
	v_mov_b32_e32 v32, v1
	s_mov_b64 s[8:9], 0
	v_mov_b32_e32 v31, v0
.LBB28_673:                             ; =>This Inner Loop Header: Depth=1
	v_add_co_u32_e32 v31, vcc, 1, v31
	v_addc_co_u32_e32 v32, vcc, 0, v32, vcc
	v_cmp_eq_u32_e32 vcc, 1, v31
	s_waitcnt vmcnt(4)
	v_cndmask_b32_e32 v36, v2, v3, vcc
	v_cmp_lt_u32_e32 vcc, 22, v31
	v_cmp_eq_u32_e64 s[2:3], 2, v31
	v_cndmask_b32_e64 v36, v36, v4, s[2:3]
	s_or_b64 s[8:9], vcc, s[8:9]
	v_cmp_eq_u32_e32 vcc, 3, v31
	v_cndmask_b32_e32 v36, v36, v5, vcc
	v_cmp_eq_u32_e32 vcc, 4, v31
	v_cndmask_b32_e32 v36, v36, v6, vcc
	;; [unrolled: 2-line block ×21, first 2 shown]
	v_cmp_eq_u32_e32 vcc, 24, v31
	ds_read_b32 v35, v34
	v_cndmask_b32_e32 v36, v36, v26, vcc
	v_cmp_eq_u32_e32 vcc, 25, v31
	s_waitcnt vmcnt(3)
	v_cndmask_b32_e32 v36, v36, v27, vcc
	v_cmp_eq_u32_e32 vcc, 26, v31
	s_waitcnt vmcnt(2)
	;; [unrolled: 3-line block ×4, first 2 shown]
	v_cndmask_b32_e32 v36, v36, v30, vcc
	v_add_u32_e32 v34, 4, v34
	s_waitcnt lgkmcnt(0)
	v_fmac_f32_e32 v33, v36, v35
	s_andn2_b64 exec, exec, s[8:9]
	s_cbranch_execnz .LBB28_673
; %bb.674:
	s_or_b64 exec, exec, s[8:9]
.LBB28_675:
	s_or_b64 exec, exec, s[6:7]
	v_mov_b32_e32 v26, 0
	ds_read_b32 v26, v26 offset:96
	s_waitcnt lgkmcnt(0)
	v_mul_f32_e32 v26, v33, v26
.LBB28_676:
	s_or_b64 exec, exec, s[4:5]
	v_cmp_gt_u32_e32 vcc, 25, v0
	s_waitcnt vmcnt(3)
	ds_write_b32 v121, v27
	s_waitcnt lgkmcnt(0)
	; wave barrier
	s_and_saveexec_b64 s[4:5], vcc
	s_cbranch_execz .LBB28_686
; %bb.677:
	s_and_b64 vcc, exec, s[0:1]
	s_cbranch_vccnz .LBB28_679
; %bb.678:
	v_cmp_eq_u32_e32 vcc, 1, v0
	v_cndmask_b32_e32 v31, v2, v3, vcc
	v_cmp_eq_u32_e32 vcc, 2, v0
	v_cndmask_b32_e32 v31, v31, v4, vcc
	;; [unrolled: 2-line block ×24, first 2 shown]
	v_cmp_eq_u32_e32 vcc, 25, v0
	ds_read_b32 v32, v121
	v_cndmask_b32_e32 v31, v31, v27, vcc
	v_cmp_eq_u32_e32 vcc, 26, v0
	s_waitcnt vmcnt(2)
	v_cndmask_b32_e32 v31, v31, v28, vcc
	v_cmp_eq_u32_e32 vcc, 27, v0
	s_waitcnt vmcnt(1)
	;; [unrolled: 3-line block ×3, first 2 shown]
	v_cndmask_b32_e32 v31, v31, v30, vcc
	s_waitcnt lgkmcnt(0)
	v_mul_f32_e32 v33, v31, v32
	s_cbranch_execz .LBB28_680
	s_branch .LBB28_681
.LBB28_679:
                                        ; implicit-def: $vgpr33
.LBB28_680:
	ds_read_b32 v33, v121
.LBB28_681:
	v_cmp_ne_u32_e32 vcc, 24, v0
	s_and_saveexec_b64 s[6:7], vcc
	s_cbranch_execz .LBB28_685
; %bb.682:
	v_mov_b32_e32 v31, 0x84
	v_lshl_add_u32 v34, v0, 2, v31
	v_mov_b32_e32 v32, v1
	s_mov_b64 s[8:9], 0
	v_mov_b32_e32 v31, v0
.LBB28_683:                             ; =>This Inner Loop Header: Depth=1
	v_add_co_u32_e32 v31, vcc, 1, v31
	v_addc_co_u32_e32 v32, vcc, 0, v32, vcc
	v_cmp_eq_u32_e32 vcc, 1, v31
	v_cndmask_b32_e32 v36, v2, v3, vcc
	v_cmp_lt_u32_e32 vcc, 23, v31
	v_cmp_eq_u32_e64 s[2:3], 2, v31
	v_cndmask_b32_e64 v36, v36, v4, s[2:3]
	s_or_b64 s[8:9], vcc, s[8:9]
	v_cmp_eq_u32_e32 vcc, 3, v31
	v_cndmask_b32_e32 v36, v36, v5, vcc
	v_cmp_eq_u32_e32 vcc, 4, v31
	v_cndmask_b32_e32 v36, v36, v6, vcc
	;; [unrolled: 2-line block ×21, first 2 shown]
	v_cmp_eq_u32_e32 vcc, 24, v31
	ds_read_b32 v35, v34
	v_cndmask_b32_e32 v36, v36, v26, vcc
	v_cmp_eq_u32_e32 vcc, 25, v31
	v_cndmask_b32_e32 v36, v36, v27, vcc
	v_cmp_eq_u32_e32 vcc, 26, v31
	s_waitcnt vmcnt(2)
	v_cndmask_b32_e32 v36, v36, v28, vcc
	v_cmp_eq_u32_e32 vcc, 27, v31
	s_waitcnt vmcnt(1)
	;; [unrolled: 3-line block ×3, first 2 shown]
	v_cndmask_b32_e32 v36, v36, v30, vcc
	v_add_u32_e32 v34, 4, v34
	s_waitcnt lgkmcnt(0)
	v_fmac_f32_e32 v33, v36, v35
	s_andn2_b64 exec, exec, s[8:9]
	s_cbranch_execnz .LBB28_683
; %bb.684:
	s_or_b64 exec, exec, s[8:9]
.LBB28_685:
	s_or_b64 exec, exec, s[6:7]
	v_mov_b32_e32 v27, 0
	ds_read_b32 v27, v27 offset:100
	s_waitcnt lgkmcnt(0)
	v_mul_f32_e32 v27, v33, v27
.LBB28_686:
	s_or_b64 exec, exec, s[4:5]
	v_cmp_gt_u32_e32 vcc, 26, v0
	s_waitcnt vmcnt(2)
	ds_write_b32 v121, v28
	s_waitcnt lgkmcnt(0)
	; wave barrier
	s_and_saveexec_b64 s[4:5], vcc
	s_cbranch_execz .LBB28_696
; %bb.687:
	s_and_b64 vcc, exec, s[0:1]
	s_cbranch_vccnz .LBB28_689
; %bb.688:
	v_cmp_eq_u32_e32 vcc, 1, v0
	v_cndmask_b32_e32 v31, v2, v3, vcc
	v_cmp_eq_u32_e32 vcc, 2, v0
	v_cndmask_b32_e32 v31, v31, v4, vcc
	;; [unrolled: 2-line block ×24, first 2 shown]
	v_cmp_eq_u32_e32 vcc, 25, v0
	ds_read_b32 v32, v121
	v_cndmask_b32_e32 v31, v31, v27, vcc
	v_cmp_eq_u32_e32 vcc, 26, v0
	v_cndmask_b32_e32 v31, v31, v28, vcc
	v_cmp_eq_u32_e32 vcc, 27, v0
	s_waitcnt vmcnt(1)
	v_cndmask_b32_e32 v31, v31, v29, vcc
	v_cmp_eq_u32_e32 vcc, 28, v0
	s_waitcnt vmcnt(0)
	v_cndmask_b32_e32 v31, v31, v30, vcc
	s_waitcnt lgkmcnt(0)
	v_mul_f32_e32 v33, v31, v32
	s_cbranch_execz .LBB28_690
	s_branch .LBB28_691
.LBB28_689:
                                        ; implicit-def: $vgpr33
.LBB28_690:
	ds_read_b32 v33, v121
.LBB28_691:
	v_cmp_ne_u32_e32 vcc, 25, v0
	s_and_saveexec_b64 s[6:7], vcc
	s_cbranch_execz .LBB28_695
; %bb.692:
	v_mov_b32_e32 v31, 0x84
	v_lshl_add_u32 v34, v0, 2, v31
	v_mov_b32_e32 v32, v1
	s_mov_b64 s[8:9], 0
	v_mov_b32_e32 v31, v0
.LBB28_693:                             ; =>This Inner Loop Header: Depth=1
	v_add_co_u32_e32 v31, vcc, 1, v31
	v_addc_co_u32_e32 v32, vcc, 0, v32, vcc
	v_cmp_eq_u32_e32 vcc, 1, v31
	v_cndmask_b32_e32 v36, v2, v3, vcc
	v_cmp_lt_u32_e32 vcc, 24, v31
	v_cmp_eq_u32_e64 s[2:3], 2, v31
	v_cndmask_b32_e64 v36, v36, v4, s[2:3]
	s_or_b64 s[8:9], vcc, s[8:9]
	v_cmp_eq_u32_e32 vcc, 3, v31
	v_cndmask_b32_e32 v36, v36, v5, vcc
	v_cmp_eq_u32_e32 vcc, 4, v31
	v_cndmask_b32_e32 v36, v36, v6, vcc
	;; [unrolled: 2-line block ×21, first 2 shown]
	v_cmp_eq_u32_e32 vcc, 24, v31
	ds_read_b32 v35, v34
	v_cndmask_b32_e32 v36, v36, v26, vcc
	v_cmp_eq_u32_e32 vcc, 25, v31
	v_cndmask_b32_e32 v36, v36, v27, vcc
	v_cmp_eq_u32_e32 vcc, 26, v31
	;; [unrolled: 2-line block ×3, first 2 shown]
	s_waitcnt vmcnt(1)
	v_cndmask_b32_e32 v36, v36, v29, vcc
	v_cmp_eq_u32_e32 vcc, 28, v31
	s_waitcnt vmcnt(0)
	v_cndmask_b32_e32 v36, v36, v30, vcc
	v_add_u32_e32 v34, 4, v34
	s_waitcnt lgkmcnt(0)
	v_fmac_f32_e32 v33, v36, v35
	s_andn2_b64 exec, exec, s[8:9]
	s_cbranch_execnz .LBB28_693
; %bb.694:
	s_or_b64 exec, exec, s[8:9]
.LBB28_695:
	s_or_b64 exec, exec, s[6:7]
	v_mov_b32_e32 v28, 0
	ds_read_b32 v28, v28 offset:104
	s_waitcnt lgkmcnt(0)
	v_mul_f32_e32 v28, v33, v28
.LBB28_696:
	s_or_b64 exec, exec, s[4:5]
	v_cmp_gt_u32_e64 s[2:3], 27, v0
	s_waitcnt vmcnt(1)
	ds_write_b32 v121, v29
	s_waitcnt lgkmcnt(0)
	; wave barrier
	s_and_saveexec_b64 s[6:7], s[2:3]
	s_cbranch_execz .LBB28_706
; %bb.697:
	s_and_b64 vcc, exec, s[0:1]
	s_cbranch_vccnz .LBB28_699
; %bb.698:
	v_cmp_eq_u32_e32 vcc, 1, v0
	v_cndmask_b32_e32 v31, v2, v3, vcc
	v_cmp_eq_u32_e32 vcc, 2, v0
	v_cndmask_b32_e32 v31, v31, v4, vcc
	;; [unrolled: 2-line block ×24, first 2 shown]
	v_cmp_eq_u32_e32 vcc, 25, v0
	ds_read_b32 v32, v121
	v_cndmask_b32_e32 v31, v31, v27, vcc
	v_cmp_eq_u32_e32 vcc, 26, v0
	v_cndmask_b32_e32 v31, v31, v28, vcc
	v_cmp_eq_u32_e32 vcc, 27, v0
	;; [unrolled: 2-line block ×3, first 2 shown]
	s_waitcnt vmcnt(0)
	v_cndmask_b32_e32 v31, v31, v30, vcc
	s_waitcnt lgkmcnt(0)
	v_mul_f32_e32 v33, v31, v32
	s_cbranch_execz .LBB28_700
	s_branch .LBB28_701
.LBB28_699:
                                        ; implicit-def: $vgpr33
.LBB28_700:
	ds_read_b32 v33, v121
.LBB28_701:
	v_cmp_ne_u32_e32 vcc, 26, v0
	s_and_saveexec_b64 s[8:9], vcc
	s_cbranch_execz .LBB28_705
; %bb.702:
	v_mov_b32_e32 v31, 0x84
	v_lshl_add_u32 v34, v0, 2, v31
	v_mov_b32_e32 v32, v1
	s_mov_b64 s[10:11], 0
	v_mov_b32_e32 v31, v0
.LBB28_703:                             ; =>This Inner Loop Header: Depth=1
	v_add_co_u32_e32 v31, vcc, 1, v31
	v_addc_co_u32_e32 v32, vcc, 0, v32, vcc
	v_cmp_eq_u32_e32 vcc, 1, v31
	v_cndmask_b32_e32 v36, v2, v3, vcc
	v_cmp_lt_u32_e32 vcc, 25, v31
	v_cmp_eq_u32_e64 s[4:5], 2, v31
	v_cndmask_b32_e64 v36, v36, v4, s[4:5]
	s_or_b64 s[10:11], vcc, s[10:11]
	v_cmp_eq_u32_e32 vcc, 3, v31
	v_cndmask_b32_e32 v36, v36, v5, vcc
	v_cmp_eq_u32_e32 vcc, 4, v31
	v_cndmask_b32_e32 v36, v36, v6, vcc
	;; [unrolled: 2-line block ×21, first 2 shown]
	v_cmp_eq_u32_e32 vcc, 24, v31
	ds_read_b32 v35, v34
	v_cndmask_b32_e32 v36, v36, v26, vcc
	v_cmp_eq_u32_e32 vcc, 25, v31
	v_cndmask_b32_e32 v36, v36, v27, vcc
	v_cmp_eq_u32_e32 vcc, 26, v31
	;; [unrolled: 2-line block ×4, first 2 shown]
	s_waitcnt vmcnt(0)
	v_cndmask_b32_e32 v36, v36, v30, vcc
	v_add_u32_e32 v34, 4, v34
	s_waitcnt lgkmcnt(0)
	v_fmac_f32_e32 v33, v36, v35
	s_andn2_b64 exec, exec, s[10:11]
	s_cbranch_execnz .LBB28_703
; %bb.704:
	s_or_b64 exec, exec, s[10:11]
.LBB28_705:
	s_or_b64 exec, exec, s[8:9]
	v_mov_b32_e32 v29, 0
	ds_read_b32 v29, v29 offset:108
	s_waitcnt lgkmcnt(0)
	v_mul_f32_e32 v29, v33, v29
.LBB28_706:
	s_or_b64 exec, exec, s[6:7]
	v_cmp_ne_u32_e32 vcc, 28, v0
	s_waitcnt vmcnt(0)
	ds_write_b32 v121, v30
	s_waitcnt lgkmcnt(0)
	; wave barrier
	s_and_saveexec_b64 s[4:5], vcc
	s_cbranch_execz .LBB28_716
; %bb.707:
	s_and_b64 vcc, exec, s[0:1]
	s_cbranch_vccnz .LBB28_709
; %bb.708:
	v_cmp_eq_u32_e32 vcc, 1, v0
	v_cndmask_b32_e32 v31, v2, v3, vcc
	v_cmp_eq_u32_e32 vcc, 2, v0
	v_cndmask_b32_e32 v31, v31, v4, vcc
	;; [unrolled: 2-line block ×24, first 2 shown]
	v_cmp_eq_u32_e32 vcc, 25, v0
	ds_read_b32 v32, v121
	v_cndmask_b32_e32 v31, v31, v27, vcc
	v_cmp_eq_u32_e32 vcc, 26, v0
	v_cndmask_b32_e32 v31, v31, v28, vcc
	v_cmp_eq_u32_e32 vcc, 27, v0
	v_cndmask_b32_e32 v31, v31, v29, vcc
	v_cmp_eq_u32_e32 vcc, 28, v0
	v_cndmask_b32_e32 v31, v31, v30, vcc
	s_waitcnt lgkmcnt(0)
	v_mul_f32_e32 v31, v31, v32
	s_cbranch_execz .LBB28_710
	s_branch .LBB28_711
.LBB28_709:
                                        ; implicit-def: $vgpr31
.LBB28_710:
	ds_read_b32 v31, v121
.LBB28_711:
	s_and_saveexec_b64 s[6:7], s[2:3]
	s_cbranch_execz .LBB28_715
; %bb.712:
	v_mov_b32_e32 v32, 0x84
	v_lshl_add_u32 v32, v0, 2, v32
	s_mov_b64 s[2:3], 0
.LBB28_713:                             ; =>This Inner Loop Header: Depth=1
	v_add_co_u32_e32 v0, vcc, 1, v0
	v_addc_co_u32_e32 v1, vcc, 0, v1, vcc
	v_cmp_eq_u32_e32 vcc, 1, v0
	v_cndmask_b32_e32 v34, v2, v3, vcc
	v_cmp_lt_u32_e32 vcc, 26, v0
	v_cmp_eq_u32_e64 s[0:1], 2, v0
	v_cndmask_b32_e64 v34, v34, v4, s[0:1]
	s_or_b64 s[2:3], vcc, s[2:3]
	v_cmp_eq_u32_e32 vcc, 3, v0
	v_cndmask_b32_e32 v34, v34, v5, vcc
	v_cmp_eq_u32_e32 vcc, 4, v0
	v_cndmask_b32_e32 v34, v34, v6, vcc
	;; [unrolled: 2-line block ×21, first 2 shown]
	v_cmp_eq_u32_e32 vcc, 24, v0
	ds_read_b32 v33, v32
	v_cndmask_b32_e32 v34, v34, v26, vcc
	v_cmp_eq_u32_e32 vcc, 25, v0
	v_cndmask_b32_e32 v34, v34, v27, vcc
	v_cmp_eq_u32_e32 vcc, 26, v0
	;; [unrolled: 2-line block ×4, first 2 shown]
	v_cndmask_b32_e32 v34, v34, v30, vcc
	v_add_u32_e32 v32, 4, v32
	s_waitcnt lgkmcnt(0)
	v_fmac_f32_e32 v31, v34, v33
	s_andn2_b64 exec, exec, s[2:3]
	s_cbranch_execnz .LBB28_713
; %bb.714:
	s_or_b64 exec, exec, s[2:3]
.LBB28_715:
	s_or_b64 exec, exec, s[6:7]
	v_mov_b32_e32 v0, 0
	ds_read_b32 v0, v0 offset:112
	s_waitcnt lgkmcnt(0)
	v_mul_f32_e32 v30, v31, v0
.LBB28_716:
	s_or_b64 exec, exec, s[4:5]
	v_mov_b32_e32 v62, v33
	v_mov_b32_e32 v61, v32
	;; [unrolled: 1-line block ×32, first 2 shown]
.LBB28_717:
	global_store_dword v[117:118], v31, off
	global_store_dword v[119:120], v32, off
	;; [unrolled: 1-line block ×29, first 2 shown]
.LBB28_718:
	s_endpgm
	.section	.rodata,"a",@progbits
	.p2align	6, 0x0
	.amdhsa_kernel _ZN9rocsolver6v33100L18trti2_kernel_smallILi29EfPfEEv13rocblas_fill_17rocblas_diagonal_T1_iil
		.amdhsa_group_segment_fixed_size 244
		.amdhsa_private_segment_fixed_size 0
		.amdhsa_kernarg_size 32
		.amdhsa_user_sgpr_count 6
		.amdhsa_user_sgpr_private_segment_buffer 1
		.amdhsa_user_sgpr_dispatch_ptr 0
		.amdhsa_user_sgpr_queue_ptr 0
		.amdhsa_user_sgpr_kernarg_segment_ptr 1
		.amdhsa_user_sgpr_dispatch_id 0
		.amdhsa_user_sgpr_flat_scratch_init 0
		.amdhsa_user_sgpr_private_segment_size 0
		.amdhsa_uses_dynamic_stack 0
		.amdhsa_system_sgpr_private_segment_wavefront_offset 0
		.amdhsa_system_sgpr_workgroup_id_x 1
		.amdhsa_system_sgpr_workgroup_id_y 0
		.amdhsa_system_sgpr_workgroup_id_z 0
		.amdhsa_system_sgpr_workgroup_info 0
		.amdhsa_system_vgpr_workitem_id 0
		.amdhsa_next_free_vgpr 139
		.amdhsa_next_free_sgpr 68
		.amdhsa_reserve_vcc 1
		.amdhsa_reserve_flat_scratch 0
		.amdhsa_float_round_mode_32 0
		.amdhsa_float_round_mode_16_64 0
		.amdhsa_float_denorm_mode_32 3
		.amdhsa_float_denorm_mode_16_64 3
		.amdhsa_dx10_clamp 1
		.amdhsa_ieee_mode 1
		.amdhsa_fp16_overflow 0
		.amdhsa_exception_fp_ieee_invalid_op 0
		.amdhsa_exception_fp_denorm_src 0
		.amdhsa_exception_fp_ieee_div_zero 0
		.amdhsa_exception_fp_ieee_overflow 0
		.amdhsa_exception_fp_ieee_underflow 0
		.amdhsa_exception_fp_ieee_inexact 0
		.amdhsa_exception_int_div_zero 0
	.end_amdhsa_kernel
	.section	.text._ZN9rocsolver6v33100L18trti2_kernel_smallILi29EfPfEEv13rocblas_fill_17rocblas_diagonal_T1_iil,"axG",@progbits,_ZN9rocsolver6v33100L18trti2_kernel_smallILi29EfPfEEv13rocblas_fill_17rocblas_diagonal_T1_iil,comdat
.Lfunc_end28:
	.size	_ZN9rocsolver6v33100L18trti2_kernel_smallILi29EfPfEEv13rocblas_fill_17rocblas_diagonal_T1_iil, .Lfunc_end28-_ZN9rocsolver6v33100L18trti2_kernel_smallILi29EfPfEEv13rocblas_fill_17rocblas_diagonal_T1_iil
                                        ; -- End function
	.set _ZN9rocsolver6v33100L18trti2_kernel_smallILi29EfPfEEv13rocblas_fill_17rocblas_diagonal_T1_iil.num_vgpr, 139
	.set _ZN9rocsolver6v33100L18trti2_kernel_smallILi29EfPfEEv13rocblas_fill_17rocblas_diagonal_T1_iil.num_agpr, 0
	.set _ZN9rocsolver6v33100L18trti2_kernel_smallILi29EfPfEEv13rocblas_fill_17rocblas_diagonal_T1_iil.numbered_sgpr, 68
	.set _ZN9rocsolver6v33100L18trti2_kernel_smallILi29EfPfEEv13rocblas_fill_17rocblas_diagonal_T1_iil.num_named_barrier, 0
	.set _ZN9rocsolver6v33100L18trti2_kernel_smallILi29EfPfEEv13rocblas_fill_17rocblas_diagonal_T1_iil.private_seg_size, 0
	.set _ZN9rocsolver6v33100L18trti2_kernel_smallILi29EfPfEEv13rocblas_fill_17rocblas_diagonal_T1_iil.uses_vcc, 1
	.set _ZN9rocsolver6v33100L18trti2_kernel_smallILi29EfPfEEv13rocblas_fill_17rocblas_diagonal_T1_iil.uses_flat_scratch, 0
	.set _ZN9rocsolver6v33100L18trti2_kernel_smallILi29EfPfEEv13rocblas_fill_17rocblas_diagonal_T1_iil.has_dyn_sized_stack, 0
	.set _ZN9rocsolver6v33100L18trti2_kernel_smallILi29EfPfEEv13rocblas_fill_17rocblas_diagonal_T1_iil.has_recursion, 0
	.set _ZN9rocsolver6v33100L18trti2_kernel_smallILi29EfPfEEv13rocblas_fill_17rocblas_diagonal_T1_iil.has_indirect_call, 0
	.section	.AMDGPU.csdata,"",@progbits
; Kernel info:
; codeLenInByte = 47612
; TotalNumSgprs: 72
; NumVgprs: 139
; ScratchSize: 0
; MemoryBound: 0
; FloatMode: 240
; IeeeMode: 1
; LDSByteSize: 244 bytes/workgroup (compile time only)
; SGPRBlocks: 8
; VGPRBlocks: 34
; NumSGPRsForWavesPerEU: 72
; NumVGPRsForWavesPerEU: 139
; Occupancy: 1
; WaveLimiterHint : 0
; COMPUTE_PGM_RSRC2:SCRATCH_EN: 0
; COMPUTE_PGM_RSRC2:USER_SGPR: 6
; COMPUTE_PGM_RSRC2:TRAP_HANDLER: 0
; COMPUTE_PGM_RSRC2:TGID_X_EN: 1
; COMPUTE_PGM_RSRC2:TGID_Y_EN: 0
; COMPUTE_PGM_RSRC2:TGID_Z_EN: 0
; COMPUTE_PGM_RSRC2:TIDIG_COMP_CNT: 0
	.section	.text._ZN9rocsolver6v33100L18trti2_kernel_smallILi30EfPfEEv13rocblas_fill_17rocblas_diagonal_T1_iil,"axG",@progbits,_ZN9rocsolver6v33100L18trti2_kernel_smallILi30EfPfEEv13rocblas_fill_17rocblas_diagonal_T1_iil,comdat
	.globl	_ZN9rocsolver6v33100L18trti2_kernel_smallILi30EfPfEEv13rocblas_fill_17rocblas_diagonal_T1_iil ; -- Begin function _ZN9rocsolver6v33100L18trti2_kernel_smallILi30EfPfEEv13rocblas_fill_17rocblas_diagonal_T1_iil
	.p2align	8
	.type	_ZN9rocsolver6v33100L18trti2_kernel_smallILi30EfPfEEv13rocblas_fill_17rocblas_diagonal_T1_iil,@function
_ZN9rocsolver6v33100L18trti2_kernel_smallILi30EfPfEEv13rocblas_fill_17rocblas_diagonal_T1_iil: ; @_ZN9rocsolver6v33100L18trti2_kernel_smallILi30EfPfEEv13rocblas_fill_17rocblas_diagonal_T1_iil
; %bb.0:
	v_cmp_gt_u32_e32 vcc, 30, v0
	s_and_saveexec_b64 s[0:1], vcc
	s_cbranch_execz .LBB29_744
; %bb.1:
	s_load_dwordx8 s[64:71], s[4:5], 0x0
	s_ashr_i32 s2, s6, 31
	v_lshlrev_b32_e32 v32, 2, v0
	v_mov_b32_e32 v33, -1.0
	s_waitcnt lgkmcnt(0)
	s_mul_hi_u32 s3, s70, s6
	s_mul_i32 s2, s70, s2
	s_add_i32 s2, s3, s2
	s_mul_i32 s3, s71, s6
	s_add_i32 s3, s2, s3
	s_mul_i32 s2, s70, s6
	s_ashr_i32 s1, s68, 31
	s_lshl_b64 s[2:3], s[2:3], 2
	s_mov_b32 s0, s68
	s_add_u32 s2, s66, s2
	s_addc_u32 s3, s67, s3
	s_lshl_b64 s[0:1], s[0:1], 2
	s_add_u32 s0, s2, s0
	s_addc_u32 s1, s3, s1
	s_add_i32 s2, s69, s69
	v_add_u32_e32 v1, s2, v0
	v_ashrrev_i32_e32 v2, 31, v1
	v_lshlrev_b64 v[2:3], 2, v[1:2]
	v_add_u32_e32 v1, s69, v1
	v_mov_b32_e32 v4, s1
	v_add_co_u32_e32 v64, vcc, s0, v2
	v_ashrrev_i32_e32 v2, 31, v1
	v_addc_co_u32_e32 v65, vcc, v4, v3, vcc
	v_lshlrev_b64 v[2:3], 2, v[1:2]
	v_add_u32_e32 v1, s69, v1
	v_add_co_u32_e32 v66, vcc, s0, v2
	v_ashrrev_i32_e32 v2, 31, v1
	v_addc_co_u32_e32 v67, vcc, v4, v3, vcc
	v_lshlrev_b64 v[2:3], 2, v[1:2]
	v_add_u32_e32 v1, s69, v1
	;; [unrolled: 5-line block ×26, first 2 shown]
	v_add_co_u32_e32 v116, vcc, s0, v2
	v_ashrrev_i32_e32 v2, 31, v1
	v_lshlrev_b64 v[1:2], 2, v[1:2]
	v_addc_co_u32_e32 v117, vcc, v4, v3, vcc
	v_mov_b32_e32 v3, s1
	v_add_co_u32_e32 v118, vcc, s0, v1
	v_addc_co_u32_e32 v119, vcc, v3, v2, vcc
	v_mov_b32_e32 v1, s1
	v_add_co_u32_e32 v120, vcc, s0, v32
	s_ashr_i32 s3, s69, 31
	s_mov_b32 s2, s69
	v_addc_co_u32_e32 v121, vcc, 0, v1, vcc
	s_lshl_b64 s[2:3], s[2:3], 2
	v_mov_b32_e32 v1, s3
	v_add_co_u32_e32 v122, vcc, s2, v120
	v_addc_co_u32_e32 v123, vcc, v121, v1, vcc
	global_load_dword v3, v[122:123], off
	global_load_dword v4, v[64:65], off
	;; [unrolled: 1-line block ×24, first 2 shown]
	global_load_dword v2, v32, s[0:1]
	global_load_dword v27, v[110:111], off
	global_load_dword v28, v[112:113], off
	;; [unrolled: 1-line block ×5, first 2 shown]
	s_cmpk_lg_i32 s65, 0x84
	v_mov_b32_e32 v1, 0
	s_cselect_b64 s[62:63], -1, 0
	s_cmpk_eq_i32 s65, 0x84
	v_cmp_eq_u32_e64 s[0:1], 0, v0
	s_cbranch_scc1 .LBB29_3
; %bb.2:
	v_cmp_eq_u32_e64 s[2:3], 1, v0
	s_waitcnt vmcnt(5)
	v_cndmask_b32_e64 v33, v2, v3, s[2:3]
	v_cmp_eq_u32_e64 s[4:5], 2, v0
	v_cndmask_b32_e64 v33, v33, v4, s[4:5]
	v_cmp_eq_u32_e64 s[6:7], 3, v0
	;; [unrolled: 2-line block ×24, first 2 shown]
	s_waitcnt vmcnt(4)
	v_cndmask_b32_e64 v33, v33, v27, s[52:53]
	v_cmp_eq_u32_e64 s[54:55], 26, v0
	s_waitcnt vmcnt(3)
	v_cndmask_b32_e64 v33, v33, v28, s[54:55]
	v_cmp_eq_u32_e64 s[56:57], 27, v0
	;; [unrolled: 3-line block ×4, first 2 shown]
	s_waitcnt vmcnt(0)
	v_cndmask_b32_e64 v33, v33, v31, s[60:61]
	v_div_scale_f32 v34, s[66:67], v33, v33, 1.0
	v_div_scale_f32 v35, vcc, 1.0, v33, 1.0
	v_rcp_f32_e32 v36, v34
	v_fma_f32 v37, -v34, v36, 1.0
	v_fmac_f32_e32 v36, v37, v36
	v_mul_f32_e32 v37, v35, v36
	v_fma_f32 v38, -v34, v37, v35
	v_fmac_f32_e32 v37, v38, v36
	v_fma_f32 v34, -v34, v37, v35
	v_div_fmas_f32 v34, v34, v36, v37
	v_div_fixup_f32 v33, v34, v33, 1.0
	v_cndmask_b32_e64 v31, v31, v33, s[60:61]
	v_cndmask_b32_e64 v30, v30, v33, s[58:59]
	;; [unrolled: 1-line block ×30, first 2 shown]
	v_xor_b32_e32 v33, 0x80000000, v33
.LBB29_3:
	s_cmpk_eq_i32 s64, 0x79
	v_add_u32_e32 v124, 0x80, v32
	ds_write_b32 v32, v33
	s_cbranch_scc1 .LBB29_7
; %bb.4:
	s_waitcnt vmcnt(0)
	v_mov_b32_e32 v63, v33
	v_mov_b32_e32 v62, v32
	;; [unrolled: 1-line block ×32, first 2 shown]
	v_cmp_eq_u32_e64 s[0:1], 29, v0
	ds_write_b32 v124, v30
	s_waitcnt lgkmcnt(0)
	; wave barrier
	s_and_saveexec_b64 s[2:3], s[0:1]
	s_cbranch_execz .LBB29_11
; %bb.5:
	s_and_b64 vcc, exec, s[62:63]
	s_cbranch_vccz .LBB29_8
; %bb.6:
	v_cmp_eq_u32_e32 vcc, 1, v0
	v_cndmask_b32_e32 v32, v2, v3, vcc
	v_cmp_eq_u32_e32 vcc, 2, v0
	v_cndmask_b32_e32 v32, v32, v4, vcc
	;; [unrolled: 2-line block ×25, first 2 shown]
	v_cmp_eq_u32_e32 vcc, 26, v0
	ds_read_b32 v33, v124
	v_cndmask_b32_e32 v32, v32, v28, vcc
	v_cmp_eq_u32_e32 vcc, 27, v0
	v_cndmask_b32_e32 v32, v32, v29, vcc
	v_cmp_eq_u32_e32 vcc, 28, v0
	;; [unrolled: 2-line block ×3, first 2 shown]
	v_cndmask_b32_e32 v32, v32, v31, vcc
	s_waitcnt lgkmcnt(0)
	v_mul_f32_e32 v36, v32, v33
	s_cbranch_execz .LBB29_9
	s_branch .LBB29_10
.LBB29_7:
                                        ; implicit-def: $vgpr32_vgpr33_vgpr34_vgpr35_vgpr36_vgpr37_vgpr38_vgpr39_vgpr40_vgpr41_vgpr42_vgpr43_vgpr44_vgpr45_vgpr46_vgpr47_vgpr48_vgpr49_vgpr50_vgpr51_vgpr52_vgpr53_vgpr54_vgpr55_vgpr56_vgpr57_vgpr58_vgpr59_vgpr60_vgpr61_vgpr62_vgpr63
	s_cbranch_execnz .LBB29_450
	s_branch .LBB29_743
.LBB29_8:
                                        ; implicit-def: $vgpr36
.LBB29_9:
	ds_read_b32 v36, v124
.LBB29_10:
	v_mov_b32_e32 v32, 0
	ds_read_b32 v37, v32 offset:112
	v_mov_b32_e32 v32, v2
	v_mov_b32_e32 v33, v3
	;; [unrolled: 1-line block ×4, first 2 shown]
	s_waitcnt lgkmcnt(0)
	v_mul_f32_e32 v60, v36, v37
	v_mov_b32_e32 v36, v6
	v_mov_b32_e32 v37, v7
	;; [unrolled: 1-line block ×25, first 2 shown]
.LBB29_11:
	s_or_b64 exec, exec, s[2:3]
	v_cmp_lt_u32_e64 s[2:3], 27, v0
	ds_write_b32 v124, v59
	s_waitcnt lgkmcnt(0)
	; wave barrier
	s_and_saveexec_b64 s[4:5], s[2:3]
	s_cbranch_execz .LBB29_17
; %bb.12:
	s_andn2_b64 vcc, exec, s[62:63]
	s_cbranch_vccnz .LBB29_14
; %bb.13:
	v_cmp_eq_u32_e32 vcc, 1, v0
	v_cndmask_b32_e32 v62, v32, v33, vcc
	v_cmp_eq_u32_e32 vcc, 2, v0
	v_cndmask_b32_e32 v62, v62, v34, vcc
	;; [unrolled: 2-line block ×27, first 2 shown]
	ds_read_b32 v62, v124
	v_cmp_eq_u32_e32 vcc, 28, v0
	v_cndmask_b32_e32 v59, v59, v60, vcc
	v_cmp_eq_u32_e32 vcc, 29, v0
	v_cndmask_b32_e32 v59, v59, v61, vcc
	s_waitcnt lgkmcnt(0)
	v_mul_f32_e32 v59, v59, v62
	s_cbranch_execz .LBB29_15
	s_branch .LBB29_16
.LBB29_14:
                                        ; implicit-def: $vgpr59
.LBB29_15:
	ds_read_b32 v59, v124
.LBB29_16:
	v_mov_b32_e32 v62, 0
	ds_read2_b32 v[62:63], v62 offset0:27 offset1:60
	s_waitcnt lgkmcnt(0)
	v_fma_f32 v63, v60, v63, v59
	v_cndmask_b32_e64 v59, v59, v63, s[0:1]
	v_mul_f32_e32 v59, v59, v62
.LBB29_17:
	s_or_b64 exec, exec, s[4:5]
	v_cmp_lt_u32_e64 s[0:1], 26, v0
	ds_write_b32 v124, v58
	s_waitcnt lgkmcnt(0)
	; wave barrier
	s_and_saveexec_b64 s[4:5], s[0:1]
	s_cbranch_execz .LBB29_33
; %bb.18:
	s_andn2_b64 vcc, exec, s[62:63]
	s_cbranch_vccnz .LBB29_20
; %bb.19:
	v_cmp_eq_u32_e32 vcc, 1, v0
	v_cndmask_b32_e32 v125, v32, v33, vcc
	v_cmp_eq_u32_e32 vcc, 2, v0
	v_cndmask_b32_e32 v125, v125, v34, vcc
	;; [unrolled: 2-line block ×25, first 2 shown]
	v_cmp_eq_u32_e32 vcc, 26, v0
	ds_read_b32 v126, v124
	v_cndmask_b32_e32 v125, v125, v58, vcc
	v_cmp_eq_u32_e32 vcc, 27, v0
	v_cndmask_b32_e32 v125, v125, v59, vcc
	v_cmp_eq_u32_e32 vcc, 28, v0
	;; [unrolled: 2-line block ×3, first 2 shown]
	v_cndmask_b32_e32 v125, v125, v61, vcc
	s_waitcnt lgkmcnt(0)
	v_mul_f32_e32 v125, v125, v126
	s_cbranch_execz .LBB29_21
	s_branch .LBB29_22
.LBB29_20:
                                        ; implicit-def: $vgpr125
.LBB29_21:
	ds_read_b32 v125, v124
.LBB29_22:
	s_and_saveexec_b64 s[6:7], s[2:3]
	s_cbranch_execz .LBB29_32
; %bb.23:
	v_subrev_u32_e32 v128, 28, v0
	v_mov_b32_e32 v126, 27
	v_subrev_u32_e32 v127, 27, v0
	v_cmp_lt_u32_e32 vcc, 6, v128
	s_and_saveexec_b64 s[2:3], vcc
	s_cbranch_execz .LBB29_27
; %bb.24:
	v_and_b32_e32 v126, -8, v127
	v_sub_u32_e32 v128, 0, v126
	s_mov_b64 s[8:9], 34
	s_movk_i32 s12, 0xec
	s_mov_b64 s[10:11], 0
.LBB29_25:                              ; =>This Inner Loop Header: Depth=1
	s_add_i32 s13, s8, -7
	v_mov_b32_e32 v126, s12
	s_add_i32 s14, s8, -6
	s_set_gpr_idx_on s13, gpr_idx(SRC0)
	v_mov_b32_e32 v135, v32
	s_set_gpr_idx_off
	ds_read2_b32 v[129:130], v126 offset1:1
	s_add_i32 s15, s8, -5
	s_set_gpr_idx_on s14, gpr_idx(SRC0)
	v_mov_b32_e32 v136, v32
	s_set_gpr_idx_off
	s_add_i32 s16, s8, -4
	s_set_gpr_idx_on s15, gpr_idx(SRC0)
	v_mov_b32_e32 v137, v32
	s_set_gpr_idx_off
	ds_read2_b32 v[131:132], v126 offset0:2 offset1:3
	s_add_i32 s17, s8, -3
	s_set_gpr_idx_on s16, gpr_idx(SRC0)
	v_mov_b32_e32 v138, v32
	s_set_gpr_idx_off
	s_add_i32 s18, s8, -2
	s_set_gpr_idx_on s17, gpr_idx(SRC0)
	v_mov_b32_e32 v139, v32
	s_set_gpr_idx_off
	ds_read2_b32 v[133:134], v126 offset0:4 offset1:5
	s_add_i32 s19, s8, -1
	s_waitcnt lgkmcnt(2)
	v_fmac_f32_e32 v125, v135, v129
	s_set_gpr_idx_on s18, gpr_idx(SRC0)
	v_mov_b32_e32 v135, v32
	s_set_gpr_idx_off
	v_fmac_f32_e32 v125, v136, v130
	s_set_gpr_idx_on s19, gpr_idx(SRC0)
	v_mov_b32_e32 v136, v32
	s_set_gpr_idx_off
	ds_read2_b32 v[129:130], v126 offset0:6 offset1:7
	s_waitcnt lgkmcnt(2)
	v_fmac_f32_e32 v125, v137, v131
	s_set_gpr_idx_on s8, gpr_idx(SRC0)
	v_mov_b32_e32 v131, v32
	s_set_gpr_idx_off
	v_fmac_f32_e32 v125, v138, v132
	s_add_u32 s8, s8, 8
	s_waitcnt lgkmcnt(1)
	v_fmac_f32_e32 v125, v139, v133
	v_add_u32_e32 v126, s8, v128
	v_fmac_f32_e32 v125, v135, v134
	s_addc_u32 s9, s9, 0
	s_add_i32 s12, s12, 32
	s_add_i32 s13, s8, -7
	v_cmp_eq_u32_e32 vcc, 34, v126
	s_waitcnt lgkmcnt(0)
	v_fmac_f32_e32 v125, v136, v129
	v_mov_b32_e32 v126, s13
	s_or_b64 s[10:11], vcc, s[10:11]
	v_fmac_f32_e32 v125, v131, v130
	s_andn2_b64 exec, exec, s[10:11]
	s_cbranch_execnz .LBB29_25
; %bb.26:
	s_or_b64 exec, exec, s[10:11]
.LBB29_27:
	s_or_b64 exec, exec, s[2:3]
	v_and_b32_e32 v62, 7, v127
	v_cmp_ne_u32_e32 vcc, 0, v62
	s_and_saveexec_b64 s[8:9], vcc
	s_cbranch_execz .LBB29_31
; %bb.28:
	v_mov_b32_e32 v63, 0x80
	v_lshl_add_u32 v63, v126, 2, v63
	v_mov_b32_e32 v127, 0
	s_mov_b64 s[10:11], 0
.LBB29_29:                              ; =>This Inner Loop Header: Depth=1
	v_cmp_eq_u32_e32 vcc, 1, v126
	v_cndmask_b32_e32 v128, v32, v33, vcc
	v_add_u32_e32 v62, -1, v62
	v_cmp_eq_u32_e32 vcc, 2, v126
	v_cndmask_b32_e32 v128, v128, v34, vcc
	v_cmp_eq_u32_e32 vcc, 0, v62
	v_cmp_eq_u32_e64 s[2:3], 3, v126
	v_cndmask_b32_e64 v128, v128, v35, s[2:3]
	s_or_b64 s[10:11], vcc, s[10:11]
	v_cmp_eq_u32_e32 vcc, 4, v126
	v_cndmask_b32_e32 v128, v128, v36, vcc
	v_cmp_eq_u32_e32 vcc, 5, v126
	v_cndmask_b32_e32 v128, v128, v37, vcc
	;; [unrolled: 2-line block ×21, first 2 shown]
	v_cmp_eq_u32_e32 vcc, 25, v126
	ds_read_b32 v129, v63
	v_cndmask_b32_e32 v128, v128, v57, vcc
	v_cmp_eq_u32_e32 vcc, 26, v126
	v_cndmask_b32_e32 v128, v128, v58, vcc
	v_cmp_eq_u32_e32 vcc, 27, v126
	;; [unrolled: 2-line block ×4, first 2 shown]
	v_add_co_u32_e64 v126, s[2:3], 1, v126
	v_cndmask_b32_e32 v128, v128, v61, vcc
	v_add_u32_e32 v63, 4, v63
	v_addc_co_u32_e64 v127, s[2:3], 0, v127, s[2:3]
	s_waitcnt lgkmcnt(0)
	v_fmac_f32_e32 v125, v128, v129
	s_andn2_b64 exec, exec, s[10:11]
	s_cbranch_execnz .LBB29_29
; %bb.30:
	s_or_b64 exec, exec, s[10:11]
.LBB29_31:
	s_or_b64 exec, exec, s[8:9]
.LBB29_32:
	s_or_b64 exec, exec, s[6:7]
	v_mov_b32_e32 v58, 0
	ds_read_b32 v58, v58 offset:104
	s_waitcnt lgkmcnt(0)
	v_mul_f32_e32 v58, v125, v58
.LBB29_33:
	s_or_b64 exec, exec, s[4:5]
	v_cmp_lt_u32_e64 s[2:3], 25, v0
	ds_write_b32 v124, v57
	s_waitcnt lgkmcnt(0)
	; wave barrier
	s_and_saveexec_b64 s[4:5], s[2:3]
	s_cbranch_execz .LBB29_49
; %bb.34:
	s_andn2_b64 vcc, exec, s[62:63]
	s_cbranch_vccnz .LBB29_36
; %bb.35:
	v_cmp_eq_u32_e32 vcc, 1, v0
	v_cndmask_b32_e32 v125, v32, v33, vcc
	v_cmp_eq_u32_e32 vcc, 2, v0
	v_cndmask_b32_e32 v125, v125, v34, vcc
	;; [unrolled: 2-line block ×25, first 2 shown]
	v_cmp_eq_u32_e32 vcc, 26, v0
	ds_read_b32 v126, v124
	v_cndmask_b32_e32 v125, v125, v58, vcc
	v_cmp_eq_u32_e32 vcc, 27, v0
	v_cndmask_b32_e32 v125, v125, v59, vcc
	v_cmp_eq_u32_e32 vcc, 28, v0
	;; [unrolled: 2-line block ×3, first 2 shown]
	v_cndmask_b32_e32 v125, v125, v61, vcc
	s_waitcnt lgkmcnt(0)
	v_mul_f32_e32 v125, v125, v126
	s_cbranch_execz .LBB29_37
	s_branch .LBB29_38
.LBB29_36:
                                        ; implicit-def: $vgpr125
.LBB29_37:
	ds_read_b32 v125, v124
.LBB29_38:
	s_and_saveexec_b64 s[6:7], s[0:1]
	s_cbranch_execz .LBB29_48
; %bb.39:
	v_subrev_u32_e32 v128, 27, v0
	v_mov_b32_e32 v126, 26
	v_subrev_u32_e32 v127, 26, v0
	v_cmp_lt_u32_e32 vcc, 6, v128
	s_and_saveexec_b64 s[0:1], vcc
	s_cbranch_execz .LBB29_43
; %bb.40:
	v_and_b32_e32 v126, -8, v127
	v_sub_u32_e32 v128, 0, v126
	s_mov_b64 s[8:9], 33
	s_movk_i32 s12, 0xe8
	s_mov_b64 s[10:11], 0
.LBB29_41:                              ; =>This Inner Loop Header: Depth=1
	s_add_i32 s13, s8, -7
	v_mov_b32_e32 v126, s12
	s_add_i32 s14, s8, -6
	s_set_gpr_idx_on s13, gpr_idx(SRC0)
	v_mov_b32_e32 v137, v32
	s_set_gpr_idx_off
	ds_read2_b64 v[129:132], v126 offset1:1
	s_add_i32 s15, s8, -5
	s_set_gpr_idx_on s14, gpr_idx(SRC0)
	v_mov_b32_e32 v138, v32
	s_set_gpr_idx_off
	s_add_i32 s16, s8, -4
	s_set_gpr_idx_on s15, gpr_idx(SRC0)
	v_mov_b32_e32 v139, v32
	s_set_gpr_idx_off
	;; [unrolled: 4-line block ×4, first 2 shown]
	ds_read2_b64 v[133:136], v126 offset0:2 offset1:3
	s_add_i32 s19, s8, -1
	s_waitcnt lgkmcnt(1)
	v_fmac_f32_e32 v125, v137, v129
	s_set_gpr_idx_on s18, gpr_idx(SRC0)
	v_mov_b32_e32 v129, v32
	s_set_gpr_idx_off
	v_fmac_f32_e32 v125, v138, v130
	s_set_gpr_idx_on s19, gpr_idx(SRC0)
	v_mov_b32_e32 v130, v32
	s_set_gpr_idx_off
	v_fmac_f32_e32 v125, v139, v131
	s_set_gpr_idx_on s8, gpr_idx(SRC0)
	v_mov_b32_e32 v131, v32
	s_set_gpr_idx_off
	v_fmac_f32_e32 v125, v140, v132
	s_add_u32 s8, s8, 8
	s_waitcnt lgkmcnt(0)
	v_fmac_f32_e32 v125, v141, v133
	v_add_u32_e32 v126, s8, v128
	v_fmac_f32_e32 v125, v129, v134
	s_addc_u32 s9, s9, 0
	s_add_i32 s12, s12, 32
	s_add_i32 s13, s8, -7
	v_cmp_eq_u32_e32 vcc, 33, v126
	v_fmac_f32_e32 v125, v130, v135
	v_mov_b32_e32 v126, s13
	s_or_b64 s[10:11], vcc, s[10:11]
	v_fmac_f32_e32 v125, v131, v136
	s_andn2_b64 exec, exec, s[10:11]
	s_cbranch_execnz .LBB29_41
; %bb.42:
	s_or_b64 exec, exec, s[10:11]
.LBB29_43:
	s_or_b64 exec, exec, s[0:1]
	v_and_b32_e32 v62, 7, v127
	v_cmp_ne_u32_e32 vcc, 0, v62
	s_and_saveexec_b64 s[8:9], vcc
	s_cbranch_execz .LBB29_47
; %bb.44:
	v_mov_b32_e32 v63, 0x80
	v_lshl_add_u32 v63, v126, 2, v63
	v_mov_b32_e32 v127, 0
	s_mov_b64 s[10:11], 0
.LBB29_45:                              ; =>This Inner Loop Header: Depth=1
	v_cmp_eq_u32_e32 vcc, 1, v126
	v_cndmask_b32_e32 v128, v32, v33, vcc
	v_add_u32_e32 v62, -1, v62
	v_cmp_eq_u32_e32 vcc, 2, v126
	v_cndmask_b32_e32 v128, v128, v34, vcc
	v_cmp_eq_u32_e32 vcc, 0, v62
	v_cmp_eq_u32_e64 s[0:1], 3, v126
	v_cndmask_b32_e64 v128, v128, v35, s[0:1]
	s_or_b64 s[10:11], vcc, s[10:11]
	v_cmp_eq_u32_e32 vcc, 4, v126
	v_cndmask_b32_e32 v128, v128, v36, vcc
	v_cmp_eq_u32_e32 vcc, 5, v126
	v_cndmask_b32_e32 v128, v128, v37, vcc
	;; [unrolled: 2-line block ×21, first 2 shown]
	v_cmp_eq_u32_e32 vcc, 25, v126
	ds_read_b32 v129, v63
	v_cndmask_b32_e32 v128, v128, v57, vcc
	v_cmp_eq_u32_e32 vcc, 26, v126
	v_cndmask_b32_e32 v128, v128, v58, vcc
	v_cmp_eq_u32_e32 vcc, 27, v126
	;; [unrolled: 2-line block ×4, first 2 shown]
	v_add_co_u32_e64 v126, s[0:1], 1, v126
	v_cndmask_b32_e32 v128, v128, v61, vcc
	v_add_u32_e32 v63, 4, v63
	v_addc_co_u32_e64 v127, s[0:1], 0, v127, s[0:1]
	s_waitcnt lgkmcnt(0)
	v_fmac_f32_e32 v125, v128, v129
	s_andn2_b64 exec, exec, s[10:11]
	s_cbranch_execnz .LBB29_45
; %bb.46:
	s_or_b64 exec, exec, s[10:11]
.LBB29_47:
	s_or_b64 exec, exec, s[8:9]
.LBB29_48:
	s_or_b64 exec, exec, s[6:7]
	v_mov_b32_e32 v57, 0
	ds_read_b32 v57, v57 offset:100
	s_waitcnt lgkmcnt(0)
	v_mul_f32_e32 v57, v125, v57
.LBB29_49:
	s_or_b64 exec, exec, s[4:5]
	v_cmp_lt_u32_e64 s[0:1], 24, v0
	ds_write_b32 v124, v56
	s_waitcnt lgkmcnt(0)
	; wave barrier
	s_and_saveexec_b64 s[4:5], s[0:1]
	s_cbranch_execz .LBB29_65
; %bb.50:
	s_andn2_b64 vcc, exec, s[62:63]
	s_cbranch_vccnz .LBB29_52
; %bb.51:
	v_cmp_eq_u32_e32 vcc, 1, v0
	v_cndmask_b32_e32 v125, v32, v33, vcc
	v_cmp_eq_u32_e32 vcc, 2, v0
	v_cndmask_b32_e32 v125, v125, v34, vcc
	;; [unrolled: 2-line block ×25, first 2 shown]
	v_cmp_eq_u32_e32 vcc, 26, v0
	ds_read_b32 v126, v124
	v_cndmask_b32_e32 v125, v125, v58, vcc
	v_cmp_eq_u32_e32 vcc, 27, v0
	v_cndmask_b32_e32 v125, v125, v59, vcc
	v_cmp_eq_u32_e32 vcc, 28, v0
	;; [unrolled: 2-line block ×3, first 2 shown]
	v_cndmask_b32_e32 v125, v125, v61, vcc
	s_waitcnt lgkmcnt(0)
	v_mul_f32_e32 v125, v125, v126
	s_cbranch_execz .LBB29_53
	s_branch .LBB29_54
.LBB29_52:
                                        ; implicit-def: $vgpr125
.LBB29_53:
	ds_read_b32 v125, v124
.LBB29_54:
	s_and_saveexec_b64 s[6:7], s[2:3]
	s_cbranch_execz .LBB29_64
; %bb.55:
	v_subrev_u32_e32 v128, 26, v0
	v_mov_b32_e32 v126, 25
	v_subrev_u32_e32 v127, 25, v0
	v_cmp_lt_u32_e32 vcc, 6, v128
	s_and_saveexec_b64 s[2:3], vcc
	s_cbranch_execz .LBB29_59
; %bb.56:
	v_and_b32_e32 v126, -8, v127
	v_sub_u32_e32 v128, 0, v126
	s_mov_b64 s[8:9], 32
	s_movk_i32 s12, 0xe4
	s_mov_b64 s[10:11], 0
.LBB29_57:                              ; =>This Inner Loop Header: Depth=1
	s_add_i32 s13, s8, -7
	v_mov_b32_e32 v126, s12
	s_add_i32 s14, s8, -6
	s_set_gpr_idx_on s13, gpr_idx(SRC0)
	v_mov_b32_e32 v135, v32
	s_set_gpr_idx_off
	ds_read2_b32 v[129:130], v126 offset1:1
	s_add_i32 s15, s8, -5
	s_set_gpr_idx_on s14, gpr_idx(SRC0)
	v_mov_b32_e32 v136, v32
	s_set_gpr_idx_off
	s_add_i32 s16, s8, -4
	s_set_gpr_idx_on s15, gpr_idx(SRC0)
	v_mov_b32_e32 v137, v32
	s_set_gpr_idx_off
	ds_read2_b32 v[131:132], v126 offset0:2 offset1:3
	s_add_i32 s17, s8, -3
	s_set_gpr_idx_on s16, gpr_idx(SRC0)
	v_mov_b32_e32 v138, v32
	s_set_gpr_idx_off
	s_add_i32 s18, s8, -2
	s_set_gpr_idx_on s17, gpr_idx(SRC0)
	v_mov_b32_e32 v139, v32
	s_set_gpr_idx_off
	ds_read2_b32 v[133:134], v126 offset0:4 offset1:5
	s_add_i32 s19, s8, -1
	s_waitcnt lgkmcnt(2)
	v_fmac_f32_e32 v125, v135, v129
	s_set_gpr_idx_on s18, gpr_idx(SRC0)
	v_mov_b32_e32 v135, v32
	s_set_gpr_idx_off
	v_fmac_f32_e32 v125, v136, v130
	s_set_gpr_idx_on s19, gpr_idx(SRC0)
	v_mov_b32_e32 v136, v32
	s_set_gpr_idx_off
	ds_read2_b32 v[129:130], v126 offset0:6 offset1:7
	s_waitcnt lgkmcnt(2)
	v_fmac_f32_e32 v125, v137, v131
	s_set_gpr_idx_on s8, gpr_idx(SRC0)
	v_mov_b32_e32 v131, v32
	s_set_gpr_idx_off
	v_fmac_f32_e32 v125, v138, v132
	s_add_u32 s8, s8, 8
	s_waitcnt lgkmcnt(1)
	v_fmac_f32_e32 v125, v139, v133
	v_add_u32_e32 v126, s8, v128
	v_fmac_f32_e32 v125, v135, v134
	s_addc_u32 s9, s9, 0
	s_add_i32 s12, s12, 32
	s_add_i32 s13, s8, -7
	v_cmp_eq_u32_e32 vcc, 32, v126
	s_waitcnt lgkmcnt(0)
	v_fmac_f32_e32 v125, v136, v129
	v_mov_b32_e32 v126, s13
	s_or_b64 s[10:11], vcc, s[10:11]
	v_fmac_f32_e32 v125, v131, v130
	s_andn2_b64 exec, exec, s[10:11]
	s_cbranch_execnz .LBB29_57
; %bb.58:
	s_or_b64 exec, exec, s[10:11]
.LBB29_59:
	s_or_b64 exec, exec, s[2:3]
	v_and_b32_e32 v62, 7, v127
	v_cmp_ne_u32_e32 vcc, 0, v62
	s_and_saveexec_b64 s[8:9], vcc
	s_cbranch_execz .LBB29_63
; %bb.60:
	v_mov_b32_e32 v63, 0x80
	v_lshl_add_u32 v63, v126, 2, v63
	v_mov_b32_e32 v127, 0
	s_mov_b64 s[10:11], 0
.LBB29_61:                              ; =>This Inner Loop Header: Depth=1
	v_cmp_eq_u32_e32 vcc, 1, v126
	v_cndmask_b32_e32 v128, v32, v33, vcc
	v_add_u32_e32 v62, -1, v62
	v_cmp_eq_u32_e32 vcc, 2, v126
	v_cndmask_b32_e32 v128, v128, v34, vcc
	v_cmp_eq_u32_e32 vcc, 0, v62
	v_cmp_eq_u32_e64 s[2:3], 3, v126
	v_cndmask_b32_e64 v128, v128, v35, s[2:3]
	s_or_b64 s[10:11], vcc, s[10:11]
	v_cmp_eq_u32_e32 vcc, 4, v126
	v_cndmask_b32_e32 v128, v128, v36, vcc
	v_cmp_eq_u32_e32 vcc, 5, v126
	v_cndmask_b32_e32 v128, v128, v37, vcc
	;; [unrolled: 2-line block ×21, first 2 shown]
	v_cmp_eq_u32_e32 vcc, 25, v126
	ds_read_b32 v129, v63
	v_cndmask_b32_e32 v128, v128, v57, vcc
	v_cmp_eq_u32_e32 vcc, 26, v126
	v_cndmask_b32_e32 v128, v128, v58, vcc
	v_cmp_eq_u32_e32 vcc, 27, v126
	v_cndmask_b32_e32 v128, v128, v59, vcc
	v_cmp_eq_u32_e32 vcc, 28, v126
	v_cndmask_b32_e32 v128, v128, v60, vcc
	v_cmp_eq_u32_e32 vcc, 29, v126
	v_add_co_u32_e64 v126, s[2:3], 1, v126
	v_cndmask_b32_e32 v128, v128, v61, vcc
	v_add_u32_e32 v63, 4, v63
	v_addc_co_u32_e64 v127, s[2:3], 0, v127, s[2:3]
	s_waitcnt lgkmcnt(0)
	v_fmac_f32_e32 v125, v128, v129
	s_andn2_b64 exec, exec, s[10:11]
	s_cbranch_execnz .LBB29_61
; %bb.62:
	s_or_b64 exec, exec, s[10:11]
.LBB29_63:
	s_or_b64 exec, exec, s[8:9]
.LBB29_64:
	s_or_b64 exec, exec, s[6:7]
	v_mov_b32_e32 v56, 0
	ds_read_b32 v56, v56 offset:96
	s_waitcnt lgkmcnt(0)
	v_mul_f32_e32 v56, v125, v56
.LBB29_65:
	s_or_b64 exec, exec, s[4:5]
	v_cmp_lt_u32_e64 s[2:3], 23, v0
	ds_write_b32 v124, v55
	s_waitcnt lgkmcnt(0)
	; wave barrier
	s_and_saveexec_b64 s[4:5], s[2:3]
	s_cbranch_execz .LBB29_81
; %bb.66:
	s_andn2_b64 vcc, exec, s[62:63]
	s_cbranch_vccnz .LBB29_68
; %bb.67:
	v_cmp_eq_u32_e32 vcc, 1, v0
	v_cndmask_b32_e32 v125, v32, v33, vcc
	v_cmp_eq_u32_e32 vcc, 2, v0
	v_cndmask_b32_e32 v125, v125, v34, vcc
	;; [unrolled: 2-line block ×25, first 2 shown]
	v_cmp_eq_u32_e32 vcc, 26, v0
	ds_read_b32 v126, v124
	v_cndmask_b32_e32 v125, v125, v58, vcc
	v_cmp_eq_u32_e32 vcc, 27, v0
	v_cndmask_b32_e32 v125, v125, v59, vcc
	v_cmp_eq_u32_e32 vcc, 28, v0
	;; [unrolled: 2-line block ×3, first 2 shown]
	v_cndmask_b32_e32 v125, v125, v61, vcc
	s_waitcnt lgkmcnt(0)
	v_mul_f32_e32 v125, v125, v126
	s_cbranch_execz .LBB29_69
	s_branch .LBB29_70
.LBB29_68:
                                        ; implicit-def: $vgpr125
.LBB29_69:
	ds_read_b32 v125, v124
.LBB29_70:
	s_and_saveexec_b64 s[6:7], s[0:1]
	s_cbranch_execz .LBB29_80
; %bb.71:
	v_subrev_u32_e32 v126, 25, v0
	v_cmp_lt_u32_e32 vcc, 6, v126
	v_mov_b32_e32 v126, 24
	s_and_saveexec_b64 s[0:1], vcc
	s_cbranch_execz .LBB29_75
; %bb.72:
	v_and_b32_e32 v126, 24, v0
	v_sub_u32_e32 v127, 0, v126
	s_mov_b64 s[8:9], 31
	s_movk_i32 s12, 0xe0
	s_mov_b64 s[10:11], 0
.LBB29_73:                              ; =>This Inner Loop Header: Depth=1
	s_add_i32 s13, s8, -7
	v_mov_b32_e32 v126, s12
	s_add_i32 s14, s8, -6
	s_set_gpr_idx_on s13, gpr_idx(SRC0)
	v_mov_b32_e32 v136, v32
	s_set_gpr_idx_off
	s_add_i32 s15, s8, -5
	ds_read_b128 v[128:131], v126
	ds_read_b128 v[132:135], v126 offset:16
	s_set_gpr_idx_on s14, gpr_idx(SRC0)
	v_mov_b32_e32 v126, v32
	s_set_gpr_idx_off
	s_add_i32 s16, s8, -4
	s_set_gpr_idx_on s15, gpr_idx(SRC0)
	v_mov_b32_e32 v137, v32
	s_set_gpr_idx_off
	s_add_i32 s17, s8, -3
	;; [unrolled: 4-line block ×4, first 2 shown]
	s_waitcnt lgkmcnt(1)
	v_fmac_f32_e32 v125, v136, v128
	s_set_gpr_idx_on s18, gpr_idx(SRC0)
	v_mov_b32_e32 v128, v32
	s_set_gpr_idx_off
	v_fmac_f32_e32 v125, v126, v129
	s_set_gpr_idx_on s19, gpr_idx(SRC0)
	v_mov_b32_e32 v129, v32
	s_set_gpr_idx_off
	;; [unrolled: 4-line block ×3, first 2 shown]
	v_fmac_f32_e32 v125, v138, v131
	s_add_u32 s8, s8, 8
	s_waitcnt lgkmcnt(0)
	v_fmac_f32_e32 v125, v139, v132
	v_add_u32_e32 v126, s8, v127
	v_fmac_f32_e32 v125, v128, v133
	s_addc_u32 s9, s9, 0
	s_add_i32 s12, s12, 32
	s_add_i32 s13, s8, -7
	v_cmp_eq_u32_e32 vcc, 7, v126
	v_fmac_f32_e32 v125, v129, v134
	v_mov_b32_e32 v126, s13
	s_or_b64 s[10:11], vcc, s[10:11]
	v_fmac_f32_e32 v125, v130, v135
	s_andn2_b64 exec, exec, s[10:11]
	s_cbranch_execnz .LBB29_73
; %bb.74:
	s_or_b64 exec, exec, s[10:11]
.LBB29_75:
	s_or_b64 exec, exec, s[0:1]
	v_and_b32_e32 v62, 7, v0
	v_cmp_ne_u32_e32 vcc, 0, v62
	s_and_saveexec_b64 s[8:9], vcc
	s_cbranch_execz .LBB29_79
; %bb.76:
	v_mov_b32_e32 v63, 0x80
	v_lshl_add_u32 v63, v126, 2, v63
	v_mov_b32_e32 v127, 0
	s_mov_b64 s[10:11], 0
.LBB29_77:                              ; =>This Inner Loop Header: Depth=1
	v_cmp_eq_u32_e32 vcc, 1, v126
	v_cndmask_b32_e32 v128, v32, v33, vcc
	v_add_u32_e32 v62, -1, v62
	v_cmp_eq_u32_e32 vcc, 2, v126
	v_cndmask_b32_e32 v128, v128, v34, vcc
	v_cmp_eq_u32_e32 vcc, 0, v62
	v_cmp_eq_u32_e64 s[0:1], 3, v126
	v_cndmask_b32_e64 v128, v128, v35, s[0:1]
	s_or_b64 s[10:11], vcc, s[10:11]
	v_cmp_eq_u32_e32 vcc, 4, v126
	v_cndmask_b32_e32 v128, v128, v36, vcc
	v_cmp_eq_u32_e32 vcc, 5, v126
	v_cndmask_b32_e32 v128, v128, v37, vcc
	;; [unrolled: 2-line block ×21, first 2 shown]
	v_cmp_eq_u32_e32 vcc, 25, v126
	ds_read_b32 v129, v63
	v_cndmask_b32_e32 v128, v128, v57, vcc
	v_cmp_eq_u32_e32 vcc, 26, v126
	v_cndmask_b32_e32 v128, v128, v58, vcc
	v_cmp_eq_u32_e32 vcc, 27, v126
	;; [unrolled: 2-line block ×4, first 2 shown]
	v_add_co_u32_e64 v126, s[0:1], 1, v126
	v_cndmask_b32_e32 v128, v128, v61, vcc
	v_add_u32_e32 v63, 4, v63
	v_addc_co_u32_e64 v127, s[0:1], 0, v127, s[0:1]
	s_waitcnt lgkmcnt(0)
	v_fmac_f32_e32 v125, v128, v129
	s_andn2_b64 exec, exec, s[10:11]
	s_cbranch_execnz .LBB29_77
; %bb.78:
	s_or_b64 exec, exec, s[10:11]
.LBB29_79:
	s_or_b64 exec, exec, s[8:9]
.LBB29_80:
	s_or_b64 exec, exec, s[6:7]
	v_mov_b32_e32 v55, 0
	ds_read_b32 v55, v55 offset:92
	s_waitcnt lgkmcnt(0)
	v_mul_f32_e32 v55, v125, v55
.LBB29_81:
	s_or_b64 exec, exec, s[4:5]
	v_cmp_lt_u32_e64 s[0:1], 22, v0
	ds_write_b32 v124, v54
	s_waitcnt lgkmcnt(0)
	; wave barrier
	s_and_saveexec_b64 s[4:5], s[0:1]
	s_cbranch_execz .LBB29_97
; %bb.82:
	s_andn2_b64 vcc, exec, s[62:63]
	s_cbranch_vccnz .LBB29_84
; %bb.83:
	v_cmp_eq_u32_e32 vcc, 1, v0
	v_cndmask_b32_e32 v125, v32, v33, vcc
	v_cmp_eq_u32_e32 vcc, 2, v0
	v_cndmask_b32_e32 v125, v125, v34, vcc
	;; [unrolled: 2-line block ×25, first 2 shown]
	v_cmp_eq_u32_e32 vcc, 26, v0
	ds_read_b32 v126, v124
	v_cndmask_b32_e32 v125, v125, v58, vcc
	v_cmp_eq_u32_e32 vcc, 27, v0
	v_cndmask_b32_e32 v125, v125, v59, vcc
	v_cmp_eq_u32_e32 vcc, 28, v0
	;; [unrolled: 2-line block ×3, first 2 shown]
	v_cndmask_b32_e32 v125, v125, v61, vcc
	s_waitcnt lgkmcnt(0)
	v_mul_f32_e32 v125, v125, v126
	s_cbranch_execz .LBB29_85
	s_branch .LBB29_86
.LBB29_84:
                                        ; implicit-def: $vgpr125
.LBB29_85:
	ds_read_b32 v125, v124
.LBB29_86:
	s_and_saveexec_b64 s[6:7], s[2:3]
	s_cbranch_execz .LBB29_96
; %bb.87:
	v_subrev_u32_e32 v128, 24, v0
	v_mov_b32_e32 v126, 23
	v_subrev_u32_e32 v127, 23, v0
	v_cmp_lt_u32_e32 vcc, 6, v128
	s_and_saveexec_b64 s[2:3], vcc
	s_cbranch_execz .LBB29_91
; %bb.88:
	v_and_b32_e32 v126, -8, v127
	v_sub_u32_e32 v128, 0, v126
	s_mov_b64 s[8:9], 30
	s_movk_i32 s12, 0xdc
	s_mov_b64 s[10:11], 0
.LBB29_89:                              ; =>This Inner Loop Header: Depth=1
	s_add_i32 s13, s8, -7
	v_mov_b32_e32 v126, s12
	s_add_i32 s14, s8, -6
	s_set_gpr_idx_on s13, gpr_idx(SRC0)
	v_mov_b32_e32 v135, v32
	s_set_gpr_idx_off
	ds_read2_b32 v[129:130], v126 offset1:1
	s_add_i32 s15, s8, -5
	s_set_gpr_idx_on s14, gpr_idx(SRC0)
	v_mov_b32_e32 v136, v32
	s_set_gpr_idx_off
	s_add_i32 s16, s8, -4
	s_set_gpr_idx_on s15, gpr_idx(SRC0)
	v_mov_b32_e32 v137, v32
	s_set_gpr_idx_off
	ds_read2_b32 v[131:132], v126 offset0:2 offset1:3
	s_add_i32 s17, s8, -3
	s_set_gpr_idx_on s16, gpr_idx(SRC0)
	v_mov_b32_e32 v138, v32
	s_set_gpr_idx_off
	s_add_i32 s18, s8, -2
	s_set_gpr_idx_on s17, gpr_idx(SRC0)
	v_mov_b32_e32 v139, v32
	s_set_gpr_idx_off
	ds_read2_b32 v[133:134], v126 offset0:4 offset1:5
	s_add_i32 s19, s8, -1
	s_waitcnt lgkmcnt(2)
	v_fmac_f32_e32 v125, v135, v129
	s_set_gpr_idx_on s18, gpr_idx(SRC0)
	v_mov_b32_e32 v135, v32
	s_set_gpr_idx_off
	v_fmac_f32_e32 v125, v136, v130
	s_set_gpr_idx_on s19, gpr_idx(SRC0)
	v_mov_b32_e32 v136, v32
	s_set_gpr_idx_off
	ds_read2_b32 v[129:130], v126 offset0:6 offset1:7
	s_waitcnt lgkmcnt(2)
	v_fmac_f32_e32 v125, v137, v131
	s_set_gpr_idx_on s8, gpr_idx(SRC0)
	v_mov_b32_e32 v131, v32
	s_set_gpr_idx_off
	v_fmac_f32_e32 v125, v138, v132
	s_add_u32 s8, s8, 8
	s_waitcnt lgkmcnt(1)
	v_fmac_f32_e32 v125, v139, v133
	v_add_u32_e32 v126, s8, v128
	v_fmac_f32_e32 v125, v135, v134
	s_addc_u32 s9, s9, 0
	s_add_i32 s12, s12, 32
	s_add_i32 s13, s8, -7
	v_cmp_eq_u32_e32 vcc, 30, v126
	s_waitcnt lgkmcnt(0)
	v_fmac_f32_e32 v125, v136, v129
	v_mov_b32_e32 v126, s13
	s_or_b64 s[10:11], vcc, s[10:11]
	v_fmac_f32_e32 v125, v131, v130
	s_andn2_b64 exec, exec, s[10:11]
	s_cbranch_execnz .LBB29_89
; %bb.90:
	s_or_b64 exec, exec, s[10:11]
.LBB29_91:
	s_or_b64 exec, exec, s[2:3]
	v_and_b32_e32 v62, 7, v127
	v_cmp_ne_u32_e32 vcc, 0, v62
	s_and_saveexec_b64 s[8:9], vcc
	s_cbranch_execz .LBB29_95
; %bb.92:
	v_mov_b32_e32 v63, 0x80
	v_lshl_add_u32 v63, v126, 2, v63
	v_mov_b32_e32 v127, 0
	s_mov_b64 s[10:11], 0
.LBB29_93:                              ; =>This Inner Loop Header: Depth=1
	v_cmp_eq_u32_e32 vcc, 1, v126
	v_cndmask_b32_e32 v128, v32, v33, vcc
	v_add_u32_e32 v62, -1, v62
	v_cmp_eq_u32_e32 vcc, 2, v126
	v_cndmask_b32_e32 v128, v128, v34, vcc
	v_cmp_eq_u32_e32 vcc, 0, v62
	v_cmp_eq_u32_e64 s[2:3], 3, v126
	v_cndmask_b32_e64 v128, v128, v35, s[2:3]
	s_or_b64 s[10:11], vcc, s[10:11]
	v_cmp_eq_u32_e32 vcc, 4, v126
	v_cndmask_b32_e32 v128, v128, v36, vcc
	v_cmp_eq_u32_e32 vcc, 5, v126
	v_cndmask_b32_e32 v128, v128, v37, vcc
	;; [unrolled: 2-line block ×21, first 2 shown]
	v_cmp_eq_u32_e32 vcc, 25, v126
	ds_read_b32 v129, v63
	v_cndmask_b32_e32 v128, v128, v57, vcc
	v_cmp_eq_u32_e32 vcc, 26, v126
	v_cndmask_b32_e32 v128, v128, v58, vcc
	v_cmp_eq_u32_e32 vcc, 27, v126
	;; [unrolled: 2-line block ×4, first 2 shown]
	v_add_co_u32_e64 v126, s[2:3], 1, v126
	v_cndmask_b32_e32 v128, v128, v61, vcc
	v_add_u32_e32 v63, 4, v63
	v_addc_co_u32_e64 v127, s[2:3], 0, v127, s[2:3]
	s_waitcnt lgkmcnt(0)
	v_fmac_f32_e32 v125, v128, v129
	s_andn2_b64 exec, exec, s[10:11]
	s_cbranch_execnz .LBB29_93
; %bb.94:
	s_or_b64 exec, exec, s[10:11]
.LBB29_95:
	s_or_b64 exec, exec, s[8:9]
.LBB29_96:
	s_or_b64 exec, exec, s[6:7]
	v_mov_b32_e32 v54, 0
	ds_read_b32 v54, v54 offset:88
	s_waitcnt lgkmcnt(0)
	v_mul_f32_e32 v54, v125, v54
.LBB29_97:
	s_or_b64 exec, exec, s[4:5]
	v_cmp_lt_u32_e64 s[2:3], 21, v0
	ds_write_b32 v124, v53
	s_waitcnt lgkmcnt(0)
	; wave barrier
	s_and_saveexec_b64 s[4:5], s[2:3]
	s_cbranch_execz .LBB29_113
; %bb.98:
	s_andn2_b64 vcc, exec, s[62:63]
	s_cbranch_vccnz .LBB29_100
; %bb.99:
	v_cmp_eq_u32_e32 vcc, 1, v0
	v_cndmask_b32_e32 v125, v32, v33, vcc
	v_cmp_eq_u32_e32 vcc, 2, v0
	v_cndmask_b32_e32 v125, v125, v34, vcc
	;; [unrolled: 2-line block ×25, first 2 shown]
	v_cmp_eq_u32_e32 vcc, 26, v0
	ds_read_b32 v126, v124
	v_cndmask_b32_e32 v125, v125, v58, vcc
	v_cmp_eq_u32_e32 vcc, 27, v0
	v_cndmask_b32_e32 v125, v125, v59, vcc
	v_cmp_eq_u32_e32 vcc, 28, v0
	;; [unrolled: 2-line block ×3, first 2 shown]
	v_cndmask_b32_e32 v125, v125, v61, vcc
	s_waitcnt lgkmcnt(0)
	v_mul_f32_e32 v125, v125, v126
	s_cbranch_execz .LBB29_101
	s_branch .LBB29_102
.LBB29_100:
                                        ; implicit-def: $vgpr125
.LBB29_101:
	ds_read_b32 v125, v124
.LBB29_102:
	s_and_saveexec_b64 s[6:7], s[0:1]
	s_cbranch_execz .LBB29_112
; %bb.103:
	v_subrev_u32_e32 v128, 23, v0
	v_mov_b32_e32 v126, 22
	v_subrev_u32_e32 v127, 22, v0
	v_cmp_lt_u32_e32 vcc, 6, v128
	s_and_saveexec_b64 s[0:1], vcc
	s_cbranch_execz .LBB29_107
; %bb.104:
	v_and_b32_e32 v126, -8, v127
	v_sub_u32_e32 v128, 0, v126
	s_mov_b64 s[8:9], 29
	s_movk_i32 s12, 0xd8
	s_mov_b64 s[10:11], 0
.LBB29_105:                             ; =>This Inner Loop Header: Depth=1
	s_add_i32 s13, s8, -7
	v_mov_b32_e32 v126, s12
	s_add_i32 s14, s8, -6
	s_set_gpr_idx_on s13, gpr_idx(SRC0)
	v_mov_b32_e32 v137, v32
	s_set_gpr_idx_off
	ds_read2_b64 v[129:132], v126 offset1:1
	s_add_i32 s15, s8, -5
	s_set_gpr_idx_on s14, gpr_idx(SRC0)
	v_mov_b32_e32 v138, v32
	s_set_gpr_idx_off
	s_add_i32 s16, s8, -4
	s_set_gpr_idx_on s15, gpr_idx(SRC0)
	v_mov_b32_e32 v139, v32
	s_set_gpr_idx_off
	;; [unrolled: 4-line block ×4, first 2 shown]
	ds_read2_b64 v[133:136], v126 offset0:2 offset1:3
	s_add_i32 s19, s8, -1
	s_waitcnt lgkmcnt(1)
	v_fmac_f32_e32 v125, v137, v129
	s_set_gpr_idx_on s18, gpr_idx(SRC0)
	v_mov_b32_e32 v129, v32
	s_set_gpr_idx_off
	v_fmac_f32_e32 v125, v138, v130
	s_set_gpr_idx_on s19, gpr_idx(SRC0)
	v_mov_b32_e32 v130, v32
	s_set_gpr_idx_off
	;; [unrolled: 4-line block ×3, first 2 shown]
	v_fmac_f32_e32 v125, v140, v132
	s_add_u32 s8, s8, 8
	s_waitcnt lgkmcnt(0)
	v_fmac_f32_e32 v125, v141, v133
	v_add_u32_e32 v126, s8, v128
	v_fmac_f32_e32 v125, v129, v134
	s_addc_u32 s9, s9, 0
	s_add_i32 s12, s12, 32
	s_add_i32 s13, s8, -7
	v_cmp_eq_u32_e32 vcc, 29, v126
	v_fmac_f32_e32 v125, v130, v135
	v_mov_b32_e32 v126, s13
	s_or_b64 s[10:11], vcc, s[10:11]
	v_fmac_f32_e32 v125, v131, v136
	s_andn2_b64 exec, exec, s[10:11]
	s_cbranch_execnz .LBB29_105
; %bb.106:
	s_or_b64 exec, exec, s[10:11]
.LBB29_107:
	s_or_b64 exec, exec, s[0:1]
	v_and_b32_e32 v62, 7, v127
	v_cmp_ne_u32_e32 vcc, 0, v62
	s_and_saveexec_b64 s[8:9], vcc
	s_cbranch_execz .LBB29_111
; %bb.108:
	v_mov_b32_e32 v63, 0x80
	v_lshl_add_u32 v63, v126, 2, v63
	v_mov_b32_e32 v127, 0
	s_mov_b64 s[10:11], 0
.LBB29_109:                             ; =>This Inner Loop Header: Depth=1
	v_cmp_eq_u32_e32 vcc, 1, v126
	v_cndmask_b32_e32 v128, v32, v33, vcc
	v_add_u32_e32 v62, -1, v62
	v_cmp_eq_u32_e32 vcc, 2, v126
	v_cndmask_b32_e32 v128, v128, v34, vcc
	v_cmp_eq_u32_e32 vcc, 0, v62
	v_cmp_eq_u32_e64 s[0:1], 3, v126
	v_cndmask_b32_e64 v128, v128, v35, s[0:1]
	s_or_b64 s[10:11], vcc, s[10:11]
	v_cmp_eq_u32_e32 vcc, 4, v126
	v_cndmask_b32_e32 v128, v128, v36, vcc
	v_cmp_eq_u32_e32 vcc, 5, v126
	v_cndmask_b32_e32 v128, v128, v37, vcc
	;; [unrolled: 2-line block ×21, first 2 shown]
	v_cmp_eq_u32_e32 vcc, 25, v126
	ds_read_b32 v129, v63
	v_cndmask_b32_e32 v128, v128, v57, vcc
	v_cmp_eq_u32_e32 vcc, 26, v126
	v_cndmask_b32_e32 v128, v128, v58, vcc
	v_cmp_eq_u32_e32 vcc, 27, v126
	;; [unrolled: 2-line block ×4, first 2 shown]
	v_add_co_u32_e64 v126, s[0:1], 1, v126
	v_cndmask_b32_e32 v128, v128, v61, vcc
	v_add_u32_e32 v63, 4, v63
	v_addc_co_u32_e64 v127, s[0:1], 0, v127, s[0:1]
	s_waitcnt lgkmcnt(0)
	v_fmac_f32_e32 v125, v128, v129
	s_andn2_b64 exec, exec, s[10:11]
	s_cbranch_execnz .LBB29_109
; %bb.110:
	s_or_b64 exec, exec, s[10:11]
.LBB29_111:
	s_or_b64 exec, exec, s[8:9]
.LBB29_112:
	s_or_b64 exec, exec, s[6:7]
	v_mov_b32_e32 v53, 0
	ds_read_b32 v53, v53 offset:84
	s_waitcnt lgkmcnt(0)
	v_mul_f32_e32 v53, v125, v53
.LBB29_113:
	s_or_b64 exec, exec, s[4:5]
	v_cmp_lt_u32_e64 s[0:1], 20, v0
	ds_write_b32 v124, v52
	s_waitcnt lgkmcnt(0)
	; wave barrier
	s_and_saveexec_b64 s[4:5], s[0:1]
	s_cbranch_execz .LBB29_129
; %bb.114:
	s_andn2_b64 vcc, exec, s[62:63]
	s_cbranch_vccnz .LBB29_116
; %bb.115:
	v_cmp_eq_u32_e32 vcc, 1, v0
	v_cndmask_b32_e32 v125, v32, v33, vcc
	v_cmp_eq_u32_e32 vcc, 2, v0
	v_cndmask_b32_e32 v125, v125, v34, vcc
	;; [unrolled: 2-line block ×25, first 2 shown]
	v_cmp_eq_u32_e32 vcc, 26, v0
	ds_read_b32 v126, v124
	v_cndmask_b32_e32 v125, v125, v58, vcc
	v_cmp_eq_u32_e32 vcc, 27, v0
	v_cndmask_b32_e32 v125, v125, v59, vcc
	v_cmp_eq_u32_e32 vcc, 28, v0
	;; [unrolled: 2-line block ×3, first 2 shown]
	v_cndmask_b32_e32 v125, v125, v61, vcc
	s_waitcnt lgkmcnt(0)
	v_mul_f32_e32 v125, v125, v126
	s_cbranch_execz .LBB29_117
	s_branch .LBB29_118
.LBB29_116:
                                        ; implicit-def: $vgpr125
.LBB29_117:
	ds_read_b32 v125, v124
.LBB29_118:
	s_and_saveexec_b64 s[6:7], s[2:3]
	s_cbranch_execz .LBB29_128
; %bb.119:
	v_subrev_u32_e32 v128, 22, v0
	v_mov_b32_e32 v126, 21
	v_subrev_u32_e32 v127, 21, v0
	v_cmp_lt_u32_e32 vcc, 6, v128
	s_and_saveexec_b64 s[2:3], vcc
	s_cbranch_execz .LBB29_123
; %bb.120:
	v_and_b32_e32 v126, -8, v127
	v_sub_u32_e32 v128, 0, v126
	s_mov_b64 s[8:9], 28
	s_movk_i32 s12, 0xd4
	s_mov_b64 s[10:11], 0
.LBB29_121:                             ; =>This Inner Loop Header: Depth=1
	s_add_i32 s13, s8, -7
	v_mov_b32_e32 v126, s12
	s_add_i32 s14, s8, -6
	s_set_gpr_idx_on s13, gpr_idx(SRC0)
	v_mov_b32_e32 v135, v32
	s_set_gpr_idx_off
	ds_read2_b32 v[129:130], v126 offset1:1
	s_add_i32 s15, s8, -5
	s_set_gpr_idx_on s14, gpr_idx(SRC0)
	v_mov_b32_e32 v136, v32
	s_set_gpr_idx_off
	s_add_i32 s16, s8, -4
	s_set_gpr_idx_on s15, gpr_idx(SRC0)
	v_mov_b32_e32 v137, v32
	s_set_gpr_idx_off
	ds_read2_b32 v[131:132], v126 offset0:2 offset1:3
	s_add_i32 s17, s8, -3
	s_set_gpr_idx_on s16, gpr_idx(SRC0)
	v_mov_b32_e32 v138, v32
	s_set_gpr_idx_off
	s_add_i32 s18, s8, -2
	s_set_gpr_idx_on s17, gpr_idx(SRC0)
	v_mov_b32_e32 v139, v32
	s_set_gpr_idx_off
	ds_read2_b32 v[133:134], v126 offset0:4 offset1:5
	s_add_i32 s19, s8, -1
	s_waitcnt lgkmcnt(2)
	v_fmac_f32_e32 v125, v135, v129
	s_set_gpr_idx_on s18, gpr_idx(SRC0)
	v_mov_b32_e32 v135, v32
	s_set_gpr_idx_off
	v_fmac_f32_e32 v125, v136, v130
	s_set_gpr_idx_on s19, gpr_idx(SRC0)
	v_mov_b32_e32 v136, v32
	s_set_gpr_idx_off
	ds_read2_b32 v[129:130], v126 offset0:6 offset1:7
	s_waitcnt lgkmcnt(2)
	v_fmac_f32_e32 v125, v137, v131
	s_set_gpr_idx_on s8, gpr_idx(SRC0)
	v_mov_b32_e32 v131, v32
	s_set_gpr_idx_off
	v_fmac_f32_e32 v125, v138, v132
	s_add_u32 s8, s8, 8
	s_waitcnt lgkmcnt(1)
	v_fmac_f32_e32 v125, v139, v133
	v_add_u32_e32 v126, s8, v128
	v_fmac_f32_e32 v125, v135, v134
	s_addc_u32 s9, s9, 0
	s_add_i32 s12, s12, 32
	s_add_i32 s13, s8, -7
	v_cmp_eq_u32_e32 vcc, 28, v126
	s_waitcnt lgkmcnt(0)
	v_fmac_f32_e32 v125, v136, v129
	v_mov_b32_e32 v126, s13
	s_or_b64 s[10:11], vcc, s[10:11]
	v_fmac_f32_e32 v125, v131, v130
	s_andn2_b64 exec, exec, s[10:11]
	s_cbranch_execnz .LBB29_121
; %bb.122:
	s_or_b64 exec, exec, s[10:11]
.LBB29_123:
	s_or_b64 exec, exec, s[2:3]
	v_and_b32_e32 v62, 7, v127
	v_cmp_ne_u32_e32 vcc, 0, v62
	s_and_saveexec_b64 s[8:9], vcc
	s_cbranch_execz .LBB29_127
; %bb.124:
	v_mov_b32_e32 v63, 0x80
	v_lshl_add_u32 v63, v126, 2, v63
	v_mov_b32_e32 v127, 0
	s_mov_b64 s[10:11], 0
.LBB29_125:                             ; =>This Inner Loop Header: Depth=1
	v_cmp_eq_u32_e32 vcc, 1, v126
	v_cndmask_b32_e32 v128, v32, v33, vcc
	v_add_u32_e32 v62, -1, v62
	v_cmp_eq_u32_e32 vcc, 2, v126
	v_cndmask_b32_e32 v128, v128, v34, vcc
	v_cmp_eq_u32_e32 vcc, 0, v62
	v_cmp_eq_u32_e64 s[2:3], 3, v126
	v_cndmask_b32_e64 v128, v128, v35, s[2:3]
	s_or_b64 s[10:11], vcc, s[10:11]
	v_cmp_eq_u32_e32 vcc, 4, v126
	v_cndmask_b32_e32 v128, v128, v36, vcc
	v_cmp_eq_u32_e32 vcc, 5, v126
	v_cndmask_b32_e32 v128, v128, v37, vcc
	;; [unrolled: 2-line block ×21, first 2 shown]
	v_cmp_eq_u32_e32 vcc, 25, v126
	ds_read_b32 v129, v63
	v_cndmask_b32_e32 v128, v128, v57, vcc
	v_cmp_eq_u32_e32 vcc, 26, v126
	v_cndmask_b32_e32 v128, v128, v58, vcc
	v_cmp_eq_u32_e32 vcc, 27, v126
	;; [unrolled: 2-line block ×4, first 2 shown]
	v_add_co_u32_e64 v126, s[2:3], 1, v126
	v_cndmask_b32_e32 v128, v128, v61, vcc
	v_add_u32_e32 v63, 4, v63
	v_addc_co_u32_e64 v127, s[2:3], 0, v127, s[2:3]
	s_waitcnt lgkmcnt(0)
	v_fmac_f32_e32 v125, v128, v129
	s_andn2_b64 exec, exec, s[10:11]
	s_cbranch_execnz .LBB29_125
; %bb.126:
	s_or_b64 exec, exec, s[10:11]
.LBB29_127:
	s_or_b64 exec, exec, s[8:9]
.LBB29_128:
	s_or_b64 exec, exec, s[6:7]
	v_mov_b32_e32 v52, 0
	ds_read_b32 v52, v52 offset:80
	s_waitcnt lgkmcnt(0)
	v_mul_f32_e32 v52, v125, v52
.LBB29_129:
	s_or_b64 exec, exec, s[4:5]
	v_cmp_lt_u32_e64 s[2:3], 19, v0
	ds_write_b32 v124, v51
	s_waitcnt lgkmcnt(0)
	; wave barrier
	s_and_saveexec_b64 s[4:5], s[2:3]
	s_cbranch_execz .LBB29_145
; %bb.130:
	s_andn2_b64 vcc, exec, s[62:63]
	s_cbranch_vccnz .LBB29_132
; %bb.131:
	v_cmp_eq_u32_e32 vcc, 1, v0
	v_cndmask_b32_e32 v125, v32, v33, vcc
	v_cmp_eq_u32_e32 vcc, 2, v0
	v_cndmask_b32_e32 v125, v125, v34, vcc
	;; [unrolled: 2-line block ×25, first 2 shown]
	v_cmp_eq_u32_e32 vcc, 26, v0
	ds_read_b32 v126, v124
	v_cndmask_b32_e32 v125, v125, v58, vcc
	v_cmp_eq_u32_e32 vcc, 27, v0
	v_cndmask_b32_e32 v125, v125, v59, vcc
	v_cmp_eq_u32_e32 vcc, 28, v0
	;; [unrolled: 2-line block ×3, first 2 shown]
	v_cndmask_b32_e32 v125, v125, v61, vcc
	s_waitcnt lgkmcnt(0)
	v_mul_f32_e32 v125, v125, v126
	s_cbranch_execz .LBB29_133
	s_branch .LBB29_134
.LBB29_132:
                                        ; implicit-def: $vgpr125
.LBB29_133:
	ds_read_b32 v125, v124
.LBB29_134:
	s_and_saveexec_b64 s[6:7], s[0:1]
	s_cbranch_execz .LBB29_144
; %bb.135:
	v_subrev_u32_e32 v128, 21, v0
	v_mov_b32_e32 v126, 20
	v_subrev_u32_e32 v127, 20, v0
	v_cmp_lt_u32_e32 vcc, 6, v128
	s_and_saveexec_b64 s[0:1], vcc
	s_cbranch_execz .LBB29_139
; %bb.136:
	v_and_b32_e32 v126, -8, v127
	v_sub_u32_e32 v128, 0, v126
	s_mov_b64 s[8:9], 27
	s_movk_i32 s12, 0xd0
	s_mov_b64 s[10:11], 0
.LBB29_137:                             ; =>This Inner Loop Header: Depth=1
	s_add_i32 s13, s8, -7
	v_mov_b32_e32 v126, s12
	s_add_i32 s14, s8, -6
	s_set_gpr_idx_on s13, gpr_idx(SRC0)
	v_mov_b32_e32 v137, v32
	s_set_gpr_idx_off
	s_add_i32 s15, s8, -5
	ds_read_b128 v[129:132], v126
	ds_read_b128 v[133:136], v126 offset:16
	s_set_gpr_idx_on s14, gpr_idx(SRC0)
	v_mov_b32_e32 v126, v32
	s_set_gpr_idx_off
	s_add_i32 s16, s8, -4
	s_set_gpr_idx_on s15, gpr_idx(SRC0)
	v_mov_b32_e32 v138, v32
	s_set_gpr_idx_off
	s_add_i32 s17, s8, -3
	;; [unrolled: 4-line block ×4, first 2 shown]
	s_waitcnt lgkmcnt(1)
	v_fmac_f32_e32 v125, v137, v129
	s_set_gpr_idx_on s18, gpr_idx(SRC0)
	v_mov_b32_e32 v129, v32
	s_set_gpr_idx_off
	v_fmac_f32_e32 v125, v126, v130
	s_set_gpr_idx_on s19, gpr_idx(SRC0)
	v_mov_b32_e32 v130, v32
	s_set_gpr_idx_off
	;; [unrolled: 4-line block ×3, first 2 shown]
	v_fmac_f32_e32 v125, v139, v132
	s_add_u32 s8, s8, 8
	s_waitcnt lgkmcnt(0)
	v_fmac_f32_e32 v125, v140, v133
	v_add_u32_e32 v126, s8, v128
	v_fmac_f32_e32 v125, v129, v134
	s_addc_u32 s9, s9, 0
	s_add_i32 s12, s12, 32
	s_add_i32 s13, s8, -7
	v_cmp_eq_u32_e32 vcc, 27, v126
	v_fmac_f32_e32 v125, v130, v135
	v_mov_b32_e32 v126, s13
	s_or_b64 s[10:11], vcc, s[10:11]
	v_fmac_f32_e32 v125, v131, v136
	s_andn2_b64 exec, exec, s[10:11]
	s_cbranch_execnz .LBB29_137
; %bb.138:
	s_or_b64 exec, exec, s[10:11]
.LBB29_139:
	s_or_b64 exec, exec, s[0:1]
	v_and_b32_e32 v62, 7, v127
	v_cmp_ne_u32_e32 vcc, 0, v62
	s_and_saveexec_b64 s[8:9], vcc
	s_cbranch_execz .LBB29_143
; %bb.140:
	v_mov_b32_e32 v63, 0x80
	v_lshl_add_u32 v63, v126, 2, v63
	v_mov_b32_e32 v127, 0
	s_mov_b64 s[10:11], 0
.LBB29_141:                             ; =>This Inner Loop Header: Depth=1
	v_cmp_eq_u32_e32 vcc, 1, v126
	v_cndmask_b32_e32 v128, v32, v33, vcc
	v_add_u32_e32 v62, -1, v62
	v_cmp_eq_u32_e32 vcc, 2, v126
	v_cndmask_b32_e32 v128, v128, v34, vcc
	v_cmp_eq_u32_e32 vcc, 0, v62
	v_cmp_eq_u32_e64 s[0:1], 3, v126
	v_cndmask_b32_e64 v128, v128, v35, s[0:1]
	s_or_b64 s[10:11], vcc, s[10:11]
	v_cmp_eq_u32_e32 vcc, 4, v126
	v_cndmask_b32_e32 v128, v128, v36, vcc
	v_cmp_eq_u32_e32 vcc, 5, v126
	v_cndmask_b32_e32 v128, v128, v37, vcc
	;; [unrolled: 2-line block ×21, first 2 shown]
	v_cmp_eq_u32_e32 vcc, 25, v126
	ds_read_b32 v129, v63
	v_cndmask_b32_e32 v128, v128, v57, vcc
	v_cmp_eq_u32_e32 vcc, 26, v126
	v_cndmask_b32_e32 v128, v128, v58, vcc
	v_cmp_eq_u32_e32 vcc, 27, v126
	;; [unrolled: 2-line block ×4, first 2 shown]
	v_add_co_u32_e64 v126, s[0:1], 1, v126
	v_cndmask_b32_e32 v128, v128, v61, vcc
	v_add_u32_e32 v63, 4, v63
	v_addc_co_u32_e64 v127, s[0:1], 0, v127, s[0:1]
	s_waitcnt lgkmcnt(0)
	v_fmac_f32_e32 v125, v128, v129
	s_andn2_b64 exec, exec, s[10:11]
	s_cbranch_execnz .LBB29_141
; %bb.142:
	s_or_b64 exec, exec, s[10:11]
.LBB29_143:
	s_or_b64 exec, exec, s[8:9]
.LBB29_144:
	s_or_b64 exec, exec, s[6:7]
	v_mov_b32_e32 v51, 0
	ds_read_b32 v51, v51 offset:76
	s_waitcnt lgkmcnt(0)
	v_mul_f32_e32 v51, v125, v51
.LBB29_145:
	s_or_b64 exec, exec, s[4:5]
	v_cmp_lt_u32_e64 s[0:1], 18, v0
	ds_write_b32 v124, v50
	s_waitcnt lgkmcnt(0)
	; wave barrier
	s_and_saveexec_b64 s[4:5], s[0:1]
	s_cbranch_execz .LBB29_161
; %bb.146:
	s_andn2_b64 vcc, exec, s[62:63]
	s_cbranch_vccnz .LBB29_148
; %bb.147:
	v_cmp_eq_u32_e32 vcc, 1, v0
	v_cndmask_b32_e32 v125, v32, v33, vcc
	v_cmp_eq_u32_e32 vcc, 2, v0
	v_cndmask_b32_e32 v125, v125, v34, vcc
	;; [unrolled: 2-line block ×25, first 2 shown]
	v_cmp_eq_u32_e32 vcc, 26, v0
	ds_read_b32 v126, v124
	v_cndmask_b32_e32 v125, v125, v58, vcc
	v_cmp_eq_u32_e32 vcc, 27, v0
	v_cndmask_b32_e32 v125, v125, v59, vcc
	v_cmp_eq_u32_e32 vcc, 28, v0
	;; [unrolled: 2-line block ×3, first 2 shown]
	v_cndmask_b32_e32 v125, v125, v61, vcc
	s_waitcnt lgkmcnt(0)
	v_mul_f32_e32 v125, v125, v126
	s_cbranch_execz .LBB29_149
	s_branch .LBB29_150
.LBB29_148:
                                        ; implicit-def: $vgpr125
.LBB29_149:
	ds_read_b32 v125, v124
.LBB29_150:
	s_and_saveexec_b64 s[6:7], s[2:3]
	s_cbranch_execz .LBB29_160
; %bb.151:
	v_subrev_u32_e32 v128, 20, v0
	v_mov_b32_e32 v126, 19
	v_subrev_u32_e32 v127, 19, v0
	v_cmp_lt_u32_e32 vcc, 6, v128
	s_and_saveexec_b64 s[2:3], vcc
	s_cbranch_execz .LBB29_155
; %bb.152:
	v_and_b32_e32 v126, -8, v127
	v_sub_u32_e32 v128, 0, v126
	s_mov_b64 s[8:9], 26
	s_movk_i32 s12, 0xcc
	s_mov_b64 s[10:11], 0
.LBB29_153:                             ; =>This Inner Loop Header: Depth=1
	s_add_i32 s13, s8, -7
	v_mov_b32_e32 v126, s12
	s_add_i32 s14, s8, -6
	s_set_gpr_idx_on s13, gpr_idx(SRC0)
	v_mov_b32_e32 v135, v32
	s_set_gpr_idx_off
	ds_read2_b32 v[129:130], v126 offset1:1
	s_add_i32 s15, s8, -5
	s_set_gpr_idx_on s14, gpr_idx(SRC0)
	v_mov_b32_e32 v136, v32
	s_set_gpr_idx_off
	s_add_i32 s16, s8, -4
	s_set_gpr_idx_on s15, gpr_idx(SRC0)
	v_mov_b32_e32 v137, v32
	s_set_gpr_idx_off
	ds_read2_b32 v[131:132], v126 offset0:2 offset1:3
	s_add_i32 s17, s8, -3
	s_set_gpr_idx_on s16, gpr_idx(SRC0)
	v_mov_b32_e32 v138, v32
	s_set_gpr_idx_off
	s_add_i32 s18, s8, -2
	s_set_gpr_idx_on s17, gpr_idx(SRC0)
	v_mov_b32_e32 v139, v32
	s_set_gpr_idx_off
	ds_read2_b32 v[133:134], v126 offset0:4 offset1:5
	s_add_i32 s19, s8, -1
	s_waitcnt lgkmcnt(2)
	v_fmac_f32_e32 v125, v135, v129
	s_set_gpr_idx_on s18, gpr_idx(SRC0)
	v_mov_b32_e32 v135, v32
	s_set_gpr_idx_off
	v_fmac_f32_e32 v125, v136, v130
	s_set_gpr_idx_on s19, gpr_idx(SRC0)
	v_mov_b32_e32 v136, v32
	s_set_gpr_idx_off
	ds_read2_b32 v[129:130], v126 offset0:6 offset1:7
	s_waitcnt lgkmcnt(2)
	v_fmac_f32_e32 v125, v137, v131
	s_set_gpr_idx_on s8, gpr_idx(SRC0)
	v_mov_b32_e32 v131, v32
	s_set_gpr_idx_off
	v_fmac_f32_e32 v125, v138, v132
	s_add_u32 s8, s8, 8
	s_waitcnt lgkmcnt(1)
	v_fmac_f32_e32 v125, v139, v133
	v_add_u32_e32 v126, s8, v128
	v_fmac_f32_e32 v125, v135, v134
	s_addc_u32 s9, s9, 0
	s_add_i32 s12, s12, 32
	s_add_i32 s13, s8, -7
	v_cmp_eq_u32_e32 vcc, 26, v126
	s_waitcnt lgkmcnt(0)
	v_fmac_f32_e32 v125, v136, v129
	v_mov_b32_e32 v126, s13
	s_or_b64 s[10:11], vcc, s[10:11]
	v_fmac_f32_e32 v125, v131, v130
	s_andn2_b64 exec, exec, s[10:11]
	s_cbranch_execnz .LBB29_153
; %bb.154:
	s_or_b64 exec, exec, s[10:11]
.LBB29_155:
	s_or_b64 exec, exec, s[2:3]
	v_and_b32_e32 v62, 7, v127
	v_cmp_ne_u32_e32 vcc, 0, v62
	s_and_saveexec_b64 s[8:9], vcc
	s_cbranch_execz .LBB29_159
; %bb.156:
	v_mov_b32_e32 v63, 0x80
	v_lshl_add_u32 v63, v126, 2, v63
	v_mov_b32_e32 v127, 0
	s_mov_b64 s[10:11], 0
.LBB29_157:                             ; =>This Inner Loop Header: Depth=1
	v_cmp_eq_u32_e32 vcc, 1, v126
	v_cndmask_b32_e32 v128, v32, v33, vcc
	v_add_u32_e32 v62, -1, v62
	v_cmp_eq_u32_e32 vcc, 2, v126
	v_cndmask_b32_e32 v128, v128, v34, vcc
	v_cmp_eq_u32_e32 vcc, 0, v62
	v_cmp_eq_u32_e64 s[2:3], 3, v126
	v_cndmask_b32_e64 v128, v128, v35, s[2:3]
	s_or_b64 s[10:11], vcc, s[10:11]
	v_cmp_eq_u32_e32 vcc, 4, v126
	v_cndmask_b32_e32 v128, v128, v36, vcc
	v_cmp_eq_u32_e32 vcc, 5, v126
	v_cndmask_b32_e32 v128, v128, v37, vcc
	;; [unrolled: 2-line block ×21, first 2 shown]
	v_cmp_eq_u32_e32 vcc, 25, v126
	ds_read_b32 v129, v63
	v_cndmask_b32_e32 v128, v128, v57, vcc
	v_cmp_eq_u32_e32 vcc, 26, v126
	v_cndmask_b32_e32 v128, v128, v58, vcc
	v_cmp_eq_u32_e32 vcc, 27, v126
	;; [unrolled: 2-line block ×4, first 2 shown]
	v_add_co_u32_e64 v126, s[2:3], 1, v126
	v_cndmask_b32_e32 v128, v128, v61, vcc
	v_add_u32_e32 v63, 4, v63
	v_addc_co_u32_e64 v127, s[2:3], 0, v127, s[2:3]
	s_waitcnt lgkmcnt(0)
	v_fmac_f32_e32 v125, v128, v129
	s_andn2_b64 exec, exec, s[10:11]
	s_cbranch_execnz .LBB29_157
; %bb.158:
	s_or_b64 exec, exec, s[10:11]
.LBB29_159:
	s_or_b64 exec, exec, s[8:9]
.LBB29_160:
	s_or_b64 exec, exec, s[6:7]
	v_mov_b32_e32 v50, 0
	ds_read_b32 v50, v50 offset:72
	s_waitcnt lgkmcnt(0)
	v_mul_f32_e32 v50, v125, v50
.LBB29_161:
	s_or_b64 exec, exec, s[4:5]
	v_cmp_lt_u32_e64 s[2:3], 17, v0
	ds_write_b32 v124, v49
	s_waitcnt lgkmcnt(0)
	; wave barrier
	s_and_saveexec_b64 s[4:5], s[2:3]
	s_cbranch_execz .LBB29_177
; %bb.162:
	s_andn2_b64 vcc, exec, s[62:63]
	s_cbranch_vccnz .LBB29_164
; %bb.163:
	v_cmp_eq_u32_e32 vcc, 1, v0
	v_cndmask_b32_e32 v125, v32, v33, vcc
	v_cmp_eq_u32_e32 vcc, 2, v0
	v_cndmask_b32_e32 v125, v125, v34, vcc
	;; [unrolled: 2-line block ×25, first 2 shown]
	v_cmp_eq_u32_e32 vcc, 26, v0
	ds_read_b32 v126, v124
	v_cndmask_b32_e32 v125, v125, v58, vcc
	v_cmp_eq_u32_e32 vcc, 27, v0
	v_cndmask_b32_e32 v125, v125, v59, vcc
	v_cmp_eq_u32_e32 vcc, 28, v0
	;; [unrolled: 2-line block ×3, first 2 shown]
	v_cndmask_b32_e32 v125, v125, v61, vcc
	s_waitcnt lgkmcnt(0)
	v_mul_f32_e32 v125, v125, v126
	s_cbranch_execz .LBB29_165
	s_branch .LBB29_166
.LBB29_164:
                                        ; implicit-def: $vgpr125
.LBB29_165:
	ds_read_b32 v125, v124
.LBB29_166:
	s_and_saveexec_b64 s[6:7], s[0:1]
	s_cbranch_execz .LBB29_176
; %bb.167:
	v_subrev_u32_e32 v128, 19, v0
	v_mov_b32_e32 v126, 18
	v_subrev_u32_e32 v127, 18, v0
	v_cmp_lt_u32_e32 vcc, 6, v128
	s_and_saveexec_b64 s[0:1], vcc
	s_cbranch_execz .LBB29_171
; %bb.168:
	v_and_b32_e32 v126, -8, v127
	v_sub_u32_e32 v128, 0, v126
	s_mov_b64 s[8:9], 25
	s_movk_i32 s12, 0xc8
	s_mov_b64 s[10:11], 0
.LBB29_169:                             ; =>This Inner Loop Header: Depth=1
	s_add_i32 s13, s8, -7
	v_mov_b32_e32 v126, s12
	s_add_i32 s14, s8, -6
	s_set_gpr_idx_on s13, gpr_idx(SRC0)
	v_mov_b32_e32 v137, v32
	s_set_gpr_idx_off
	ds_read2_b64 v[129:132], v126 offset1:1
	s_add_i32 s15, s8, -5
	s_set_gpr_idx_on s14, gpr_idx(SRC0)
	v_mov_b32_e32 v138, v32
	s_set_gpr_idx_off
	s_add_i32 s16, s8, -4
	s_set_gpr_idx_on s15, gpr_idx(SRC0)
	v_mov_b32_e32 v139, v32
	s_set_gpr_idx_off
	;; [unrolled: 4-line block ×4, first 2 shown]
	ds_read2_b64 v[133:136], v126 offset0:2 offset1:3
	s_add_i32 s19, s8, -1
	s_waitcnt lgkmcnt(1)
	v_fmac_f32_e32 v125, v137, v129
	s_set_gpr_idx_on s18, gpr_idx(SRC0)
	v_mov_b32_e32 v129, v32
	s_set_gpr_idx_off
	v_fmac_f32_e32 v125, v138, v130
	s_set_gpr_idx_on s19, gpr_idx(SRC0)
	v_mov_b32_e32 v130, v32
	s_set_gpr_idx_off
	;; [unrolled: 4-line block ×3, first 2 shown]
	v_fmac_f32_e32 v125, v140, v132
	s_add_u32 s8, s8, 8
	s_waitcnt lgkmcnt(0)
	v_fmac_f32_e32 v125, v141, v133
	v_add_u32_e32 v126, s8, v128
	v_fmac_f32_e32 v125, v129, v134
	s_addc_u32 s9, s9, 0
	s_add_i32 s12, s12, 32
	s_add_i32 s13, s8, -7
	v_cmp_eq_u32_e32 vcc, 25, v126
	v_fmac_f32_e32 v125, v130, v135
	v_mov_b32_e32 v126, s13
	s_or_b64 s[10:11], vcc, s[10:11]
	v_fmac_f32_e32 v125, v131, v136
	s_andn2_b64 exec, exec, s[10:11]
	s_cbranch_execnz .LBB29_169
; %bb.170:
	s_or_b64 exec, exec, s[10:11]
.LBB29_171:
	s_or_b64 exec, exec, s[0:1]
	v_and_b32_e32 v62, 7, v127
	v_cmp_ne_u32_e32 vcc, 0, v62
	s_and_saveexec_b64 s[8:9], vcc
	s_cbranch_execz .LBB29_175
; %bb.172:
	v_mov_b32_e32 v63, 0x80
	v_lshl_add_u32 v63, v126, 2, v63
	v_mov_b32_e32 v127, 0
	s_mov_b64 s[10:11], 0
.LBB29_173:                             ; =>This Inner Loop Header: Depth=1
	v_cmp_eq_u32_e32 vcc, 1, v126
	v_cndmask_b32_e32 v128, v32, v33, vcc
	v_add_u32_e32 v62, -1, v62
	v_cmp_eq_u32_e32 vcc, 2, v126
	v_cndmask_b32_e32 v128, v128, v34, vcc
	v_cmp_eq_u32_e32 vcc, 0, v62
	v_cmp_eq_u32_e64 s[0:1], 3, v126
	v_cndmask_b32_e64 v128, v128, v35, s[0:1]
	s_or_b64 s[10:11], vcc, s[10:11]
	v_cmp_eq_u32_e32 vcc, 4, v126
	v_cndmask_b32_e32 v128, v128, v36, vcc
	v_cmp_eq_u32_e32 vcc, 5, v126
	v_cndmask_b32_e32 v128, v128, v37, vcc
	;; [unrolled: 2-line block ×21, first 2 shown]
	v_cmp_eq_u32_e32 vcc, 25, v126
	ds_read_b32 v129, v63
	v_cndmask_b32_e32 v128, v128, v57, vcc
	v_cmp_eq_u32_e32 vcc, 26, v126
	v_cndmask_b32_e32 v128, v128, v58, vcc
	v_cmp_eq_u32_e32 vcc, 27, v126
	;; [unrolled: 2-line block ×4, first 2 shown]
	v_add_co_u32_e64 v126, s[0:1], 1, v126
	v_cndmask_b32_e32 v128, v128, v61, vcc
	v_add_u32_e32 v63, 4, v63
	v_addc_co_u32_e64 v127, s[0:1], 0, v127, s[0:1]
	s_waitcnt lgkmcnt(0)
	v_fmac_f32_e32 v125, v128, v129
	s_andn2_b64 exec, exec, s[10:11]
	s_cbranch_execnz .LBB29_173
; %bb.174:
	s_or_b64 exec, exec, s[10:11]
.LBB29_175:
	s_or_b64 exec, exec, s[8:9]
.LBB29_176:
	s_or_b64 exec, exec, s[6:7]
	v_mov_b32_e32 v49, 0
	ds_read_b32 v49, v49 offset:68
	s_waitcnt lgkmcnt(0)
	v_mul_f32_e32 v49, v125, v49
.LBB29_177:
	s_or_b64 exec, exec, s[4:5]
	v_cmp_lt_u32_e64 s[0:1], 16, v0
	ds_write_b32 v124, v48
	s_waitcnt lgkmcnt(0)
	; wave barrier
	s_and_saveexec_b64 s[4:5], s[0:1]
	s_cbranch_execz .LBB29_193
; %bb.178:
	s_andn2_b64 vcc, exec, s[62:63]
	s_cbranch_vccnz .LBB29_180
; %bb.179:
	v_cmp_eq_u32_e32 vcc, 1, v0
	v_cndmask_b32_e32 v125, v32, v33, vcc
	v_cmp_eq_u32_e32 vcc, 2, v0
	v_cndmask_b32_e32 v125, v125, v34, vcc
	;; [unrolled: 2-line block ×25, first 2 shown]
	v_cmp_eq_u32_e32 vcc, 26, v0
	ds_read_b32 v126, v124
	v_cndmask_b32_e32 v125, v125, v58, vcc
	v_cmp_eq_u32_e32 vcc, 27, v0
	v_cndmask_b32_e32 v125, v125, v59, vcc
	v_cmp_eq_u32_e32 vcc, 28, v0
	;; [unrolled: 2-line block ×3, first 2 shown]
	v_cndmask_b32_e32 v125, v125, v61, vcc
	s_waitcnt lgkmcnt(0)
	v_mul_f32_e32 v125, v125, v126
	s_cbranch_execz .LBB29_181
	s_branch .LBB29_182
.LBB29_180:
                                        ; implicit-def: $vgpr125
.LBB29_181:
	ds_read_b32 v125, v124
.LBB29_182:
	s_and_saveexec_b64 s[6:7], s[2:3]
	s_cbranch_execz .LBB29_192
; %bb.183:
	v_subrev_u32_e32 v128, 18, v0
	v_mov_b32_e32 v126, 17
	v_subrev_u32_e32 v127, 17, v0
	v_cmp_lt_u32_e32 vcc, 6, v128
	s_and_saveexec_b64 s[2:3], vcc
	s_cbranch_execz .LBB29_187
; %bb.184:
	v_and_b32_e32 v126, -8, v127
	v_sub_u32_e32 v128, 0, v126
	s_mov_b64 s[8:9], 24
	s_movk_i32 s12, 0xc4
	s_mov_b64 s[10:11], 0
.LBB29_185:                             ; =>This Inner Loop Header: Depth=1
	s_add_i32 s13, s8, -7
	v_mov_b32_e32 v126, s12
	s_add_i32 s14, s8, -6
	s_set_gpr_idx_on s13, gpr_idx(SRC0)
	v_mov_b32_e32 v135, v32
	s_set_gpr_idx_off
	ds_read2_b32 v[129:130], v126 offset1:1
	s_add_i32 s15, s8, -5
	s_set_gpr_idx_on s14, gpr_idx(SRC0)
	v_mov_b32_e32 v136, v32
	s_set_gpr_idx_off
	s_add_i32 s16, s8, -4
	s_set_gpr_idx_on s15, gpr_idx(SRC0)
	v_mov_b32_e32 v137, v32
	s_set_gpr_idx_off
	ds_read2_b32 v[131:132], v126 offset0:2 offset1:3
	s_add_i32 s17, s8, -3
	s_set_gpr_idx_on s16, gpr_idx(SRC0)
	v_mov_b32_e32 v138, v32
	s_set_gpr_idx_off
	s_add_i32 s18, s8, -2
	s_set_gpr_idx_on s17, gpr_idx(SRC0)
	v_mov_b32_e32 v139, v32
	s_set_gpr_idx_off
	ds_read2_b32 v[133:134], v126 offset0:4 offset1:5
	s_add_i32 s19, s8, -1
	s_waitcnt lgkmcnt(2)
	v_fmac_f32_e32 v125, v135, v129
	s_set_gpr_idx_on s18, gpr_idx(SRC0)
	v_mov_b32_e32 v135, v32
	s_set_gpr_idx_off
	v_fmac_f32_e32 v125, v136, v130
	s_set_gpr_idx_on s19, gpr_idx(SRC0)
	v_mov_b32_e32 v136, v32
	s_set_gpr_idx_off
	ds_read2_b32 v[129:130], v126 offset0:6 offset1:7
	s_waitcnt lgkmcnt(2)
	v_fmac_f32_e32 v125, v137, v131
	s_set_gpr_idx_on s8, gpr_idx(SRC0)
	v_mov_b32_e32 v131, v32
	s_set_gpr_idx_off
	v_fmac_f32_e32 v125, v138, v132
	s_add_u32 s8, s8, 8
	s_waitcnt lgkmcnt(1)
	v_fmac_f32_e32 v125, v139, v133
	v_add_u32_e32 v126, s8, v128
	v_fmac_f32_e32 v125, v135, v134
	s_addc_u32 s9, s9, 0
	s_add_i32 s12, s12, 32
	s_add_i32 s13, s8, -7
	v_cmp_eq_u32_e32 vcc, 24, v126
	s_waitcnt lgkmcnt(0)
	v_fmac_f32_e32 v125, v136, v129
	v_mov_b32_e32 v126, s13
	s_or_b64 s[10:11], vcc, s[10:11]
	v_fmac_f32_e32 v125, v131, v130
	s_andn2_b64 exec, exec, s[10:11]
	s_cbranch_execnz .LBB29_185
; %bb.186:
	s_or_b64 exec, exec, s[10:11]
.LBB29_187:
	s_or_b64 exec, exec, s[2:3]
	v_and_b32_e32 v62, 7, v127
	v_cmp_ne_u32_e32 vcc, 0, v62
	s_and_saveexec_b64 s[8:9], vcc
	s_cbranch_execz .LBB29_191
; %bb.188:
	v_mov_b32_e32 v63, 0x80
	v_lshl_add_u32 v63, v126, 2, v63
	v_mov_b32_e32 v127, 0
	s_mov_b64 s[10:11], 0
.LBB29_189:                             ; =>This Inner Loop Header: Depth=1
	v_cmp_eq_u32_e32 vcc, 1, v126
	v_cndmask_b32_e32 v128, v32, v33, vcc
	v_add_u32_e32 v62, -1, v62
	v_cmp_eq_u32_e32 vcc, 2, v126
	v_cndmask_b32_e32 v128, v128, v34, vcc
	v_cmp_eq_u32_e32 vcc, 0, v62
	v_cmp_eq_u32_e64 s[2:3], 3, v126
	v_cndmask_b32_e64 v128, v128, v35, s[2:3]
	s_or_b64 s[10:11], vcc, s[10:11]
	v_cmp_eq_u32_e32 vcc, 4, v126
	v_cndmask_b32_e32 v128, v128, v36, vcc
	v_cmp_eq_u32_e32 vcc, 5, v126
	v_cndmask_b32_e32 v128, v128, v37, vcc
	;; [unrolled: 2-line block ×21, first 2 shown]
	v_cmp_eq_u32_e32 vcc, 25, v126
	ds_read_b32 v129, v63
	v_cndmask_b32_e32 v128, v128, v57, vcc
	v_cmp_eq_u32_e32 vcc, 26, v126
	v_cndmask_b32_e32 v128, v128, v58, vcc
	v_cmp_eq_u32_e32 vcc, 27, v126
	;; [unrolled: 2-line block ×4, first 2 shown]
	v_add_co_u32_e64 v126, s[2:3], 1, v126
	v_cndmask_b32_e32 v128, v128, v61, vcc
	v_add_u32_e32 v63, 4, v63
	v_addc_co_u32_e64 v127, s[2:3], 0, v127, s[2:3]
	s_waitcnt lgkmcnt(0)
	v_fmac_f32_e32 v125, v128, v129
	s_andn2_b64 exec, exec, s[10:11]
	s_cbranch_execnz .LBB29_189
; %bb.190:
	s_or_b64 exec, exec, s[10:11]
.LBB29_191:
	s_or_b64 exec, exec, s[8:9]
.LBB29_192:
	s_or_b64 exec, exec, s[6:7]
	v_mov_b32_e32 v48, 0
	ds_read_b32 v48, v48 offset:64
	s_waitcnt lgkmcnt(0)
	v_mul_f32_e32 v48, v125, v48
.LBB29_193:
	s_or_b64 exec, exec, s[4:5]
	v_cmp_lt_u32_e64 s[2:3], 15, v0
	ds_write_b32 v124, v47
	s_waitcnt lgkmcnt(0)
	; wave barrier
	s_and_saveexec_b64 s[4:5], s[2:3]
	s_cbranch_execz .LBB29_209
; %bb.194:
	s_andn2_b64 vcc, exec, s[62:63]
	s_cbranch_vccnz .LBB29_196
; %bb.195:
	v_cmp_eq_u32_e32 vcc, 1, v0
	v_cndmask_b32_e32 v125, v32, v33, vcc
	v_cmp_eq_u32_e32 vcc, 2, v0
	v_cndmask_b32_e32 v125, v125, v34, vcc
	;; [unrolled: 2-line block ×25, first 2 shown]
	v_cmp_eq_u32_e32 vcc, 26, v0
	ds_read_b32 v126, v124
	v_cndmask_b32_e32 v125, v125, v58, vcc
	v_cmp_eq_u32_e32 vcc, 27, v0
	v_cndmask_b32_e32 v125, v125, v59, vcc
	v_cmp_eq_u32_e32 vcc, 28, v0
	;; [unrolled: 2-line block ×3, first 2 shown]
	v_cndmask_b32_e32 v125, v125, v61, vcc
	s_waitcnt lgkmcnt(0)
	v_mul_f32_e32 v125, v125, v126
	s_cbranch_execz .LBB29_197
	s_branch .LBB29_198
.LBB29_196:
                                        ; implicit-def: $vgpr125
.LBB29_197:
	ds_read_b32 v125, v124
.LBB29_198:
	s_and_saveexec_b64 s[6:7], s[0:1]
	s_cbranch_execz .LBB29_208
; %bb.199:
	v_subrev_u32_e32 v126, 17, v0
	v_cmp_lt_u32_e32 vcc, 6, v126
	v_mov_b32_e32 v126, 16
	s_and_saveexec_b64 s[0:1], vcc
	s_cbranch_execz .LBB29_203
; %bb.200:
	v_and_b32_e32 v126, 24, v0
	v_sub_u32_e32 v127, 0, v126
	s_mov_b64 s[8:9], 23
	s_movk_i32 s12, 0xc0
	s_mov_b64 s[10:11], 0
.LBB29_201:                             ; =>This Inner Loop Header: Depth=1
	s_add_i32 s13, s8, -7
	v_mov_b32_e32 v126, s12
	s_add_i32 s14, s8, -6
	s_set_gpr_idx_on s13, gpr_idx(SRC0)
	v_mov_b32_e32 v136, v32
	s_set_gpr_idx_off
	s_add_i32 s15, s8, -5
	ds_read_b128 v[128:131], v126
	ds_read_b128 v[132:135], v126 offset:16
	s_set_gpr_idx_on s14, gpr_idx(SRC0)
	v_mov_b32_e32 v126, v32
	s_set_gpr_idx_off
	s_add_i32 s16, s8, -4
	s_set_gpr_idx_on s15, gpr_idx(SRC0)
	v_mov_b32_e32 v137, v32
	s_set_gpr_idx_off
	s_add_i32 s17, s8, -3
	;; [unrolled: 4-line block ×4, first 2 shown]
	s_waitcnt lgkmcnt(1)
	v_fmac_f32_e32 v125, v136, v128
	s_set_gpr_idx_on s18, gpr_idx(SRC0)
	v_mov_b32_e32 v128, v32
	s_set_gpr_idx_off
	v_fmac_f32_e32 v125, v126, v129
	s_set_gpr_idx_on s19, gpr_idx(SRC0)
	v_mov_b32_e32 v129, v32
	s_set_gpr_idx_off
	;; [unrolled: 4-line block ×3, first 2 shown]
	v_fmac_f32_e32 v125, v138, v131
	s_add_u32 s8, s8, 8
	s_waitcnt lgkmcnt(0)
	v_fmac_f32_e32 v125, v139, v132
	v_add_u32_e32 v126, s8, v127
	v_fmac_f32_e32 v125, v128, v133
	s_addc_u32 s9, s9, 0
	s_add_i32 s12, s12, 32
	s_add_i32 s13, s8, -7
	v_cmp_eq_u32_e32 vcc, 7, v126
	v_fmac_f32_e32 v125, v129, v134
	v_mov_b32_e32 v126, s13
	s_or_b64 s[10:11], vcc, s[10:11]
	v_fmac_f32_e32 v125, v130, v135
	s_andn2_b64 exec, exec, s[10:11]
	s_cbranch_execnz .LBB29_201
; %bb.202:
	s_or_b64 exec, exec, s[10:11]
.LBB29_203:
	s_or_b64 exec, exec, s[0:1]
	v_and_b32_e32 v62, 7, v0
	v_cmp_ne_u32_e32 vcc, 0, v62
	s_and_saveexec_b64 s[8:9], vcc
	s_cbranch_execz .LBB29_207
; %bb.204:
	v_mov_b32_e32 v63, 0x80
	v_lshl_add_u32 v63, v126, 2, v63
	v_mov_b32_e32 v127, 0
	s_mov_b64 s[10:11], 0
.LBB29_205:                             ; =>This Inner Loop Header: Depth=1
	v_cmp_eq_u32_e32 vcc, 1, v126
	v_cndmask_b32_e32 v128, v32, v33, vcc
	v_add_u32_e32 v62, -1, v62
	v_cmp_eq_u32_e32 vcc, 2, v126
	v_cndmask_b32_e32 v128, v128, v34, vcc
	v_cmp_eq_u32_e32 vcc, 0, v62
	v_cmp_eq_u32_e64 s[0:1], 3, v126
	v_cndmask_b32_e64 v128, v128, v35, s[0:1]
	s_or_b64 s[10:11], vcc, s[10:11]
	v_cmp_eq_u32_e32 vcc, 4, v126
	v_cndmask_b32_e32 v128, v128, v36, vcc
	v_cmp_eq_u32_e32 vcc, 5, v126
	v_cndmask_b32_e32 v128, v128, v37, vcc
	v_cmp_eq_u32_e32 vcc, 6, v126
	v_cndmask_b32_e32 v128, v128, v38, vcc
	v_cmp_eq_u32_e32 vcc, 7, v126
	v_cndmask_b32_e32 v128, v128, v39, vcc
	v_cmp_eq_u32_e32 vcc, 8, v126
	v_cndmask_b32_e32 v128, v128, v40, vcc
	v_cmp_eq_u32_e32 vcc, 9, v126
	v_cndmask_b32_e32 v128, v128, v41, vcc
	v_cmp_eq_u32_e32 vcc, 10, v126
	v_cndmask_b32_e32 v128, v128, v42, vcc
	v_cmp_eq_u32_e32 vcc, 11, v126
	v_cndmask_b32_e32 v128, v128, v43, vcc
	v_cmp_eq_u32_e32 vcc, 12, v126
	v_cndmask_b32_e32 v128, v128, v44, vcc
	v_cmp_eq_u32_e32 vcc, 13, v126
	v_cndmask_b32_e32 v128, v128, v45, vcc
	v_cmp_eq_u32_e32 vcc, 14, v126
	v_cndmask_b32_e32 v128, v128, v46, vcc
	v_cmp_eq_u32_e32 vcc, 15, v126
	v_cndmask_b32_e32 v128, v128, v47, vcc
	v_cmp_eq_u32_e32 vcc, 16, v126
	v_cndmask_b32_e32 v128, v128, v48, vcc
	v_cmp_eq_u32_e32 vcc, 17, v126
	v_cndmask_b32_e32 v128, v128, v49, vcc
	v_cmp_eq_u32_e32 vcc, 18, v126
	v_cndmask_b32_e32 v128, v128, v50, vcc
	v_cmp_eq_u32_e32 vcc, 19, v126
	v_cndmask_b32_e32 v128, v128, v51, vcc
	v_cmp_eq_u32_e32 vcc, 20, v126
	v_cndmask_b32_e32 v128, v128, v52, vcc
	v_cmp_eq_u32_e32 vcc, 21, v126
	v_cndmask_b32_e32 v128, v128, v53, vcc
	v_cmp_eq_u32_e32 vcc, 22, v126
	v_cndmask_b32_e32 v128, v128, v54, vcc
	v_cmp_eq_u32_e32 vcc, 23, v126
	v_cndmask_b32_e32 v128, v128, v55, vcc
	v_cmp_eq_u32_e32 vcc, 24, v126
	v_cndmask_b32_e32 v128, v128, v56, vcc
	v_cmp_eq_u32_e32 vcc, 25, v126
	ds_read_b32 v129, v63
	v_cndmask_b32_e32 v128, v128, v57, vcc
	v_cmp_eq_u32_e32 vcc, 26, v126
	v_cndmask_b32_e32 v128, v128, v58, vcc
	v_cmp_eq_u32_e32 vcc, 27, v126
	;; [unrolled: 2-line block ×4, first 2 shown]
	v_add_co_u32_e64 v126, s[0:1], 1, v126
	v_cndmask_b32_e32 v128, v128, v61, vcc
	v_add_u32_e32 v63, 4, v63
	v_addc_co_u32_e64 v127, s[0:1], 0, v127, s[0:1]
	s_waitcnt lgkmcnt(0)
	v_fmac_f32_e32 v125, v128, v129
	s_andn2_b64 exec, exec, s[10:11]
	s_cbranch_execnz .LBB29_205
; %bb.206:
	s_or_b64 exec, exec, s[10:11]
.LBB29_207:
	s_or_b64 exec, exec, s[8:9]
.LBB29_208:
	s_or_b64 exec, exec, s[6:7]
	v_mov_b32_e32 v47, 0
	ds_read_b32 v47, v47 offset:60
	s_waitcnt lgkmcnt(0)
	v_mul_f32_e32 v47, v125, v47
.LBB29_209:
	s_or_b64 exec, exec, s[4:5]
	v_cmp_lt_u32_e64 s[0:1], 14, v0
	ds_write_b32 v124, v46
	s_waitcnt lgkmcnt(0)
	; wave barrier
	s_and_saveexec_b64 s[4:5], s[0:1]
	s_cbranch_execz .LBB29_225
; %bb.210:
	s_andn2_b64 vcc, exec, s[62:63]
	s_cbranch_vccnz .LBB29_212
; %bb.211:
	v_cmp_eq_u32_e32 vcc, 1, v0
	v_cndmask_b32_e32 v125, v32, v33, vcc
	v_cmp_eq_u32_e32 vcc, 2, v0
	v_cndmask_b32_e32 v125, v125, v34, vcc
	;; [unrolled: 2-line block ×25, first 2 shown]
	v_cmp_eq_u32_e32 vcc, 26, v0
	ds_read_b32 v126, v124
	v_cndmask_b32_e32 v125, v125, v58, vcc
	v_cmp_eq_u32_e32 vcc, 27, v0
	v_cndmask_b32_e32 v125, v125, v59, vcc
	v_cmp_eq_u32_e32 vcc, 28, v0
	;; [unrolled: 2-line block ×3, first 2 shown]
	v_cndmask_b32_e32 v125, v125, v61, vcc
	s_waitcnt lgkmcnt(0)
	v_mul_f32_e32 v125, v125, v126
	s_cbranch_execz .LBB29_213
	s_branch .LBB29_214
.LBB29_212:
                                        ; implicit-def: $vgpr125
.LBB29_213:
	ds_read_b32 v125, v124
.LBB29_214:
	s_and_saveexec_b64 s[6:7], s[2:3]
	s_cbranch_execz .LBB29_224
; %bb.215:
	v_add_u32_e32 v126, -16, v0
	v_add_u32_e32 v127, -15, v0
	v_cmp_lt_u32_e32 vcc, 6, v126
	v_mov_b32_e32 v126, 15
	s_and_saveexec_b64 s[2:3], vcc
	s_cbranch_execz .LBB29_219
; %bb.216:
	v_and_b32_e32 v126, -8, v127
	v_sub_u32_e32 v128, 0, v126
	s_mov_b64 s[8:9], 22
	s_movk_i32 s12, 0xbc
	s_mov_b64 s[10:11], 0
.LBB29_217:                             ; =>This Inner Loop Header: Depth=1
	s_add_i32 s13, s8, -7
	v_mov_b32_e32 v126, s12
	s_add_i32 s14, s8, -6
	s_set_gpr_idx_on s13, gpr_idx(SRC0)
	v_mov_b32_e32 v135, v32
	s_set_gpr_idx_off
	ds_read2_b32 v[129:130], v126 offset1:1
	s_add_i32 s15, s8, -5
	s_set_gpr_idx_on s14, gpr_idx(SRC0)
	v_mov_b32_e32 v136, v32
	s_set_gpr_idx_off
	s_add_i32 s16, s8, -4
	s_set_gpr_idx_on s15, gpr_idx(SRC0)
	v_mov_b32_e32 v137, v32
	s_set_gpr_idx_off
	ds_read2_b32 v[131:132], v126 offset0:2 offset1:3
	s_add_i32 s17, s8, -3
	s_set_gpr_idx_on s16, gpr_idx(SRC0)
	v_mov_b32_e32 v138, v32
	s_set_gpr_idx_off
	s_add_i32 s18, s8, -2
	s_set_gpr_idx_on s17, gpr_idx(SRC0)
	v_mov_b32_e32 v139, v32
	s_set_gpr_idx_off
	ds_read2_b32 v[133:134], v126 offset0:4 offset1:5
	s_add_i32 s19, s8, -1
	s_waitcnt lgkmcnt(2)
	v_fmac_f32_e32 v125, v135, v129
	s_set_gpr_idx_on s18, gpr_idx(SRC0)
	v_mov_b32_e32 v135, v32
	s_set_gpr_idx_off
	v_fmac_f32_e32 v125, v136, v130
	s_set_gpr_idx_on s19, gpr_idx(SRC0)
	v_mov_b32_e32 v136, v32
	s_set_gpr_idx_off
	ds_read2_b32 v[129:130], v126 offset0:6 offset1:7
	s_waitcnt lgkmcnt(2)
	v_fmac_f32_e32 v125, v137, v131
	s_set_gpr_idx_on s8, gpr_idx(SRC0)
	v_mov_b32_e32 v131, v32
	s_set_gpr_idx_off
	v_fmac_f32_e32 v125, v138, v132
	s_add_u32 s8, s8, 8
	s_waitcnt lgkmcnt(1)
	v_fmac_f32_e32 v125, v139, v133
	v_add_u32_e32 v126, s8, v128
	v_fmac_f32_e32 v125, v135, v134
	s_addc_u32 s9, s9, 0
	s_add_i32 s12, s12, 32
	s_add_i32 s13, s8, -7
	v_cmp_eq_u32_e32 vcc, 22, v126
	s_waitcnt lgkmcnt(0)
	v_fmac_f32_e32 v125, v136, v129
	v_mov_b32_e32 v126, s13
	s_or_b64 s[10:11], vcc, s[10:11]
	v_fmac_f32_e32 v125, v131, v130
	s_andn2_b64 exec, exec, s[10:11]
	s_cbranch_execnz .LBB29_217
; %bb.218:
	s_or_b64 exec, exec, s[10:11]
.LBB29_219:
	s_or_b64 exec, exec, s[2:3]
	v_and_b32_e32 v62, 7, v127
	v_cmp_ne_u32_e32 vcc, 0, v62
	s_and_saveexec_b64 s[8:9], vcc
	s_cbranch_execz .LBB29_223
; %bb.220:
	v_mov_b32_e32 v63, 0x80
	v_lshl_add_u32 v63, v126, 2, v63
	v_mov_b32_e32 v127, 0
	s_mov_b64 s[10:11], 0
.LBB29_221:                             ; =>This Inner Loop Header: Depth=1
	v_cmp_eq_u32_e32 vcc, 1, v126
	v_cndmask_b32_e32 v128, v32, v33, vcc
	v_add_u32_e32 v62, -1, v62
	v_cmp_eq_u32_e32 vcc, 2, v126
	v_cndmask_b32_e32 v128, v128, v34, vcc
	v_cmp_eq_u32_e32 vcc, 0, v62
	v_cmp_eq_u32_e64 s[2:3], 3, v126
	v_cndmask_b32_e64 v128, v128, v35, s[2:3]
	s_or_b64 s[10:11], vcc, s[10:11]
	v_cmp_eq_u32_e32 vcc, 4, v126
	v_cndmask_b32_e32 v128, v128, v36, vcc
	v_cmp_eq_u32_e32 vcc, 5, v126
	v_cndmask_b32_e32 v128, v128, v37, vcc
	;; [unrolled: 2-line block ×21, first 2 shown]
	v_cmp_eq_u32_e32 vcc, 25, v126
	ds_read_b32 v129, v63
	v_cndmask_b32_e32 v128, v128, v57, vcc
	v_cmp_eq_u32_e32 vcc, 26, v126
	v_cndmask_b32_e32 v128, v128, v58, vcc
	v_cmp_eq_u32_e32 vcc, 27, v126
	;; [unrolled: 2-line block ×4, first 2 shown]
	v_add_co_u32_e64 v126, s[2:3], 1, v126
	v_cndmask_b32_e32 v128, v128, v61, vcc
	v_add_u32_e32 v63, 4, v63
	v_addc_co_u32_e64 v127, s[2:3], 0, v127, s[2:3]
	s_waitcnt lgkmcnt(0)
	v_fmac_f32_e32 v125, v128, v129
	s_andn2_b64 exec, exec, s[10:11]
	s_cbranch_execnz .LBB29_221
; %bb.222:
	s_or_b64 exec, exec, s[10:11]
.LBB29_223:
	s_or_b64 exec, exec, s[8:9]
.LBB29_224:
	s_or_b64 exec, exec, s[6:7]
	v_mov_b32_e32 v46, 0
	ds_read_b32 v46, v46 offset:56
	s_waitcnt lgkmcnt(0)
	v_mul_f32_e32 v46, v125, v46
.LBB29_225:
	s_or_b64 exec, exec, s[4:5]
	v_cmp_lt_u32_e64 s[2:3], 13, v0
	ds_write_b32 v124, v45
	s_waitcnt lgkmcnt(0)
	; wave barrier
	s_and_saveexec_b64 s[4:5], s[2:3]
	s_cbranch_execz .LBB29_241
; %bb.226:
	s_andn2_b64 vcc, exec, s[62:63]
	s_cbranch_vccnz .LBB29_228
; %bb.227:
	v_cmp_eq_u32_e32 vcc, 1, v0
	v_cndmask_b32_e32 v125, v32, v33, vcc
	v_cmp_eq_u32_e32 vcc, 2, v0
	v_cndmask_b32_e32 v125, v125, v34, vcc
	;; [unrolled: 2-line block ×25, first 2 shown]
	v_cmp_eq_u32_e32 vcc, 26, v0
	ds_read_b32 v126, v124
	v_cndmask_b32_e32 v125, v125, v58, vcc
	v_cmp_eq_u32_e32 vcc, 27, v0
	v_cndmask_b32_e32 v125, v125, v59, vcc
	v_cmp_eq_u32_e32 vcc, 28, v0
	;; [unrolled: 2-line block ×3, first 2 shown]
	v_cndmask_b32_e32 v125, v125, v61, vcc
	s_waitcnt lgkmcnt(0)
	v_mul_f32_e32 v125, v125, v126
	s_cbranch_execz .LBB29_229
	s_branch .LBB29_230
.LBB29_228:
                                        ; implicit-def: $vgpr125
.LBB29_229:
	ds_read_b32 v125, v124
.LBB29_230:
	s_and_saveexec_b64 s[6:7], s[0:1]
	s_cbranch_execz .LBB29_240
; %bb.231:
	v_add_u32_e32 v126, -15, v0
	v_add_u32_e32 v127, -14, v0
	v_cmp_lt_u32_e32 vcc, 6, v126
	v_mov_b32_e32 v126, 14
	s_and_saveexec_b64 s[0:1], vcc
	s_cbranch_execz .LBB29_235
; %bb.232:
	v_and_b32_e32 v126, -8, v127
	v_sub_u32_e32 v128, 0, v126
	s_mov_b64 s[8:9], 21
	s_movk_i32 s12, 0xb8
	s_mov_b64 s[10:11], 0
.LBB29_233:                             ; =>This Inner Loop Header: Depth=1
	s_add_i32 s13, s8, -7
	v_mov_b32_e32 v126, s12
	s_add_i32 s14, s8, -6
	s_set_gpr_idx_on s13, gpr_idx(SRC0)
	v_mov_b32_e32 v137, v32
	s_set_gpr_idx_off
	ds_read2_b64 v[129:132], v126 offset1:1
	s_add_i32 s15, s8, -5
	s_set_gpr_idx_on s14, gpr_idx(SRC0)
	v_mov_b32_e32 v138, v32
	s_set_gpr_idx_off
	s_add_i32 s16, s8, -4
	s_set_gpr_idx_on s15, gpr_idx(SRC0)
	v_mov_b32_e32 v139, v32
	s_set_gpr_idx_off
	;; [unrolled: 4-line block ×4, first 2 shown]
	ds_read2_b64 v[133:136], v126 offset0:2 offset1:3
	s_add_i32 s19, s8, -1
	s_waitcnt lgkmcnt(1)
	v_fmac_f32_e32 v125, v137, v129
	s_set_gpr_idx_on s18, gpr_idx(SRC0)
	v_mov_b32_e32 v129, v32
	s_set_gpr_idx_off
	v_fmac_f32_e32 v125, v138, v130
	s_set_gpr_idx_on s19, gpr_idx(SRC0)
	v_mov_b32_e32 v130, v32
	s_set_gpr_idx_off
	;; [unrolled: 4-line block ×3, first 2 shown]
	v_fmac_f32_e32 v125, v140, v132
	s_add_u32 s8, s8, 8
	s_waitcnt lgkmcnt(0)
	v_fmac_f32_e32 v125, v141, v133
	v_add_u32_e32 v126, s8, v128
	v_fmac_f32_e32 v125, v129, v134
	s_addc_u32 s9, s9, 0
	s_add_i32 s12, s12, 32
	s_add_i32 s13, s8, -7
	v_cmp_eq_u32_e32 vcc, 21, v126
	v_fmac_f32_e32 v125, v130, v135
	v_mov_b32_e32 v126, s13
	s_or_b64 s[10:11], vcc, s[10:11]
	v_fmac_f32_e32 v125, v131, v136
	s_andn2_b64 exec, exec, s[10:11]
	s_cbranch_execnz .LBB29_233
; %bb.234:
	s_or_b64 exec, exec, s[10:11]
.LBB29_235:
	s_or_b64 exec, exec, s[0:1]
	v_and_b32_e32 v62, 7, v127
	v_cmp_ne_u32_e32 vcc, 0, v62
	s_and_saveexec_b64 s[8:9], vcc
	s_cbranch_execz .LBB29_239
; %bb.236:
	v_mov_b32_e32 v63, 0x80
	v_lshl_add_u32 v63, v126, 2, v63
	v_mov_b32_e32 v127, 0
	s_mov_b64 s[10:11], 0
.LBB29_237:                             ; =>This Inner Loop Header: Depth=1
	v_cmp_eq_u32_e32 vcc, 1, v126
	v_cndmask_b32_e32 v128, v32, v33, vcc
	v_add_u32_e32 v62, -1, v62
	v_cmp_eq_u32_e32 vcc, 2, v126
	v_cndmask_b32_e32 v128, v128, v34, vcc
	v_cmp_eq_u32_e32 vcc, 0, v62
	v_cmp_eq_u32_e64 s[0:1], 3, v126
	v_cndmask_b32_e64 v128, v128, v35, s[0:1]
	s_or_b64 s[10:11], vcc, s[10:11]
	v_cmp_eq_u32_e32 vcc, 4, v126
	v_cndmask_b32_e32 v128, v128, v36, vcc
	v_cmp_eq_u32_e32 vcc, 5, v126
	v_cndmask_b32_e32 v128, v128, v37, vcc
	;; [unrolled: 2-line block ×21, first 2 shown]
	v_cmp_eq_u32_e32 vcc, 25, v126
	ds_read_b32 v129, v63
	v_cndmask_b32_e32 v128, v128, v57, vcc
	v_cmp_eq_u32_e32 vcc, 26, v126
	v_cndmask_b32_e32 v128, v128, v58, vcc
	v_cmp_eq_u32_e32 vcc, 27, v126
	;; [unrolled: 2-line block ×4, first 2 shown]
	v_add_co_u32_e64 v126, s[0:1], 1, v126
	v_cndmask_b32_e32 v128, v128, v61, vcc
	v_add_u32_e32 v63, 4, v63
	v_addc_co_u32_e64 v127, s[0:1], 0, v127, s[0:1]
	s_waitcnt lgkmcnt(0)
	v_fmac_f32_e32 v125, v128, v129
	s_andn2_b64 exec, exec, s[10:11]
	s_cbranch_execnz .LBB29_237
; %bb.238:
	s_or_b64 exec, exec, s[10:11]
.LBB29_239:
	s_or_b64 exec, exec, s[8:9]
.LBB29_240:
	s_or_b64 exec, exec, s[6:7]
	v_mov_b32_e32 v45, 0
	ds_read_b32 v45, v45 offset:52
	s_waitcnt lgkmcnt(0)
	v_mul_f32_e32 v45, v125, v45
.LBB29_241:
	s_or_b64 exec, exec, s[4:5]
	v_cmp_lt_u32_e64 s[0:1], 12, v0
	ds_write_b32 v124, v44
	s_waitcnt lgkmcnt(0)
	; wave barrier
	s_and_saveexec_b64 s[4:5], s[0:1]
	s_cbranch_execz .LBB29_257
; %bb.242:
	s_andn2_b64 vcc, exec, s[62:63]
	s_cbranch_vccnz .LBB29_244
; %bb.243:
	v_cmp_eq_u32_e32 vcc, 1, v0
	v_cndmask_b32_e32 v125, v32, v33, vcc
	v_cmp_eq_u32_e32 vcc, 2, v0
	v_cndmask_b32_e32 v125, v125, v34, vcc
	;; [unrolled: 2-line block ×25, first 2 shown]
	v_cmp_eq_u32_e32 vcc, 26, v0
	ds_read_b32 v126, v124
	v_cndmask_b32_e32 v125, v125, v58, vcc
	v_cmp_eq_u32_e32 vcc, 27, v0
	v_cndmask_b32_e32 v125, v125, v59, vcc
	v_cmp_eq_u32_e32 vcc, 28, v0
	;; [unrolled: 2-line block ×3, first 2 shown]
	v_cndmask_b32_e32 v125, v125, v61, vcc
	s_waitcnt lgkmcnt(0)
	v_mul_f32_e32 v125, v125, v126
	s_cbranch_execz .LBB29_245
	s_branch .LBB29_246
.LBB29_244:
                                        ; implicit-def: $vgpr125
.LBB29_245:
	ds_read_b32 v125, v124
.LBB29_246:
	s_and_saveexec_b64 s[6:7], s[2:3]
	s_cbranch_execz .LBB29_256
; %bb.247:
	v_add_u32_e32 v126, -14, v0
	v_add_u32_e32 v127, -13, v0
	v_cmp_lt_u32_e32 vcc, 6, v126
	v_mov_b32_e32 v126, 13
	s_and_saveexec_b64 s[2:3], vcc
	s_cbranch_execz .LBB29_251
; %bb.248:
	v_and_b32_e32 v126, -8, v127
	v_sub_u32_e32 v128, 0, v126
	s_mov_b64 s[8:9], 20
	s_movk_i32 s12, 0xb4
	s_mov_b64 s[10:11], 0
.LBB29_249:                             ; =>This Inner Loop Header: Depth=1
	s_add_i32 s13, s8, -7
	v_mov_b32_e32 v126, s12
	s_add_i32 s14, s8, -6
	s_set_gpr_idx_on s13, gpr_idx(SRC0)
	v_mov_b32_e32 v135, v32
	s_set_gpr_idx_off
	ds_read2_b32 v[129:130], v126 offset1:1
	s_add_i32 s15, s8, -5
	s_set_gpr_idx_on s14, gpr_idx(SRC0)
	v_mov_b32_e32 v136, v32
	s_set_gpr_idx_off
	s_add_i32 s16, s8, -4
	s_set_gpr_idx_on s15, gpr_idx(SRC0)
	v_mov_b32_e32 v137, v32
	s_set_gpr_idx_off
	ds_read2_b32 v[131:132], v126 offset0:2 offset1:3
	s_add_i32 s17, s8, -3
	s_set_gpr_idx_on s16, gpr_idx(SRC0)
	v_mov_b32_e32 v138, v32
	s_set_gpr_idx_off
	s_add_i32 s18, s8, -2
	s_set_gpr_idx_on s17, gpr_idx(SRC0)
	v_mov_b32_e32 v139, v32
	s_set_gpr_idx_off
	ds_read2_b32 v[133:134], v126 offset0:4 offset1:5
	s_add_i32 s19, s8, -1
	s_waitcnt lgkmcnt(2)
	v_fmac_f32_e32 v125, v135, v129
	s_set_gpr_idx_on s18, gpr_idx(SRC0)
	v_mov_b32_e32 v135, v32
	s_set_gpr_idx_off
	v_fmac_f32_e32 v125, v136, v130
	s_set_gpr_idx_on s19, gpr_idx(SRC0)
	v_mov_b32_e32 v136, v32
	s_set_gpr_idx_off
	ds_read2_b32 v[129:130], v126 offset0:6 offset1:7
	s_waitcnt lgkmcnt(2)
	v_fmac_f32_e32 v125, v137, v131
	s_set_gpr_idx_on s8, gpr_idx(SRC0)
	v_mov_b32_e32 v131, v32
	s_set_gpr_idx_off
	v_fmac_f32_e32 v125, v138, v132
	s_add_u32 s8, s8, 8
	s_waitcnt lgkmcnt(1)
	v_fmac_f32_e32 v125, v139, v133
	v_add_u32_e32 v126, s8, v128
	v_fmac_f32_e32 v125, v135, v134
	s_addc_u32 s9, s9, 0
	s_add_i32 s12, s12, 32
	s_add_i32 s13, s8, -7
	v_cmp_eq_u32_e32 vcc, 20, v126
	s_waitcnt lgkmcnt(0)
	v_fmac_f32_e32 v125, v136, v129
	v_mov_b32_e32 v126, s13
	s_or_b64 s[10:11], vcc, s[10:11]
	v_fmac_f32_e32 v125, v131, v130
	s_andn2_b64 exec, exec, s[10:11]
	s_cbranch_execnz .LBB29_249
; %bb.250:
	s_or_b64 exec, exec, s[10:11]
.LBB29_251:
	s_or_b64 exec, exec, s[2:3]
	v_and_b32_e32 v62, 7, v127
	v_cmp_ne_u32_e32 vcc, 0, v62
	s_and_saveexec_b64 s[8:9], vcc
	s_cbranch_execz .LBB29_255
; %bb.252:
	v_mov_b32_e32 v63, 0x80
	v_lshl_add_u32 v63, v126, 2, v63
	v_mov_b32_e32 v127, 0
	s_mov_b64 s[10:11], 0
.LBB29_253:                             ; =>This Inner Loop Header: Depth=1
	v_cmp_eq_u32_e32 vcc, 1, v126
	v_cndmask_b32_e32 v128, v32, v33, vcc
	v_add_u32_e32 v62, -1, v62
	v_cmp_eq_u32_e32 vcc, 2, v126
	v_cndmask_b32_e32 v128, v128, v34, vcc
	v_cmp_eq_u32_e32 vcc, 0, v62
	v_cmp_eq_u32_e64 s[2:3], 3, v126
	v_cndmask_b32_e64 v128, v128, v35, s[2:3]
	s_or_b64 s[10:11], vcc, s[10:11]
	v_cmp_eq_u32_e32 vcc, 4, v126
	v_cndmask_b32_e32 v128, v128, v36, vcc
	v_cmp_eq_u32_e32 vcc, 5, v126
	v_cndmask_b32_e32 v128, v128, v37, vcc
	;; [unrolled: 2-line block ×21, first 2 shown]
	v_cmp_eq_u32_e32 vcc, 25, v126
	ds_read_b32 v129, v63
	v_cndmask_b32_e32 v128, v128, v57, vcc
	v_cmp_eq_u32_e32 vcc, 26, v126
	v_cndmask_b32_e32 v128, v128, v58, vcc
	v_cmp_eq_u32_e32 vcc, 27, v126
	;; [unrolled: 2-line block ×4, first 2 shown]
	v_add_co_u32_e64 v126, s[2:3], 1, v126
	v_cndmask_b32_e32 v128, v128, v61, vcc
	v_add_u32_e32 v63, 4, v63
	v_addc_co_u32_e64 v127, s[2:3], 0, v127, s[2:3]
	s_waitcnt lgkmcnt(0)
	v_fmac_f32_e32 v125, v128, v129
	s_andn2_b64 exec, exec, s[10:11]
	s_cbranch_execnz .LBB29_253
; %bb.254:
	s_or_b64 exec, exec, s[10:11]
.LBB29_255:
	s_or_b64 exec, exec, s[8:9]
.LBB29_256:
	s_or_b64 exec, exec, s[6:7]
	v_mov_b32_e32 v44, 0
	ds_read_b32 v44, v44 offset:48
	s_waitcnt lgkmcnt(0)
	v_mul_f32_e32 v44, v125, v44
.LBB29_257:
	s_or_b64 exec, exec, s[4:5]
	v_cmp_lt_u32_e64 s[2:3], 11, v0
	ds_write_b32 v124, v43
	s_waitcnt lgkmcnt(0)
	; wave barrier
	s_and_saveexec_b64 s[4:5], s[2:3]
	s_cbranch_execz .LBB29_273
; %bb.258:
	s_andn2_b64 vcc, exec, s[62:63]
	s_cbranch_vccnz .LBB29_260
; %bb.259:
	v_cmp_eq_u32_e32 vcc, 1, v0
	v_cndmask_b32_e32 v125, v32, v33, vcc
	v_cmp_eq_u32_e32 vcc, 2, v0
	v_cndmask_b32_e32 v125, v125, v34, vcc
	;; [unrolled: 2-line block ×25, first 2 shown]
	v_cmp_eq_u32_e32 vcc, 26, v0
	ds_read_b32 v126, v124
	v_cndmask_b32_e32 v125, v125, v58, vcc
	v_cmp_eq_u32_e32 vcc, 27, v0
	v_cndmask_b32_e32 v125, v125, v59, vcc
	v_cmp_eq_u32_e32 vcc, 28, v0
	;; [unrolled: 2-line block ×3, first 2 shown]
	v_cndmask_b32_e32 v125, v125, v61, vcc
	s_waitcnt lgkmcnt(0)
	v_mul_f32_e32 v125, v125, v126
	s_cbranch_execz .LBB29_261
	s_branch .LBB29_262
.LBB29_260:
                                        ; implicit-def: $vgpr125
.LBB29_261:
	ds_read_b32 v125, v124
.LBB29_262:
	s_and_saveexec_b64 s[6:7], s[0:1]
	s_cbranch_execz .LBB29_272
; %bb.263:
	v_add_u32_e32 v126, -13, v0
	v_add_u32_e32 v127, -12, v0
	v_cmp_lt_u32_e32 vcc, 6, v126
	v_mov_b32_e32 v126, 12
	s_and_saveexec_b64 s[0:1], vcc
	s_cbranch_execz .LBB29_267
; %bb.264:
	v_and_b32_e32 v126, -8, v127
	v_sub_u32_e32 v128, 0, v126
	s_mov_b64 s[8:9], 19
	s_movk_i32 s12, 0xb0
	s_mov_b64 s[10:11], 0
.LBB29_265:                             ; =>This Inner Loop Header: Depth=1
	s_add_i32 s13, s8, -7
	v_mov_b32_e32 v126, s12
	s_add_i32 s14, s8, -6
	s_set_gpr_idx_on s13, gpr_idx(SRC0)
	v_mov_b32_e32 v137, v32
	s_set_gpr_idx_off
	s_add_i32 s15, s8, -5
	ds_read_b128 v[129:132], v126
	ds_read_b128 v[133:136], v126 offset:16
	s_set_gpr_idx_on s14, gpr_idx(SRC0)
	v_mov_b32_e32 v126, v32
	s_set_gpr_idx_off
	s_add_i32 s16, s8, -4
	s_set_gpr_idx_on s15, gpr_idx(SRC0)
	v_mov_b32_e32 v138, v32
	s_set_gpr_idx_off
	s_add_i32 s17, s8, -3
	;; [unrolled: 4-line block ×4, first 2 shown]
	s_waitcnt lgkmcnt(1)
	v_fmac_f32_e32 v125, v137, v129
	s_set_gpr_idx_on s18, gpr_idx(SRC0)
	v_mov_b32_e32 v129, v32
	s_set_gpr_idx_off
	v_fmac_f32_e32 v125, v126, v130
	s_set_gpr_idx_on s19, gpr_idx(SRC0)
	v_mov_b32_e32 v130, v32
	s_set_gpr_idx_off
	;; [unrolled: 4-line block ×3, first 2 shown]
	v_fmac_f32_e32 v125, v139, v132
	s_add_u32 s8, s8, 8
	s_waitcnt lgkmcnt(0)
	v_fmac_f32_e32 v125, v140, v133
	v_add_u32_e32 v126, s8, v128
	v_fmac_f32_e32 v125, v129, v134
	s_addc_u32 s9, s9, 0
	s_add_i32 s12, s12, 32
	s_add_i32 s13, s8, -7
	v_cmp_eq_u32_e32 vcc, 19, v126
	v_fmac_f32_e32 v125, v130, v135
	v_mov_b32_e32 v126, s13
	s_or_b64 s[10:11], vcc, s[10:11]
	v_fmac_f32_e32 v125, v131, v136
	s_andn2_b64 exec, exec, s[10:11]
	s_cbranch_execnz .LBB29_265
; %bb.266:
	s_or_b64 exec, exec, s[10:11]
.LBB29_267:
	s_or_b64 exec, exec, s[0:1]
	v_and_b32_e32 v62, 7, v127
	v_cmp_ne_u32_e32 vcc, 0, v62
	s_and_saveexec_b64 s[8:9], vcc
	s_cbranch_execz .LBB29_271
; %bb.268:
	v_mov_b32_e32 v63, 0x80
	v_lshl_add_u32 v63, v126, 2, v63
	v_mov_b32_e32 v127, 0
	s_mov_b64 s[10:11], 0
.LBB29_269:                             ; =>This Inner Loop Header: Depth=1
	v_cmp_eq_u32_e32 vcc, 1, v126
	v_cndmask_b32_e32 v128, v32, v33, vcc
	v_add_u32_e32 v62, -1, v62
	v_cmp_eq_u32_e32 vcc, 2, v126
	v_cndmask_b32_e32 v128, v128, v34, vcc
	v_cmp_eq_u32_e32 vcc, 0, v62
	v_cmp_eq_u32_e64 s[0:1], 3, v126
	v_cndmask_b32_e64 v128, v128, v35, s[0:1]
	s_or_b64 s[10:11], vcc, s[10:11]
	v_cmp_eq_u32_e32 vcc, 4, v126
	v_cndmask_b32_e32 v128, v128, v36, vcc
	v_cmp_eq_u32_e32 vcc, 5, v126
	v_cndmask_b32_e32 v128, v128, v37, vcc
	;; [unrolled: 2-line block ×21, first 2 shown]
	v_cmp_eq_u32_e32 vcc, 25, v126
	ds_read_b32 v129, v63
	v_cndmask_b32_e32 v128, v128, v57, vcc
	v_cmp_eq_u32_e32 vcc, 26, v126
	v_cndmask_b32_e32 v128, v128, v58, vcc
	v_cmp_eq_u32_e32 vcc, 27, v126
	;; [unrolled: 2-line block ×4, first 2 shown]
	v_add_co_u32_e64 v126, s[0:1], 1, v126
	v_cndmask_b32_e32 v128, v128, v61, vcc
	v_add_u32_e32 v63, 4, v63
	v_addc_co_u32_e64 v127, s[0:1], 0, v127, s[0:1]
	s_waitcnt lgkmcnt(0)
	v_fmac_f32_e32 v125, v128, v129
	s_andn2_b64 exec, exec, s[10:11]
	s_cbranch_execnz .LBB29_269
; %bb.270:
	s_or_b64 exec, exec, s[10:11]
.LBB29_271:
	s_or_b64 exec, exec, s[8:9]
.LBB29_272:
	s_or_b64 exec, exec, s[6:7]
	v_mov_b32_e32 v43, 0
	ds_read_b32 v43, v43 offset:44
	s_waitcnt lgkmcnt(0)
	v_mul_f32_e32 v43, v125, v43
.LBB29_273:
	s_or_b64 exec, exec, s[4:5]
	v_cmp_lt_u32_e64 s[0:1], 10, v0
	ds_write_b32 v124, v42
	s_waitcnt lgkmcnt(0)
	; wave barrier
	s_and_saveexec_b64 s[4:5], s[0:1]
	s_cbranch_execz .LBB29_289
; %bb.274:
	s_andn2_b64 vcc, exec, s[62:63]
	s_cbranch_vccnz .LBB29_276
; %bb.275:
	v_cmp_eq_u32_e32 vcc, 1, v0
	v_cndmask_b32_e32 v125, v32, v33, vcc
	v_cmp_eq_u32_e32 vcc, 2, v0
	v_cndmask_b32_e32 v125, v125, v34, vcc
	;; [unrolled: 2-line block ×25, first 2 shown]
	v_cmp_eq_u32_e32 vcc, 26, v0
	ds_read_b32 v126, v124
	v_cndmask_b32_e32 v125, v125, v58, vcc
	v_cmp_eq_u32_e32 vcc, 27, v0
	v_cndmask_b32_e32 v125, v125, v59, vcc
	v_cmp_eq_u32_e32 vcc, 28, v0
	;; [unrolled: 2-line block ×3, first 2 shown]
	v_cndmask_b32_e32 v125, v125, v61, vcc
	s_waitcnt lgkmcnt(0)
	v_mul_f32_e32 v125, v125, v126
	s_cbranch_execz .LBB29_277
	s_branch .LBB29_278
.LBB29_276:
                                        ; implicit-def: $vgpr125
.LBB29_277:
	ds_read_b32 v125, v124
.LBB29_278:
	s_and_saveexec_b64 s[6:7], s[2:3]
	s_cbranch_execz .LBB29_288
; %bb.279:
	v_add_u32_e32 v126, -12, v0
	v_add_u32_e32 v127, -11, v0
	v_cmp_lt_u32_e32 vcc, 6, v126
	v_mov_b32_e32 v126, 11
	s_and_saveexec_b64 s[2:3], vcc
	s_cbranch_execz .LBB29_283
; %bb.280:
	v_and_b32_e32 v126, -8, v127
	v_sub_u32_e32 v128, 0, v126
	s_mov_b64 s[8:9], 18
	s_movk_i32 s12, 0xac
	s_mov_b64 s[10:11], 0
.LBB29_281:                             ; =>This Inner Loop Header: Depth=1
	s_add_i32 s13, s8, -7
	v_mov_b32_e32 v126, s12
	s_add_i32 s14, s8, -6
	s_set_gpr_idx_on s13, gpr_idx(SRC0)
	v_mov_b32_e32 v135, v32
	s_set_gpr_idx_off
	ds_read2_b32 v[129:130], v126 offset1:1
	s_add_i32 s15, s8, -5
	s_set_gpr_idx_on s14, gpr_idx(SRC0)
	v_mov_b32_e32 v136, v32
	s_set_gpr_idx_off
	s_add_i32 s16, s8, -4
	s_set_gpr_idx_on s15, gpr_idx(SRC0)
	v_mov_b32_e32 v137, v32
	s_set_gpr_idx_off
	ds_read2_b32 v[131:132], v126 offset0:2 offset1:3
	s_add_i32 s17, s8, -3
	s_set_gpr_idx_on s16, gpr_idx(SRC0)
	v_mov_b32_e32 v138, v32
	s_set_gpr_idx_off
	s_add_i32 s18, s8, -2
	s_set_gpr_idx_on s17, gpr_idx(SRC0)
	v_mov_b32_e32 v139, v32
	s_set_gpr_idx_off
	ds_read2_b32 v[133:134], v126 offset0:4 offset1:5
	s_add_i32 s19, s8, -1
	s_waitcnt lgkmcnt(2)
	v_fmac_f32_e32 v125, v135, v129
	s_set_gpr_idx_on s18, gpr_idx(SRC0)
	v_mov_b32_e32 v135, v32
	s_set_gpr_idx_off
	v_fmac_f32_e32 v125, v136, v130
	s_set_gpr_idx_on s19, gpr_idx(SRC0)
	v_mov_b32_e32 v136, v32
	s_set_gpr_idx_off
	ds_read2_b32 v[129:130], v126 offset0:6 offset1:7
	s_waitcnt lgkmcnt(2)
	v_fmac_f32_e32 v125, v137, v131
	s_set_gpr_idx_on s8, gpr_idx(SRC0)
	v_mov_b32_e32 v131, v32
	s_set_gpr_idx_off
	v_fmac_f32_e32 v125, v138, v132
	s_add_u32 s8, s8, 8
	s_waitcnt lgkmcnt(1)
	v_fmac_f32_e32 v125, v139, v133
	v_add_u32_e32 v126, s8, v128
	v_fmac_f32_e32 v125, v135, v134
	s_addc_u32 s9, s9, 0
	s_add_i32 s12, s12, 32
	s_add_i32 s13, s8, -7
	v_cmp_eq_u32_e32 vcc, 18, v126
	s_waitcnt lgkmcnt(0)
	v_fmac_f32_e32 v125, v136, v129
	v_mov_b32_e32 v126, s13
	s_or_b64 s[10:11], vcc, s[10:11]
	v_fmac_f32_e32 v125, v131, v130
	s_andn2_b64 exec, exec, s[10:11]
	s_cbranch_execnz .LBB29_281
; %bb.282:
	s_or_b64 exec, exec, s[10:11]
.LBB29_283:
	s_or_b64 exec, exec, s[2:3]
	v_and_b32_e32 v62, 7, v127
	v_cmp_ne_u32_e32 vcc, 0, v62
	s_and_saveexec_b64 s[8:9], vcc
	s_cbranch_execz .LBB29_287
; %bb.284:
	v_mov_b32_e32 v63, 0x80
	v_lshl_add_u32 v63, v126, 2, v63
	v_mov_b32_e32 v127, 0
	s_mov_b64 s[10:11], 0
.LBB29_285:                             ; =>This Inner Loop Header: Depth=1
	v_cmp_eq_u32_e32 vcc, 1, v126
	v_cndmask_b32_e32 v128, v32, v33, vcc
	v_add_u32_e32 v62, -1, v62
	v_cmp_eq_u32_e32 vcc, 2, v126
	v_cndmask_b32_e32 v128, v128, v34, vcc
	v_cmp_eq_u32_e32 vcc, 0, v62
	v_cmp_eq_u32_e64 s[2:3], 3, v126
	v_cndmask_b32_e64 v128, v128, v35, s[2:3]
	s_or_b64 s[10:11], vcc, s[10:11]
	v_cmp_eq_u32_e32 vcc, 4, v126
	v_cndmask_b32_e32 v128, v128, v36, vcc
	v_cmp_eq_u32_e32 vcc, 5, v126
	v_cndmask_b32_e32 v128, v128, v37, vcc
	;; [unrolled: 2-line block ×21, first 2 shown]
	v_cmp_eq_u32_e32 vcc, 25, v126
	ds_read_b32 v129, v63
	v_cndmask_b32_e32 v128, v128, v57, vcc
	v_cmp_eq_u32_e32 vcc, 26, v126
	v_cndmask_b32_e32 v128, v128, v58, vcc
	v_cmp_eq_u32_e32 vcc, 27, v126
	;; [unrolled: 2-line block ×4, first 2 shown]
	v_add_co_u32_e64 v126, s[2:3], 1, v126
	v_cndmask_b32_e32 v128, v128, v61, vcc
	v_add_u32_e32 v63, 4, v63
	v_addc_co_u32_e64 v127, s[2:3], 0, v127, s[2:3]
	s_waitcnt lgkmcnt(0)
	v_fmac_f32_e32 v125, v128, v129
	s_andn2_b64 exec, exec, s[10:11]
	s_cbranch_execnz .LBB29_285
; %bb.286:
	s_or_b64 exec, exec, s[10:11]
.LBB29_287:
	s_or_b64 exec, exec, s[8:9]
.LBB29_288:
	s_or_b64 exec, exec, s[6:7]
	v_mov_b32_e32 v42, 0
	ds_read_b32 v42, v42 offset:40
	s_waitcnt lgkmcnt(0)
	v_mul_f32_e32 v42, v125, v42
.LBB29_289:
	s_or_b64 exec, exec, s[4:5]
	v_cmp_lt_u32_e64 s[2:3], 9, v0
	ds_write_b32 v124, v41
	s_waitcnt lgkmcnt(0)
	; wave barrier
	s_and_saveexec_b64 s[4:5], s[2:3]
	s_cbranch_execz .LBB29_305
; %bb.290:
	s_andn2_b64 vcc, exec, s[62:63]
	s_cbranch_vccnz .LBB29_292
; %bb.291:
	v_cmp_eq_u32_e32 vcc, 1, v0
	v_cndmask_b32_e32 v125, v32, v33, vcc
	v_cmp_eq_u32_e32 vcc, 2, v0
	v_cndmask_b32_e32 v125, v125, v34, vcc
	v_cmp_eq_u32_e32 vcc, 3, v0
	v_cndmask_b32_e32 v125, v125, v35, vcc
	v_cmp_eq_u32_e32 vcc, 4, v0
	v_cndmask_b32_e32 v125, v125, v36, vcc
	v_cmp_eq_u32_e32 vcc, 5, v0
	v_cndmask_b32_e32 v125, v125, v37, vcc
	v_cmp_eq_u32_e32 vcc, 6, v0
	v_cndmask_b32_e32 v125, v125, v38, vcc
	v_cmp_eq_u32_e32 vcc, 7, v0
	v_cndmask_b32_e32 v125, v125, v39, vcc
	v_cmp_eq_u32_e32 vcc, 8, v0
	v_cndmask_b32_e32 v125, v125, v40, vcc
	v_cmp_eq_u32_e32 vcc, 9, v0
	v_cndmask_b32_e32 v125, v125, v41, vcc
	v_cmp_eq_u32_e32 vcc, 10, v0
	v_cndmask_b32_e32 v125, v125, v42, vcc
	v_cmp_eq_u32_e32 vcc, 11, v0
	v_cndmask_b32_e32 v125, v125, v43, vcc
	v_cmp_eq_u32_e32 vcc, 12, v0
	v_cndmask_b32_e32 v125, v125, v44, vcc
	v_cmp_eq_u32_e32 vcc, 13, v0
	v_cndmask_b32_e32 v125, v125, v45, vcc
	v_cmp_eq_u32_e32 vcc, 14, v0
	v_cndmask_b32_e32 v125, v125, v46, vcc
	v_cmp_eq_u32_e32 vcc, 15, v0
	v_cndmask_b32_e32 v125, v125, v47, vcc
	v_cmp_eq_u32_e32 vcc, 16, v0
	v_cndmask_b32_e32 v125, v125, v48, vcc
	v_cmp_eq_u32_e32 vcc, 17, v0
	v_cndmask_b32_e32 v125, v125, v49, vcc
	v_cmp_eq_u32_e32 vcc, 18, v0
	v_cndmask_b32_e32 v125, v125, v50, vcc
	v_cmp_eq_u32_e32 vcc, 19, v0
	v_cndmask_b32_e32 v125, v125, v51, vcc
	v_cmp_eq_u32_e32 vcc, 20, v0
	v_cndmask_b32_e32 v125, v125, v52, vcc
	v_cmp_eq_u32_e32 vcc, 21, v0
	v_cndmask_b32_e32 v125, v125, v53, vcc
	v_cmp_eq_u32_e32 vcc, 22, v0
	v_cndmask_b32_e32 v125, v125, v54, vcc
	v_cmp_eq_u32_e32 vcc, 23, v0
	v_cndmask_b32_e32 v125, v125, v55, vcc
	v_cmp_eq_u32_e32 vcc, 24, v0
	v_cndmask_b32_e32 v125, v125, v56, vcc
	v_cmp_eq_u32_e32 vcc, 25, v0
	v_cndmask_b32_e32 v125, v125, v57, vcc
	v_cmp_eq_u32_e32 vcc, 26, v0
	ds_read_b32 v126, v124
	v_cndmask_b32_e32 v125, v125, v58, vcc
	v_cmp_eq_u32_e32 vcc, 27, v0
	v_cndmask_b32_e32 v125, v125, v59, vcc
	v_cmp_eq_u32_e32 vcc, 28, v0
	;; [unrolled: 2-line block ×3, first 2 shown]
	v_cndmask_b32_e32 v125, v125, v61, vcc
	s_waitcnt lgkmcnt(0)
	v_mul_f32_e32 v125, v125, v126
	s_cbranch_execz .LBB29_293
	s_branch .LBB29_294
.LBB29_292:
                                        ; implicit-def: $vgpr125
.LBB29_293:
	ds_read_b32 v125, v124
.LBB29_294:
	s_and_saveexec_b64 s[6:7], s[0:1]
	s_cbranch_execz .LBB29_304
; %bb.295:
	v_add_u32_e32 v126, -11, v0
	v_add_u32_e32 v127, -10, v0
	v_cmp_lt_u32_e32 vcc, 6, v126
	v_mov_b32_e32 v126, 10
	s_and_saveexec_b64 s[0:1], vcc
	s_cbranch_execz .LBB29_299
; %bb.296:
	v_and_b32_e32 v126, -8, v127
	v_sub_u32_e32 v128, 0, v126
	s_mov_b64 s[8:9], 17
	s_movk_i32 s12, 0xa8
	s_mov_b64 s[10:11], 0
.LBB29_297:                             ; =>This Inner Loop Header: Depth=1
	s_add_i32 s13, s8, -7
	v_mov_b32_e32 v126, s12
	s_add_i32 s14, s8, -6
	s_set_gpr_idx_on s13, gpr_idx(SRC0)
	v_mov_b32_e32 v137, v32
	s_set_gpr_idx_off
	ds_read2_b64 v[129:132], v126 offset1:1
	s_add_i32 s15, s8, -5
	s_set_gpr_idx_on s14, gpr_idx(SRC0)
	v_mov_b32_e32 v138, v32
	s_set_gpr_idx_off
	s_add_i32 s16, s8, -4
	s_set_gpr_idx_on s15, gpr_idx(SRC0)
	v_mov_b32_e32 v139, v32
	s_set_gpr_idx_off
	;; [unrolled: 4-line block ×4, first 2 shown]
	ds_read2_b64 v[133:136], v126 offset0:2 offset1:3
	s_add_i32 s19, s8, -1
	s_waitcnt lgkmcnt(1)
	v_fmac_f32_e32 v125, v137, v129
	s_set_gpr_idx_on s18, gpr_idx(SRC0)
	v_mov_b32_e32 v129, v32
	s_set_gpr_idx_off
	v_fmac_f32_e32 v125, v138, v130
	s_set_gpr_idx_on s19, gpr_idx(SRC0)
	v_mov_b32_e32 v130, v32
	s_set_gpr_idx_off
	;; [unrolled: 4-line block ×3, first 2 shown]
	v_fmac_f32_e32 v125, v140, v132
	s_add_u32 s8, s8, 8
	s_waitcnt lgkmcnt(0)
	v_fmac_f32_e32 v125, v141, v133
	v_add_u32_e32 v126, s8, v128
	v_fmac_f32_e32 v125, v129, v134
	s_addc_u32 s9, s9, 0
	s_add_i32 s12, s12, 32
	s_add_i32 s13, s8, -7
	v_cmp_eq_u32_e32 vcc, 17, v126
	v_fmac_f32_e32 v125, v130, v135
	v_mov_b32_e32 v126, s13
	s_or_b64 s[10:11], vcc, s[10:11]
	v_fmac_f32_e32 v125, v131, v136
	s_andn2_b64 exec, exec, s[10:11]
	s_cbranch_execnz .LBB29_297
; %bb.298:
	s_or_b64 exec, exec, s[10:11]
.LBB29_299:
	s_or_b64 exec, exec, s[0:1]
	v_and_b32_e32 v62, 7, v127
	v_cmp_ne_u32_e32 vcc, 0, v62
	s_and_saveexec_b64 s[8:9], vcc
	s_cbranch_execz .LBB29_303
; %bb.300:
	v_mov_b32_e32 v63, 0x80
	v_lshl_add_u32 v63, v126, 2, v63
	v_mov_b32_e32 v127, 0
	s_mov_b64 s[10:11], 0
.LBB29_301:                             ; =>This Inner Loop Header: Depth=1
	v_cmp_eq_u32_e32 vcc, 1, v126
	v_cndmask_b32_e32 v128, v32, v33, vcc
	v_add_u32_e32 v62, -1, v62
	v_cmp_eq_u32_e32 vcc, 2, v126
	v_cndmask_b32_e32 v128, v128, v34, vcc
	v_cmp_eq_u32_e32 vcc, 0, v62
	v_cmp_eq_u32_e64 s[0:1], 3, v126
	v_cndmask_b32_e64 v128, v128, v35, s[0:1]
	s_or_b64 s[10:11], vcc, s[10:11]
	v_cmp_eq_u32_e32 vcc, 4, v126
	v_cndmask_b32_e32 v128, v128, v36, vcc
	v_cmp_eq_u32_e32 vcc, 5, v126
	v_cndmask_b32_e32 v128, v128, v37, vcc
	;; [unrolled: 2-line block ×21, first 2 shown]
	v_cmp_eq_u32_e32 vcc, 25, v126
	ds_read_b32 v129, v63
	v_cndmask_b32_e32 v128, v128, v57, vcc
	v_cmp_eq_u32_e32 vcc, 26, v126
	v_cndmask_b32_e32 v128, v128, v58, vcc
	v_cmp_eq_u32_e32 vcc, 27, v126
	;; [unrolled: 2-line block ×4, first 2 shown]
	v_add_co_u32_e64 v126, s[0:1], 1, v126
	v_cndmask_b32_e32 v128, v128, v61, vcc
	v_add_u32_e32 v63, 4, v63
	v_addc_co_u32_e64 v127, s[0:1], 0, v127, s[0:1]
	s_waitcnt lgkmcnt(0)
	v_fmac_f32_e32 v125, v128, v129
	s_andn2_b64 exec, exec, s[10:11]
	s_cbranch_execnz .LBB29_301
; %bb.302:
	s_or_b64 exec, exec, s[10:11]
.LBB29_303:
	s_or_b64 exec, exec, s[8:9]
.LBB29_304:
	s_or_b64 exec, exec, s[6:7]
	v_mov_b32_e32 v41, 0
	ds_read_b32 v41, v41 offset:36
	s_waitcnt lgkmcnt(0)
	v_mul_f32_e32 v41, v125, v41
.LBB29_305:
	s_or_b64 exec, exec, s[4:5]
	v_cmp_lt_u32_e64 s[0:1], 8, v0
	ds_write_b32 v124, v40
	s_waitcnt lgkmcnt(0)
	; wave barrier
	s_and_saveexec_b64 s[4:5], s[0:1]
	s_cbranch_execz .LBB29_321
; %bb.306:
	s_andn2_b64 vcc, exec, s[62:63]
	s_cbranch_vccnz .LBB29_308
; %bb.307:
	v_cmp_eq_u32_e32 vcc, 1, v0
	v_cndmask_b32_e32 v125, v32, v33, vcc
	v_cmp_eq_u32_e32 vcc, 2, v0
	v_cndmask_b32_e32 v125, v125, v34, vcc
	;; [unrolled: 2-line block ×25, first 2 shown]
	v_cmp_eq_u32_e32 vcc, 26, v0
	ds_read_b32 v126, v124
	v_cndmask_b32_e32 v125, v125, v58, vcc
	v_cmp_eq_u32_e32 vcc, 27, v0
	v_cndmask_b32_e32 v125, v125, v59, vcc
	v_cmp_eq_u32_e32 vcc, 28, v0
	;; [unrolled: 2-line block ×3, first 2 shown]
	v_cndmask_b32_e32 v125, v125, v61, vcc
	s_waitcnt lgkmcnt(0)
	v_mul_f32_e32 v125, v125, v126
	s_cbranch_execz .LBB29_309
	s_branch .LBB29_310
.LBB29_308:
                                        ; implicit-def: $vgpr125
.LBB29_309:
	ds_read_b32 v125, v124
.LBB29_310:
	s_and_saveexec_b64 s[6:7], s[2:3]
	s_cbranch_execz .LBB29_320
; %bb.311:
	v_add_u32_e32 v126, -10, v0
	v_add_u32_e32 v127, -9, v0
	v_cmp_lt_u32_e32 vcc, 6, v126
	v_mov_b32_e32 v126, 9
	s_and_saveexec_b64 s[2:3], vcc
	s_cbranch_execz .LBB29_315
; %bb.312:
	v_and_b32_e32 v126, -8, v127
	v_sub_u32_e32 v128, 0, v126
	s_mov_b64 s[8:9], 16
	s_movk_i32 s12, 0xa4
	s_mov_b64 s[10:11], 0
.LBB29_313:                             ; =>This Inner Loop Header: Depth=1
	s_add_i32 s13, s8, -7
	v_mov_b32_e32 v126, s12
	s_add_i32 s14, s8, -6
	s_set_gpr_idx_on s13, gpr_idx(SRC0)
	v_mov_b32_e32 v135, v32
	s_set_gpr_idx_off
	ds_read2_b32 v[129:130], v126 offset1:1
	s_add_i32 s15, s8, -5
	s_set_gpr_idx_on s14, gpr_idx(SRC0)
	v_mov_b32_e32 v136, v32
	s_set_gpr_idx_off
	s_add_i32 s16, s8, -4
	s_set_gpr_idx_on s15, gpr_idx(SRC0)
	v_mov_b32_e32 v137, v32
	s_set_gpr_idx_off
	ds_read2_b32 v[131:132], v126 offset0:2 offset1:3
	s_add_i32 s17, s8, -3
	s_set_gpr_idx_on s16, gpr_idx(SRC0)
	v_mov_b32_e32 v138, v32
	s_set_gpr_idx_off
	s_add_i32 s18, s8, -2
	s_set_gpr_idx_on s17, gpr_idx(SRC0)
	v_mov_b32_e32 v139, v32
	s_set_gpr_idx_off
	ds_read2_b32 v[133:134], v126 offset0:4 offset1:5
	s_add_i32 s19, s8, -1
	s_waitcnt lgkmcnt(2)
	v_fmac_f32_e32 v125, v135, v129
	s_set_gpr_idx_on s18, gpr_idx(SRC0)
	v_mov_b32_e32 v135, v32
	s_set_gpr_idx_off
	v_fmac_f32_e32 v125, v136, v130
	s_set_gpr_idx_on s19, gpr_idx(SRC0)
	v_mov_b32_e32 v136, v32
	s_set_gpr_idx_off
	ds_read2_b32 v[129:130], v126 offset0:6 offset1:7
	s_waitcnt lgkmcnt(2)
	v_fmac_f32_e32 v125, v137, v131
	s_set_gpr_idx_on s8, gpr_idx(SRC0)
	v_mov_b32_e32 v131, v32
	s_set_gpr_idx_off
	v_fmac_f32_e32 v125, v138, v132
	s_add_u32 s8, s8, 8
	s_waitcnt lgkmcnt(1)
	v_fmac_f32_e32 v125, v139, v133
	v_add_u32_e32 v126, s8, v128
	v_fmac_f32_e32 v125, v135, v134
	s_addc_u32 s9, s9, 0
	s_add_i32 s12, s12, 32
	s_add_i32 s13, s8, -7
	v_cmp_eq_u32_e32 vcc, 16, v126
	s_waitcnt lgkmcnt(0)
	v_fmac_f32_e32 v125, v136, v129
	v_mov_b32_e32 v126, s13
	s_or_b64 s[10:11], vcc, s[10:11]
	v_fmac_f32_e32 v125, v131, v130
	s_andn2_b64 exec, exec, s[10:11]
	s_cbranch_execnz .LBB29_313
; %bb.314:
	s_or_b64 exec, exec, s[10:11]
.LBB29_315:
	s_or_b64 exec, exec, s[2:3]
	v_and_b32_e32 v62, 7, v127
	v_cmp_ne_u32_e32 vcc, 0, v62
	s_and_saveexec_b64 s[8:9], vcc
	s_cbranch_execz .LBB29_319
; %bb.316:
	v_mov_b32_e32 v63, 0x80
	v_lshl_add_u32 v63, v126, 2, v63
	v_mov_b32_e32 v127, 0
	s_mov_b64 s[10:11], 0
.LBB29_317:                             ; =>This Inner Loop Header: Depth=1
	v_cmp_eq_u32_e32 vcc, 1, v126
	v_cndmask_b32_e32 v128, v32, v33, vcc
	v_add_u32_e32 v62, -1, v62
	v_cmp_eq_u32_e32 vcc, 2, v126
	v_cndmask_b32_e32 v128, v128, v34, vcc
	v_cmp_eq_u32_e32 vcc, 0, v62
	v_cmp_eq_u32_e64 s[2:3], 3, v126
	v_cndmask_b32_e64 v128, v128, v35, s[2:3]
	s_or_b64 s[10:11], vcc, s[10:11]
	v_cmp_eq_u32_e32 vcc, 4, v126
	v_cndmask_b32_e32 v128, v128, v36, vcc
	v_cmp_eq_u32_e32 vcc, 5, v126
	v_cndmask_b32_e32 v128, v128, v37, vcc
	;; [unrolled: 2-line block ×21, first 2 shown]
	v_cmp_eq_u32_e32 vcc, 25, v126
	ds_read_b32 v129, v63
	v_cndmask_b32_e32 v128, v128, v57, vcc
	v_cmp_eq_u32_e32 vcc, 26, v126
	v_cndmask_b32_e32 v128, v128, v58, vcc
	v_cmp_eq_u32_e32 vcc, 27, v126
	;; [unrolled: 2-line block ×4, first 2 shown]
	v_add_co_u32_e64 v126, s[2:3], 1, v126
	v_cndmask_b32_e32 v128, v128, v61, vcc
	v_add_u32_e32 v63, 4, v63
	v_addc_co_u32_e64 v127, s[2:3], 0, v127, s[2:3]
	s_waitcnt lgkmcnt(0)
	v_fmac_f32_e32 v125, v128, v129
	s_andn2_b64 exec, exec, s[10:11]
	s_cbranch_execnz .LBB29_317
; %bb.318:
	s_or_b64 exec, exec, s[10:11]
.LBB29_319:
	s_or_b64 exec, exec, s[8:9]
.LBB29_320:
	s_or_b64 exec, exec, s[6:7]
	v_mov_b32_e32 v40, 0
	ds_read_b32 v40, v40 offset:32
	s_waitcnt lgkmcnt(0)
	v_mul_f32_e32 v40, v125, v40
.LBB29_321:
	s_or_b64 exec, exec, s[4:5]
	v_cmp_lt_u32_e64 s[2:3], 7, v0
	ds_write_b32 v124, v39
	s_waitcnt lgkmcnt(0)
	; wave barrier
	s_and_saveexec_b64 s[4:5], s[2:3]
	s_cbranch_execz .LBB29_337
; %bb.322:
	s_andn2_b64 vcc, exec, s[62:63]
	s_cbranch_vccnz .LBB29_324
; %bb.323:
	v_cmp_eq_u32_e32 vcc, 1, v0
	v_cndmask_b32_e32 v125, v32, v33, vcc
	v_cmp_eq_u32_e32 vcc, 2, v0
	v_cndmask_b32_e32 v125, v125, v34, vcc
	;; [unrolled: 2-line block ×25, first 2 shown]
	v_cmp_eq_u32_e32 vcc, 26, v0
	ds_read_b32 v126, v124
	v_cndmask_b32_e32 v125, v125, v58, vcc
	v_cmp_eq_u32_e32 vcc, 27, v0
	v_cndmask_b32_e32 v125, v125, v59, vcc
	v_cmp_eq_u32_e32 vcc, 28, v0
	v_cndmask_b32_e32 v125, v125, v60, vcc
	v_cmp_eq_u32_e32 vcc, 29, v0
	v_cndmask_b32_e32 v125, v125, v61, vcc
	s_waitcnt lgkmcnt(0)
	v_mul_f32_e32 v125, v125, v126
	s_cbranch_execz .LBB29_325
	s_branch .LBB29_326
.LBB29_324:
                                        ; implicit-def: $vgpr125
.LBB29_325:
	ds_read_b32 v125, v124
.LBB29_326:
	s_and_saveexec_b64 s[6:7], s[0:1]
	s_cbranch_execz .LBB29_336
; %bb.327:
	v_add_u32_e32 v126, -9, v0
	v_cmp_lt_u32_e32 vcc, 6, v126
	v_mov_b32_e32 v126, 8
	s_and_saveexec_b64 s[0:1], vcc
	s_cbranch_execz .LBB29_331
; %bb.328:
	v_and_b32_e32 v126, 24, v0
	v_sub_u32_e32 v127, 0, v126
	s_mov_b64 s[8:9], 15
	s_movk_i32 s12, 0xa0
	s_mov_b64 s[10:11], 0
.LBB29_329:                             ; =>This Inner Loop Header: Depth=1
	s_add_i32 s13, s8, -7
	v_mov_b32_e32 v126, s12
	s_add_i32 s14, s8, -6
	s_set_gpr_idx_on s13, gpr_idx(SRC0)
	v_mov_b32_e32 v136, v32
	s_set_gpr_idx_off
	s_add_i32 s15, s8, -5
	ds_read_b128 v[128:131], v126
	ds_read_b128 v[132:135], v126 offset:16
	s_set_gpr_idx_on s14, gpr_idx(SRC0)
	v_mov_b32_e32 v126, v32
	s_set_gpr_idx_off
	s_add_i32 s16, s8, -4
	s_set_gpr_idx_on s15, gpr_idx(SRC0)
	v_mov_b32_e32 v137, v32
	s_set_gpr_idx_off
	s_add_i32 s17, s8, -3
	;; [unrolled: 4-line block ×4, first 2 shown]
	s_waitcnt lgkmcnt(1)
	v_fmac_f32_e32 v125, v136, v128
	s_set_gpr_idx_on s18, gpr_idx(SRC0)
	v_mov_b32_e32 v128, v32
	s_set_gpr_idx_off
	v_fmac_f32_e32 v125, v126, v129
	s_set_gpr_idx_on s19, gpr_idx(SRC0)
	v_mov_b32_e32 v129, v32
	s_set_gpr_idx_off
	;; [unrolled: 4-line block ×3, first 2 shown]
	v_fmac_f32_e32 v125, v138, v131
	s_add_u32 s8, s8, 8
	s_waitcnt lgkmcnt(0)
	v_fmac_f32_e32 v125, v139, v132
	v_add_u32_e32 v126, s8, v127
	v_fmac_f32_e32 v125, v128, v133
	s_addc_u32 s9, s9, 0
	s_add_i32 s12, s12, 32
	s_add_i32 s13, s8, -7
	v_cmp_eq_u32_e32 vcc, 7, v126
	v_fmac_f32_e32 v125, v129, v134
	v_mov_b32_e32 v126, s13
	s_or_b64 s[10:11], vcc, s[10:11]
	v_fmac_f32_e32 v125, v130, v135
	s_andn2_b64 exec, exec, s[10:11]
	s_cbranch_execnz .LBB29_329
; %bb.330:
	s_or_b64 exec, exec, s[10:11]
.LBB29_331:
	s_or_b64 exec, exec, s[0:1]
	v_and_b32_e32 v62, 7, v0
	v_cmp_ne_u32_e32 vcc, 0, v62
	s_and_saveexec_b64 s[8:9], vcc
	s_cbranch_execz .LBB29_335
; %bb.332:
	v_mov_b32_e32 v63, 0x80
	v_lshl_add_u32 v63, v126, 2, v63
	v_mov_b32_e32 v127, 0
	s_mov_b64 s[10:11], 0
.LBB29_333:                             ; =>This Inner Loop Header: Depth=1
	v_cmp_eq_u32_e32 vcc, 1, v126
	v_cndmask_b32_e32 v128, v32, v33, vcc
	v_add_u32_e32 v62, -1, v62
	v_cmp_eq_u32_e32 vcc, 2, v126
	v_cndmask_b32_e32 v128, v128, v34, vcc
	v_cmp_eq_u32_e32 vcc, 0, v62
	v_cmp_eq_u32_e64 s[0:1], 3, v126
	v_cndmask_b32_e64 v128, v128, v35, s[0:1]
	s_or_b64 s[10:11], vcc, s[10:11]
	v_cmp_eq_u32_e32 vcc, 4, v126
	v_cndmask_b32_e32 v128, v128, v36, vcc
	v_cmp_eq_u32_e32 vcc, 5, v126
	v_cndmask_b32_e32 v128, v128, v37, vcc
	;; [unrolled: 2-line block ×21, first 2 shown]
	v_cmp_eq_u32_e32 vcc, 25, v126
	ds_read_b32 v129, v63
	v_cndmask_b32_e32 v128, v128, v57, vcc
	v_cmp_eq_u32_e32 vcc, 26, v126
	v_cndmask_b32_e32 v128, v128, v58, vcc
	v_cmp_eq_u32_e32 vcc, 27, v126
	;; [unrolled: 2-line block ×4, first 2 shown]
	v_add_co_u32_e64 v126, s[0:1], 1, v126
	v_cndmask_b32_e32 v128, v128, v61, vcc
	v_add_u32_e32 v63, 4, v63
	v_addc_co_u32_e64 v127, s[0:1], 0, v127, s[0:1]
	s_waitcnt lgkmcnt(0)
	v_fmac_f32_e32 v125, v128, v129
	s_andn2_b64 exec, exec, s[10:11]
	s_cbranch_execnz .LBB29_333
; %bb.334:
	s_or_b64 exec, exec, s[10:11]
.LBB29_335:
	s_or_b64 exec, exec, s[8:9]
.LBB29_336:
	s_or_b64 exec, exec, s[6:7]
	v_mov_b32_e32 v39, 0
	ds_read_b32 v39, v39 offset:28
	s_waitcnt lgkmcnt(0)
	v_mul_f32_e32 v39, v125, v39
.LBB29_337:
	s_or_b64 exec, exec, s[4:5]
	v_cmp_lt_u32_e64 s[0:1], 6, v0
	ds_write_b32 v124, v38
	s_waitcnt lgkmcnt(0)
	; wave barrier
	s_and_saveexec_b64 s[4:5], s[0:1]
	s_cbranch_execz .LBB29_353
; %bb.338:
	s_andn2_b64 vcc, exec, s[62:63]
	s_cbranch_vccnz .LBB29_340
; %bb.339:
	v_cmp_eq_u32_e32 vcc, 1, v0
	v_cndmask_b32_e32 v125, v32, v33, vcc
	v_cmp_eq_u32_e32 vcc, 2, v0
	v_cndmask_b32_e32 v125, v125, v34, vcc
	;; [unrolled: 2-line block ×25, first 2 shown]
	v_cmp_eq_u32_e32 vcc, 26, v0
	ds_read_b32 v126, v124
	v_cndmask_b32_e32 v125, v125, v58, vcc
	v_cmp_eq_u32_e32 vcc, 27, v0
	v_cndmask_b32_e32 v125, v125, v59, vcc
	v_cmp_eq_u32_e32 vcc, 28, v0
	;; [unrolled: 2-line block ×3, first 2 shown]
	v_cndmask_b32_e32 v125, v125, v61, vcc
	s_waitcnt lgkmcnt(0)
	v_mul_f32_e32 v125, v125, v126
	s_cbranch_execz .LBB29_341
	s_branch .LBB29_342
.LBB29_340:
                                        ; implicit-def: $vgpr125
.LBB29_341:
	ds_read_b32 v125, v124
.LBB29_342:
	s_and_saveexec_b64 s[6:7], s[2:3]
	s_cbranch_execz .LBB29_352
; %bb.343:
	v_add_u32_e32 v126, -8, v0
	v_add_u32_e32 v127, -7, v0
	v_cmp_lt_u32_e32 vcc, 6, v126
	v_mov_b32_e32 v126, 7
	s_and_saveexec_b64 s[2:3], vcc
	s_cbranch_execz .LBB29_347
; %bb.344:
	v_and_b32_e32 v126, -8, v127
	v_sub_u32_e32 v128, 0, v126
	s_mov_b64 s[8:9], 14
	s_movk_i32 s12, 0x9c
	s_mov_b64 s[10:11], 0
.LBB29_345:                             ; =>This Inner Loop Header: Depth=1
	s_add_i32 s13, s8, -7
	v_mov_b32_e32 v126, s12
	s_add_i32 s14, s8, -6
	s_set_gpr_idx_on s13, gpr_idx(SRC0)
	v_mov_b32_e32 v135, v32
	s_set_gpr_idx_off
	ds_read2_b32 v[129:130], v126 offset1:1
	s_add_i32 s15, s8, -5
	s_set_gpr_idx_on s14, gpr_idx(SRC0)
	v_mov_b32_e32 v136, v32
	s_set_gpr_idx_off
	s_add_i32 s16, s8, -4
	s_set_gpr_idx_on s15, gpr_idx(SRC0)
	v_mov_b32_e32 v137, v32
	s_set_gpr_idx_off
	ds_read2_b32 v[131:132], v126 offset0:2 offset1:3
	s_add_i32 s17, s8, -3
	s_set_gpr_idx_on s16, gpr_idx(SRC0)
	v_mov_b32_e32 v138, v32
	s_set_gpr_idx_off
	s_add_i32 s18, s8, -2
	s_set_gpr_idx_on s17, gpr_idx(SRC0)
	v_mov_b32_e32 v139, v32
	s_set_gpr_idx_off
	ds_read2_b32 v[133:134], v126 offset0:4 offset1:5
	s_add_i32 s19, s8, -1
	s_waitcnt lgkmcnt(2)
	v_fmac_f32_e32 v125, v135, v129
	s_set_gpr_idx_on s18, gpr_idx(SRC0)
	v_mov_b32_e32 v135, v32
	s_set_gpr_idx_off
	v_fmac_f32_e32 v125, v136, v130
	s_set_gpr_idx_on s19, gpr_idx(SRC0)
	v_mov_b32_e32 v136, v32
	s_set_gpr_idx_off
	ds_read2_b32 v[129:130], v126 offset0:6 offset1:7
	s_waitcnt lgkmcnt(2)
	v_fmac_f32_e32 v125, v137, v131
	s_set_gpr_idx_on s8, gpr_idx(SRC0)
	v_mov_b32_e32 v131, v32
	s_set_gpr_idx_off
	v_fmac_f32_e32 v125, v138, v132
	s_add_u32 s8, s8, 8
	s_waitcnt lgkmcnt(1)
	v_fmac_f32_e32 v125, v139, v133
	v_add_u32_e32 v126, s8, v128
	v_fmac_f32_e32 v125, v135, v134
	s_addc_u32 s9, s9, 0
	s_add_i32 s12, s12, 32
	s_add_i32 s13, s8, -7
	v_cmp_eq_u32_e32 vcc, 14, v126
	s_waitcnt lgkmcnt(0)
	v_fmac_f32_e32 v125, v136, v129
	v_mov_b32_e32 v126, s13
	s_or_b64 s[10:11], vcc, s[10:11]
	v_fmac_f32_e32 v125, v131, v130
	s_andn2_b64 exec, exec, s[10:11]
	s_cbranch_execnz .LBB29_345
; %bb.346:
	s_or_b64 exec, exec, s[10:11]
.LBB29_347:
	s_or_b64 exec, exec, s[2:3]
	v_and_b32_e32 v62, 7, v127
	v_cmp_ne_u32_e32 vcc, 0, v62
	s_and_saveexec_b64 s[8:9], vcc
	s_cbranch_execz .LBB29_351
; %bb.348:
	v_mov_b32_e32 v63, 0x80
	v_lshl_add_u32 v63, v126, 2, v63
	v_mov_b32_e32 v127, 0
	s_mov_b64 s[10:11], 0
.LBB29_349:                             ; =>This Inner Loop Header: Depth=1
	v_cmp_eq_u32_e32 vcc, 1, v126
	v_cndmask_b32_e32 v128, v32, v33, vcc
	v_add_u32_e32 v62, -1, v62
	v_cmp_eq_u32_e32 vcc, 2, v126
	v_cndmask_b32_e32 v128, v128, v34, vcc
	v_cmp_eq_u32_e32 vcc, 0, v62
	v_cmp_eq_u32_e64 s[2:3], 3, v126
	v_cndmask_b32_e64 v128, v128, v35, s[2:3]
	s_or_b64 s[10:11], vcc, s[10:11]
	v_cmp_eq_u32_e32 vcc, 4, v126
	v_cndmask_b32_e32 v128, v128, v36, vcc
	v_cmp_eq_u32_e32 vcc, 5, v126
	v_cndmask_b32_e32 v128, v128, v37, vcc
	;; [unrolled: 2-line block ×21, first 2 shown]
	v_cmp_eq_u32_e32 vcc, 25, v126
	ds_read_b32 v129, v63
	v_cndmask_b32_e32 v128, v128, v57, vcc
	v_cmp_eq_u32_e32 vcc, 26, v126
	v_cndmask_b32_e32 v128, v128, v58, vcc
	v_cmp_eq_u32_e32 vcc, 27, v126
	v_cndmask_b32_e32 v128, v128, v59, vcc
	v_cmp_eq_u32_e32 vcc, 28, v126
	v_cndmask_b32_e32 v128, v128, v60, vcc
	v_cmp_eq_u32_e32 vcc, 29, v126
	v_add_co_u32_e64 v126, s[2:3], 1, v126
	v_cndmask_b32_e32 v128, v128, v61, vcc
	v_add_u32_e32 v63, 4, v63
	v_addc_co_u32_e64 v127, s[2:3], 0, v127, s[2:3]
	s_waitcnt lgkmcnt(0)
	v_fmac_f32_e32 v125, v128, v129
	s_andn2_b64 exec, exec, s[10:11]
	s_cbranch_execnz .LBB29_349
; %bb.350:
	s_or_b64 exec, exec, s[10:11]
.LBB29_351:
	s_or_b64 exec, exec, s[8:9]
.LBB29_352:
	s_or_b64 exec, exec, s[6:7]
	v_mov_b32_e32 v38, 0
	ds_read_b32 v38, v38 offset:24
	s_waitcnt lgkmcnt(0)
	v_mul_f32_e32 v38, v125, v38
.LBB29_353:
	s_or_b64 exec, exec, s[4:5]
	v_cmp_lt_u32_e64 s[2:3], 5, v0
	ds_write_b32 v124, v37
	s_waitcnt lgkmcnt(0)
	; wave barrier
	s_and_saveexec_b64 s[4:5], s[2:3]
	s_cbranch_execz .LBB29_369
; %bb.354:
	s_andn2_b64 vcc, exec, s[62:63]
	s_cbranch_vccnz .LBB29_356
; %bb.355:
	v_cmp_eq_u32_e32 vcc, 1, v0
	v_cndmask_b32_e32 v125, v32, v33, vcc
	v_cmp_eq_u32_e32 vcc, 2, v0
	v_cndmask_b32_e32 v125, v125, v34, vcc
	;; [unrolled: 2-line block ×25, first 2 shown]
	v_cmp_eq_u32_e32 vcc, 26, v0
	ds_read_b32 v126, v124
	v_cndmask_b32_e32 v125, v125, v58, vcc
	v_cmp_eq_u32_e32 vcc, 27, v0
	v_cndmask_b32_e32 v125, v125, v59, vcc
	v_cmp_eq_u32_e32 vcc, 28, v0
	;; [unrolled: 2-line block ×3, first 2 shown]
	v_cndmask_b32_e32 v125, v125, v61, vcc
	s_waitcnt lgkmcnt(0)
	v_mul_f32_e32 v125, v125, v126
	s_cbranch_execz .LBB29_357
	s_branch .LBB29_358
.LBB29_356:
                                        ; implicit-def: $vgpr125
.LBB29_357:
	ds_read_b32 v125, v124
.LBB29_358:
	s_and_saveexec_b64 s[6:7], s[0:1]
	s_cbranch_execz .LBB29_368
; %bb.359:
	v_add_u32_e32 v128, -7, v0
	v_add_u32_e32 v127, -6, v0
	v_mov_b32_e32 v126, 6
	v_cmp_lt_u32_e32 vcc, 6, v128
	s_and_saveexec_b64 s[0:1], vcc
	s_cbranch_execz .LBB29_363
; %bb.360:
	v_and_b32_e32 v126, -8, v127
	v_sub_u32_e32 v128, 0, v126
	s_mov_b64 s[8:9], 13
	s_movk_i32 s12, 0x98
	s_mov_b64 s[10:11], 0
.LBB29_361:                             ; =>This Inner Loop Header: Depth=1
	s_add_i32 s13, s8, -7
	v_mov_b32_e32 v126, s12
	s_add_i32 s14, s8, -6
	s_set_gpr_idx_on s13, gpr_idx(SRC0)
	v_mov_b32_e32 v137, v32
	s_set_gpr_idx_off
	ds_read2_b64 v[129:132], v126 offset1:1
	s_add_i32 s15, s8, -5
	s_set_gpr_idx_on s14, gpr_idx(SRC0)
	v_mov_b32_e32 v138, v32
	s_set_gpr_idx_off
	s_add_i32 s16, s8, -4
	s_set_gpr_idx_on s15, gpr_idx(SRC0)
	v_mov_b32_e32 v139, v32
	s_set_gpr_idx_off
	;; [unrolled: 4-line block ×4, first 2 shown]
	ds_read2_b64 v[133:136], v126 offset0:2 offset1:3
	s_add_i32 s19, s8, -1
	s_waitcnt lgkmcnt(1)
	v_fmac_f32_e32 v125, v137, v129
	s_set_gpr_idx_on s18, gpr_idx(SRC0)
	v_mov_b32_e32 v129, v32
	s_set_gpr_idx_off
	v_fmac_f32_e32 v125, v138, v130
	s_set_gpr_idx_on s19, gpr_idx(SRC0)
	v_mov_b32_e32 v130, v32
	s_set_gpr_idx_off
	;; [unrolled: 4-line block ×3, first 2 shown]
	v_fmac_f32_e32 v125, v140, v132
	s_add_u32 s8, s8, 8
	s_waitcnt lgkmcnt(0)
	v_fmac_f32_e32 v125, v141, v133
	v_add_u32_e32 v126, s8, v128
	v_fmac_f32_e32 v125, v129, v134
	s_addc_u32 s9, s9, 0
	s_add_i32 s12, s12, 32
	s_add_i32 s13, s8, -7
	v_cmp_eq_u32_e32 vcc, 13, v126
	v_fmac_f32_e32 v125, v130, v135
	v_mov_b32_e32 v126, s13
	s_or_b64 s[10:11], vcc, s[10:11]
	v_fmac_f32_e32 v125, v131, v136
	s_andn2_b64 exec, exec, s[10:11]
	s_cbranch_execnz .LBB29_361
; %bb.362:
	s_or_b64 exec, exec, s[10:11]
.LBB29_363:
	s_or_b64 exec, exec, s[0:1]
	v_and_b32_e32 v62, 7, v127
	v_cmp_ne_u32_e32 vcc, 0, v62
	s_and_saveexec_b64 s[8:9], vcc
	s_cbranch_execz .LBB29_367
; %bb.364:
	v_mov_b32_e32 v63, 0x80
	v_lshl_add_u32 v63, v126, 2, v63
	v_mov_b32_e32 v127, 0
	s_mov_b64 s[10:11], 0
.LBB29_365:                             ; =>This Inner Loop Header: Depth=1
	v_cmp_eq_u32_e32 vcc, 1, v126
	v_cndmask_b32_e32 v128, v32, v33, vcc
	v_add_u32_e32 v62, -1, v62
	v_cmp_eq_u32_e32 vcc, 2, v126
	v_cndmask_b32_e32 v128, v128, v34, vcc
	v_cmp_eq_u32_e32 vcc, 0, v62
	v_cmp_eq_u32_e64 s[0:1], 3, v126
	v_cndmask_b32_e64 v128, v128, v35, s[0:1]
	s_or_b64 s[10:11], vcc, s[10:11]
	v_cmp_eq_u32_e32 vcc, 4, v126
	v_cndmask_b32_e32 v128, v128, v36, vcc
	v_cmp_eq_u32_e32 vcc, 5, v126
	v_cndmask_b32_e32 v128, v128, v37, vcc
	;; [unrolled: 2-line block ×21, first 2 shown]
	v_cmp_eq_u32_e32 vcc, 25, v126
	ds_read_b32 v129, v63
	v_cndmask_b32_e32 v128, v128, v57, vcc
	v_cmp_eq_u32_e32 vcc, 26, v126
	v_cndmask_b32_e32 v128, v128, v58, vcc
	v_cmp_eq_u32_e32 vcc, 27, v126
	;; [unrolled: 2-line block ×4, first 2 shown]
	v_add_co_u32_e64 v126, s[0:1], 1, v126
	v_cndmask_b32_e32 v128, v128, v61, vcc
	v_add_u32_e32 v63, 4, v63
	v_addc_co_u32_e64 v127, s[0:1], 0, v127, s[0:1]
	s_waitcnt lgkmcnt(0)
	v_fmac_f32_e32 v125, v128, v129
	s_andn2_b64 exec, exec, s[10:11]
	s_cbranch_execnz .LBB29_365
; %bb.366:
	s_or_b64 exec, exec, s[10:11]
.LBB29_367:
	s_or_b64 exec, exec, s[8:9]
.LBB29_368:
	s_or_b64 exec, exec, s[6:7]
	v_mov_b32_e32 v37, 0
	ds_read_b32 v37, v37 offset:20
	s_waitcnt lgkmcnt(0)
	v_mul_f32_e32 v37, v125, v37
.LBB29_369:
	s_or_b64 exec, exec, s[4:5]
	v_cmp_lt_u32_e64 s[0:1], 4, v0
	ds_write_b32 v124, v36
	s_waitcnt lgkmcnt(0)
	; wave barrier
	s_and_saveexec_b64 s[4:5], s[0:1]
	s_cbranch_execz .LBB29_385
; %bb.370:
	s_andn2_b64 vcc, exec, s[62:63]
	s_cbranch_vccnz .LBB29_372
; %bb.371:
	v_cmp_eq_u32_e32 vcc, 1, v0
	v_cndmask_b32_e32 v125, v32, v33, vcc
	v_cmp_eq_u32_e32 vcc, 2, v0
	v_cndmask_b32_e32 v125, v125, v34, vcc
	;; [unrolled: 2-line block ×25, first 2 shown]
	v_cmp_eq_u32_e32 vcc, 26, v0
	ds_read_b32 v126, v124
	v_cndmask_b32_e32 v125, v125, v58, vcc
	v_cmp_eq_u32_e32 vcc, 27, v0
	v_cndmask_b32_e32 v125, v125, v59, vcc
	v_cmp_eq_u32_e32 vcc, 28, v0
	;; [unrolled: 2-line block ×3, first 2 shown]
	v_cndmask_b32_e32 v125, v125, v61, vcc
	s_waitcnt lgkmcnt(0)
	v_mul_f32_e32 v125, v125, v126
	s_cbranch_execz .LBB29_373
	s_branch .LBB29_374
.LBB29_372:
                                        ; implicit-def: $vgpr125
.LBB29_373:
	ds_read_b32 v125, v124
.LBB29_374:
	s_and_saveexec_b64 s[6:7], s[2:3]
	s_cbranch_execz .LBB29_384
; %bb.375:
	v_add_u32_e32 v126, -6, v0
	v_add_u32_e32 v127, -5, v0
	v_cmp_lt_u32_e32 vcc, 6, v126
	v_mov_b32_e32 v126, 5
	s_and_saveexec_b64 s[2:3], vcc
	s_cbranch_execz .LBB29_379
; %bb.376:
	v_and_b32_e32 v126, -8, v127
	v_sub_u32_e32 v128, 0, v126
	s_mov_b64 s[8:9], 12
	s_movk_i32 s12, 0x94
	s_mov_b64 s[10:11], 0
.LBB29_377:                             ; =>This Inner Loop Header: Depth=1
	s_add_i32 s13, s8, -7
	v_mov_b32_e32 v126, s12
	s_add_i32 s14, s8, -6
	s_set_gpr_idx_on s13, gpr_idx(SRC0)
	v_mov_b32_e32 v135, v32
	s_set_gpr_idx_off
	ds_read2_b32 v[129:130], v126 offset1:1
	s_add_i32 s15, s8, -5
	s_set_gpr_idx_on s14, gpr_idx(SRC0)
	v_mov_b32_e32 v136, v32
	s_set_gpr_idx_off
	s_add_i32 s16, s8, -4
	s_set_gpr_idx_on s15, gpr_idx(SRC0)
	v_mov_b32_e32 v137, v32
	s_set_gpr_idx_off
	ds_read2_b32 v[131:132], v126 offset0:2 offset1:3
	s_add_i32 s17, s8, -3
	s_set_gpr_idx_on s16, gpr_idx(SRC0)
	v_mov_b32_e32 v138, v32
	s_set_gpr_idx_off
	s_add_i32 s18, s8, -2
	s_set_gpr_idx_on s17, gpr_idx(SRC0)
	v_mov_b32_e32 v139, v32
	s_set_gpr_idx_off
	ds_read2_b32 v[133:134], v126 offset0:4 offset1:5
	s_add_i32 s19, s8, -1
	s_waitcnt lgkmcnt(2)
	v_fmac_f32_e32 v125, v135, v129
	s_set_gpr_idx_on s18, gpr_idx(SRC0)
	v_mov_b32_e32 v135, v32
	s_set_gpr_idx_off
	v_fmac_f32_e32 v125, v136, v130
	s_set_gpr_idx_on s19, gpr_idx(SRC0)
	v_mov_b32_e32 v136, v32
	s_set_gpr_idx_off
	ds_read2_b32 v[129:130], v126 offset0:6 offset1:7
	s_waitcnt lgkmcnt(2)
	v_fmac_f32_e32 v125, v137, v131
	s_set_gpr_idx_on s8, gpr_idx(SRC0)
	v_mov_b32_e32 v131, v32
	s_set_gpr_idx_off
	v_fmac_f32_e32 v125, v138, v132
	s_add_u32 s8, s8, 8
	s_waitcnt lgkmcnt(1)
	v_fmac_f32_e32 v125, v139, v133
	v_add_u32_e32 v126, s8, v128
	v_fmac_f32_e32 v125, v135, v134
	s_addc_u32 s9, s9, 0
	s_add_i32 s12, s12, 32
	s_add_i32 s13, s8, -7
	v_cmp_eq_u32_e32 vcc, 12, v126
	s_waitcnt lgkmcnt(0)
	v_fmac_f32_e32 v125, v136, v129
	v_mov_b32_e32 v126, s13
	s_or_b64 s[10:11], vcc, s[10:11]
	v_fmac_f32_e32 v125, v131, v130
	s_andn2_b64 exec, exec, s[10:11]
	s_cbranch_execnz .LBB29_377
; %bb.378:
	s_or_b64 exec, exec, s[10:11]
.LBB29_379:
	s_or_b64 exec, exec, s[2:3]
	v_and_b32_e32 v62, 7, v127
	v_cmp_ne_u32_e32 vcc, 0, v62
	s_and_saveexec_b64 s[8:9], vcc
	s_cbranch_execz .LBB29_383
; %bb.380:
	v_mov_b32_e32 v63, 0x80
	v_lshl_add_u32 v63, v126, 2, v63
	v_mov_b32_e32 v127, 0
	s_mov_b64 s[10:11], 0
.LBB29_381:                             ; =>This Inner Loop Header: Depth=1
	v_cmp_eq_u32_e32 vcc, 1, v126
	v_cndmask_b32_e32 v128, v32, v33, vcc
	v_add_u32_e32 v62, -1, v62
	v_cmp_eq_u32_e32 vcc, 2, v126
	v_cndmask_b32_e32 v128, v128, v34, vcc
	v_cmp_eq_u32_e32 vcc, 0, v62
	v_cmp_eq_u32_e64 s[2:3], 3, v126
	v_cndmask_b32_e64 v128, v128, v35, s[2:3]
	s_or_b64 s[10:11], vcc, s[10:11]
	v_cmp_eq_u32_e32 vcc, 4, v126
	v_cndmask_b32_e32 v128, v128, v36, vcc
	v_cmp_eq_u32_e32 vcc, 5, v126
	v_cndmask_b32_e32 v128, v128, v37, vcc
	;; [unrolled: 2-line block ×21, first 2 shown]
	v_cmp_eq_u32_e32 vcc, 25, v126
	ds_read_b32 v129, v63
	v_cndmask_b32_e32 v128, v128, v57, vcc
	v_cmp_eq_u32_e32 vcc, 26, v126
	v_cndmask_b32_e32 v128, v128, v58, vcc
	v_cmp_eq_u32_e32 vcc, 27, v126
	;; [unrolled: 2-line block ×4, first 2 shown]
	v_add_co_u32_e64 v126, s[2:3], 1, v126
	v_cndmask_b32_e32 v128, v128, v61, vcc
	v_add_u32_e32 v63, 4, v63
	v_addc_co_u32_e64 v127, s[2:3], 0, v127, s[2:3]
	s_waitcnt lgkmcnt(0)
	v_fmac_f32_e32 v125, v128, v129
	s_andn2_b64 exec, exec, s[10:11]
	s_cbranch_execnz .LBB29_381
; %bb.382:
	s_or_b64 exec, exec, s[10:11]
.LBB29_383:
	s_or_b64 exec, exec, s[8:9]
.LBB29_384:
	s_or_b64 exec, exec, s[6:7]
	v_mov_b32_e32 v36, 0
	ds_read_b32 v36, v36 offset:16
	s_waitcnt lgkmcnt(0)
	v_mul_f32_e32 v36, v125, v36
.LBB29_385:
	s_or_b64 exec, exec, s[4:5]
	v_cmp_lt_u32_e64 s[2:3], 3, v0
	ds_write_b32 v124, v35
	s_waitcnt lgkmcnt(0)
	; wave barrier
	s_and_saveexec_b64 s[4:5], s[2:3]
	s_cbranch_execz .LBB29_401
; %bb.386:
	s_andn2_b64 vcc, exec, s[62:63]
	s_cbranch_vccnz .LBB29_388
; %bb.387:
	v_cmp_eq_u32_e32 vcc, 1, v0
	v_cndmask_b32_e32 v125, v32, v33, vcc
	v_cmp_eq_u32_e32 vcc, 2, v0
	v_cndmask_b32_e32 v125, v125, v34, vcc
	;; [unrolled: 2-line block ×25, first 2 shown]
	v_cmp_eq_u32_e32 vcc, 26, v0
	ds_read_b32 v126, v124
	v_cndmask_b32_e32 v125, v125, v58, vcc
	v_cmp_eq_u32_e32 vcc, 27, v0
	v_cndmask_b32_e32 v125, v125, v59, vcc
	v_cmp_eq_u32_e32 vcc, 28, v0
	;; [unrolled: 2-line block ×3, first 2 shown]
	v_cndmask_b32_e32 v125, v125, v61, vcc
	s_waitcnt lgkmcnt(0)
	v_mul_f32_e32 v125, v125, v126
	s_cbranch_execz .LBB29_389
	s_branch .LBB29_390
.LBB29_388:
                                        ; implicit-def: $vgpr125
.LBB29_389:
	ds_read_b32 v125, v124
.LBB29_390:
	s_and_saveexec_b64 s[6:7], s[0:1]
	s_cbranch_execz .LBB29_400
; %bb.391:
	v_add_u32_e32 v126, -5, v0
	v_add_u32_e32 v127, -4, v0
	v_cmp_lt_u32_e32 vcc, 6, v126
	v_mov_b32_e32 v126, 4
	s_and_saveexec_b64 s[0:1], vcc
	s_cbranch_execz .LBB29_395
; %bb.392:
	v_and_b32_e32 v126, -8, v127
	v_sub_u32_e32 v128, 0, v126
	s_mov_b64 s[8:9], 5
	s_movk_i32 s12, 0x90
	s_mov_b64 s[10:11], 0
.LBB29_393:                             ; =>This Inner Loop Header: Depth=1
	s_add_i32 s13, s8, -1
	v_mov_b32_e32 v126, s12
	s_set_gpr_idx_on s13, gpr_idx(SRC0)
	v_mov_b32_e32 v137, v32
	s_set_gpr_idx_off
	s_add_i32 s14, s8, 1
	ds_read_b128 v[129:132], v126
	ds_read_b128 v[133:136], v126 offset:16
	s_set_gpr_idx_on s8, gpr_idx(SRC0)
	v_mov_b32_e32 v138, v32
	s_set_gpr_idx_off
	s_add_i32 s15, s8, 2
	s_set_gpr_idx_on s14, gpr_idx(SRC0)
	v_mov_b32_e32 v139, v32
	s_set_gpr_idx_off
	s_add_i32 s16, s8, 3
	;; [unrolled: 4-line block ×4, first 2 shown]
	s_waitcnt lgkmcnt(1)
	v_fmac_f32_e32 v125, v137, v129
	s_set_gpr_idx_on s17, gpr_idx(SRC0)
	v_mov_b32_e32 v129, v32
	s_set_gpr_idx_off
	s_add_i32 s19, s8, 6
	v_fmac_f32_e32 v125, v138, v130
	s_set_gpr_idx_on s18, gpr_idx(SRC0)
	v_mov_b32_e32 v130, v32
	s_set_gpr_idx_off
	v_fmac_f32_e32 v125, v139, v131
	s_set_gpr_idx_on s19, gpr_idx(SRC0)
	v_mov_b32_e32 v131, v32
	s_set_gpr_idx_off
	v_fmac_f32_e32 v125, v140, v132
	s_add_u32 s8, s8, 8
	s_waitcnt lgkmcnt(0)
	v_fmac_f32_e32 v125, v141, v133
	v_add_u32_e32 v126, s8, v128
	v_fmac_f32_e32 v125, v129, v134
	s_addc_u32 s9, s9, 0
	s_add_i32 s12, s12, 32
	s_add_i32 s13, s8, -1
	v_cmp_eq_u32_e32 vcc, 5, v126
	v_fmac_f32_e32 v125, v130, v135
	v_mov_b32_e32 v126, s13
	s_or_b64 s[10:11], vcc, s[10:11]
	v_fmac_f32_e32 v125, v131, v136
	s_andn2_b64 exec, exec, s[10:11]
	s_cbranch_execnz .LBB29_393
; %bb.394:
	s_or_b64 exec, exec, s[10:11]
.LBB29_395:
	s_or_b64 exec, exec, s[0:1]
	v_and_b32_e32 v62, 7, v127
	v_cmp_ne_u32_e32 vcc, 0, v62
	s_and_saveexec_b64 s[8:9], vcc
	s_cbranch_execz .LBB29_399
; %bb.396:
	v_mov_b32_e32 v63, 0x80
	v_lshl_add_u32 v63, v126, 2, v63
	v_mov_b32_e32 v127, 0
	s_mov_b64 s[10:11], 0
.LBB29_397:                             ; =>This Inner Loop Header: Depth=1
	v_cmp_eq_u32_e32 vcc, 1, v126
	v_cndmask_b32_e32 v128, v32, v33, vcc
	v_add_u32_e32 v62, -1, v62
	v_cmp_eq_u32_e32 vcc, 2, v126
	v_cndmask_b32_e32 v128, v128, v34, vcc
	v_cmp_eq_u32_e32 vcc, 0, v62
	v_cmp_eq_u32_e64 s[0:1], 3, v126
	v_cndmask_b32_e64 v128, v128, v35, s[0:1]
	s_or_b64 s[10:11], vcc, s[10:11]
	v_cmp_eq_u32_e32 vcc, 4, v126
	v_cndmask_b32_e32 v128, v128, v36, vcc
	v_cmp_eq_u32_e32 vcc, 5, v126
	v_cndmask_b32_e32 v128, v128, v37, vcc
	;; [unrolled: 2-line block ×21, first 2 shown]
	v_cmp_eq_u32_e32 vcc, 25, v126
	ds_read_b32 v129, v63
	v_cndmask_b32_e32 v128, v128, v57, vcc
	v_cmp_eq_u32_e32 vcc, 26, v126
	v_cndmask_b32_e32 v128, v128, v58, vcc
	v_cmp_eq_u32_e32 vcc, 27, v126
	;; [unrolled: 2-line block ×4, first 2 shown]
	v_add_co_u32_e64 v126, s[0:1], 1, v126
	v_cndmask_b32_e32 v128, v128, v61, vcc
	v_add_u32_e32 v63, 4, v63
	v_addc_co_u32_e64 v127, s[0:1], 0, v127, s[0:1]
	s_waitcnt lgkmcnt(0)
	v_fmac_f32_e32 v125, v128, v129
	s_andn2_b64 exec, exec, s[10:11]
	s_cbranch_execnz .LBB29_397
; %bb.398:
	s_or_b64 exec, exec, s[10:11]
.LBB29_399:
	s_or_b64 exec, exec, s[8:9]
.LBB29_400:
	s_or_b64 exec, exec, s[6:7]
	v_mov_b32_e32 v35, 0
	ds_read_b32 v35, v35 offset:12
	s_waitcnt lgkmcnt(0)
	v_mul_f32_e32 v35, v125, v35
.LBB29_401:
	s_or_b64 exec, exec, s[4:5]
	v_cmp_lt_u32_e64 s[0:1], 2, v0
	ds_write_b32 v124, v34
	s_waitcnt lgkmcnt(0)
	; wave barrier
	s_and_saveexec_b64 s[4:5], s[0:1]
	s_cbranch_execz .LBB29_417
; %bb.402:
	s_andn2_b64 vcc, exec, s[62:63]
	s_cbranch_vccnz .LBB29_404
; %bb.403:
	v_cmp_eq_u32_e32 vcc, 1, v0
	v_cndmask_b32_e32 v125, v32, v33, vcc
	v_cmp_eq_u32_e32 vcc, 2, v0
	v_cndmask_b32_e32 v125, v125, v34, vcc
	;; [unrolled: 2-line block ×25, first 2 shown]
	v_cmp_eq_u32_e32 vcc, 26, v0
	ds_read_b32 v126, v124
	v_cndmask_b32_e32 v125, v125, v58, vcc
	v_cmp_eq_u32_e32 vcc, 27, v0
	v_cndmask_b32_e32 v125, v125, v59, vcc
	v_cmp_eq_u32_e32 vcc, 28, v0
	;; [unrolled: 2-line block ×3, first 2 shown]
	v_cndmask_b32_e32 v125, v125, v61, vcc
	s_waitcnt lgkmcnt(0)
	v_mul_f32_e32 v125, v125, v126
	s_cbranch_execz .LBB29_405
	s_branch .LBB29_406
.LBB29_404:
                                        ; implicit-def: $vgpr125
.LBB29_405:
	ds_read_b32 v125, v124
.LBB29_406:
	s_and_saveexec_b64 s[6:7], s[2:3]
	s_cbranch_execz .LBB29_416
; %bb.407:
	v_add_u32_e32 v126, -4, v0
	v_add_u32_e32 v127, -3, v0
	v_cmp_lt_u32_e32 vcc, 6, v126
	v_mov_b32_e32 v126, 3
	s_and_saveexec_b64 s[2:3], vcc
	s_cbranch_execz .LBB29_411
; %bb.408:
	v_and_b32_e32 v126, -8, v127
	v_sub_u32_e32 v128, 0, v126
	s_mov_b64 s[8:9], 10
	s_movk_i32 s12, 0x8c
	s_mov_b64 s[10:11], 0
.LBB29_409:                             ; =>This Inner Loop Header: Depth=1
	s_add_i32 s13, s8, -7
	v_mov_b32_e32 v126, s12
	s_add_i32 s14, s8, -6
	s_set_gpr_idx_on s13, gpr_idx(SRC0)
	v_mov_b32_e32 v135, v32
	s_set_gpr_idx_off
	ds_read2_b32 v[129:130], v126 offset1:1
	s_add_i32 s15, s8, -5
	s_set_gpr_idx_on s14, gpr_idx(SRC0)
	v_mov_b32_e32 v136, v32
	s_set_gpr_idx_off
	s_add_i32 s16, s8, -4
	s_set_gpr_idx_on s15, gpr_idx(SRC0)
	v_mov_b32_e32 v137, v32
	s_set_gpr_idx_off
	ds_read2_b32 v[131:132], v126 offset0:2 offset1:3
	s_add_i32 s17, s8, -3
	s_set_gpr_idx_on s16, gpr_idx(SRC0)
	v_mov_b32_e32 v138, v32
	s_set_gpr_idx_off
	s_add_i32 s18, s8, -2
	s_set_gpr_idx_on s17, gpr_idx(SRC0)
	v_mov_b32_e32 v139, v32
	s_set_gpr_idx_off
	ds_read2_b32 v[133:134], v126 offset0:4 offset1:5
	s_add_i32 s19, s8, -1
	s_waitcnt lgkmcnt(2)
	v_fmac_f32_e32 v125, v135, v129
	s_set_gpr_idx_on s18, gpr_idx(SRC0)
	v_mov_b32_e32 v135, v32
	s_set_gpr_idx_off
	v_fmac_f32_e32 v125, v136, v130
	s_set_gpr_idx_on s19, gpr_idx(SRC0)
	v_mov_b32_e32 v136, v32
	s_set_gpr_idx_off
	ds_read2_b32 v[129:130], v126 offset0:6 offset1:7
	s_waitcnt lgkmcnt(2)
	v_fmac_f32_e32 v125, v137, v131
	s_set_gpr_idx_on s8, gpr_idx(SRC0)
	v_mov_b32_e32 v131, v32
	s_set_gpr_idx_off
	v_fmac_f32_e32 v125, v138, v132
	s_add_u32 s8, s8, 8
	s_waitcnt lgkmcnt(1)
	v_fmac_f32_e32 v125, v139, v133
	v_add_u32_e32 v126, s8, v128
	v_fmac_f32_e32 v125, v135, v134
	s_addc_u32 s9, s9, 0
	s_add_i32 s12, s12, 32
	s_add_i32 s13, s8, -7
	v_cmp_eq_u32_e32 vcc, 10, v126
	s_waitcnt lgkmcnt(0)
	v_fmac_f32_e32 v125, v136, v129
	v_mov_b32_e32 v126, s13
	s_or_b64 s[10:11], vcc, s[10:11]
	v_fmac_f32_e32 v125, v131, v130
	s_andn2_b64 exec, exec, s[10:11]
	s_cbranch_execnz .LBB29_409
; %bb.410:
	s_or_b64 exec, exec, s[10:11]
.LBB29_411:
	s_or_b64 exec, exec, s[2:3]
	v_and_b32_e32 v62, 7, v127
	v_cmp_ne_u32_e32 vcc, 0, v62
	s_and_saveexec_b64 s[8:9], vcc
	s_cbranch_execz .LBB29_415
; %bb.412:
	v_mov_b32_e32 v63, 0x80
	v_lshl_add_u32 v63, v126, 2, v63
	v_mov_b32_e32 v127, 0
	s_mov_b64 s[10:11], 0
.LBB29_413:                             ; =>This Inner Loop Header: Depth=1
	v_cmp_eq_u32_e32 vcc, 1, v126
	v_cndmask_b32_e32 v128, v32, v33, vcc
	v_add_u32_e32 v62, -1, v62
	v_cmp_eq_u32_e32 vcc, 2, v126
	v_cndmask_b32_e32 v128, v128, v34, vcc
	v_cmp_eq_u32_e32 vcc, 0, v62
	v_cmp_eq_u32_e64 s[2:3], 3, v126
	v_cndmask_b32_e64 v128, v128, v35, s[2:3]
	s_or_b64 s[10:11], vcc, s[10:11]
	v_cmp_eq_u32_e32 vcc, 4, v126
	v_cndmask_b32_e32 v128, v128, v36, vcc
	v_cmp_eq_u32_e32 vcc, 5, v126
	v_cndmask_b32_e32 v128, v128, v37, vcc
	;; [unrolled: 2-line block ×21, first 2 shown]
	v_cmp_eq_u32_e32 vcc, 25, v126
	ds_read_b32 v129, v63
	v_cndmask_b32_e32 v128, v128, v57, vcc
	v_cmp_eq_u32_e32 vcc, 26, v126
	v_cndmask_b32_e32 v128, v128, v58, vcc
	v_cmp_eq_u32_e32 vcc, 27, v126
	;; [unrolled: 2-line block ×4, first 2 shown]
	v_add_co_u32_e64 v126, s[2:3], 1, v126
	v_cndmask_b32_e32 v128, v128, v61, vcc
	v_add_u32_e32 v63, 4, v63
	v_addc_co_u32_e64 v127, s[2:3], 0, v127, s[2:3]
	s_waitcnt lgkmcnt(0)
	v_fmac_f32_e32 v125, v128, v129
	s_andn2_b64 exec, exec, s[10:11]
	s_cbranch_execnz .LBB29_413
; %bb.414:
	s_or_b64 exec, exec, s[10:11]
.LBB29_415:
	s_or_b64 exec, exec, s[8:9]
.LBB29_416:
	s_or_b64 exec, exec, s[6:7]
	v_mov_b32_e32 v34, 0
	ds_read_b32 v34, v34 offset:8
	s_waitcnt lgkmcnt(0)
	v_mul_f32_e32 v34, v125, v34
.LBB29_417:
	s_or_b64 exec, exec, s[4:5]
	v_cmp_lt_u32_e64 s[2:3], 1, v0
	ds_write_b32 v124, v33
	s_waitcnt lgkmcnt(0)
	; wave barrier
	s_and_saveexec_b64 s[4:5], s[2:3]
	s_cbranch_execz .LBB29_433
; %bb.418:
	s_andn2_b64 vcc, exec, s[62:63]
	s_cbranch_vccnz .LBB29_420
; %bb.419:
	v_cmp_eq_u32_e32 vcc, 1, v0
	v_cndmask_b32_e32 v125, v32, v33, vcc
	v_cmp_eq_u32_e32 vcc, 2, v0
	v_cndmask_b32_e32 v125, v125, v34, vcc
	;; [unrolled: 2-line block ×25, first 2 shown]
	v_cmp_eq_u32_e32 vcc, 26, v0
	ds_read_b32 v126, v124
	v_cndmask_b32_e32 v125, v125, v58, vcc
	v_cmp_eq_u32_e32 vcc, 27, v0
	v_cndmask_b32_e32 v125, v125, v59, vcc
	v_cmp_eq_u32_e32 vcc, 28, v0
	;; [unrolled: 2-line block ×3, first 2 shown]
	v_cndmask_b32_e32 v125, v125, v61, vcc
	s_waitcnt lgkmcnt(0)
	v_mul_f32_e32 v125, v125, v126
	s_cbranch_execz .LBB29_421
	s_branch .LBB29_422
.LBB29_420:
                                        ; implicit-def: $vgpr125
.LBB29_421:
	ds_read_b32 v125, v124
.LBB29_422:
	s_and_saveexec_b64 s[6:7], s[0:1]
	s_cbranch_execz .LBB29_432
; %bb.423:
	v_add_u32_e32 v126, -3, v0
	v_add_u32_e32 v127, -2, v0
	v_cmp_lt_u32_e32 vcc, 6, v126
	v_mov_b32_e32 v126, 2
	s_and_saveexec_b64 s[0:1], vcc
	s_cbranch_execz .LBB29_427
; %bb.424:
	v_and_b32_e32 v126, -8, v127
	v_sub_u32_e32 v128, 0, v126
	s_mov_b64 s[8:9], 9
	s_movk_i32 s12, 0x88
	s_mov_b64 s[10:11], 0
.LBB29_425:                             ; =>This Inner Loop Header: Depth=1
	s_add_i32 s13, s8, -7
	v_mov_b32_e32 v126, s12
	s_add_i32 s14, s8, -6
	s_set_gpr_idx_on s13, gpr_idx(SRC0)
	v_mov_b32_e32 v137, v32
	s_set_gpr_idx_off
	ds_read2_b64 v[129:132], v126 offset1:1
	s_add_i32 s15, s8, -5
	s_set_gpr_idx_on s14, gpr_idx(SRC0)
	v_mov_b32_e32 v138, v32
	s_set_gpr_idx_off
	s_add_i32 s16, s8, -4
	s_set_gpr_idx_on s15, gpr_idx(SRC0)
	v_mov_b32_e32 v139, v32
	s_set_gpr_idx_off
	;; [unrolled: 4-line block ×4, first 2 shown]
	ds_read2_b64 v[133:136], v126 offset0:2 offset1:3
	s_add_i32 s19, s8, -1
	s_waitcnt lgkmcnt(1)
	v_fmac_f32_e32 v125, v137, v129
	s_set_gpr_idx_on s18, gpr_idx(SRC0)
	v_mov_b32_e32 v129, v32
	s_set_gpr_idx_off
	v_fmac_f32_e32 v125, v138, v130
	s_set_gpr_idx_on s19, gpr_idx(SRC0)
	v_mov_b32_e32 v130, v32
	s_set_gpr_idx_off
	;; [unrolled: 4-line block ×3, first 2 shown]
	v_fmac_f32_e32 v125, v140, v132
	s_add_u32 s8, s8, 8
	s_waitcnt lgkmcnt(0)
	v_fmac_f32_e32 v125, v141, v133
	v_add_u32_e32 v126, s8, v128
	v_fmac_f32_e32 v125, v129, v134
	s_addc_u32 s9, s9, 0
	s_add_i32 s12, s12, 32
	s_add_i32 s13, s8, -7
	v_cmp_eq_u32_e32 vcc, 9, v126
	v_fmac_f32_e32 v125, v130, v135
	v_mov_b32_e32 v126, s13
	s_or_b64 s[10:11], vcc, s[10:11]
	v_fmac_f32_e32 v125, v131, v136
	s_andn2_b64 exec, exec, s[10:11]
	s_cbranch_execnz .LBB29_425
; %bb.426:
	s_or_b64 exec, exec, s[10:11]
.LBB29_427:
	s_or_b64 exec, exec, s[0:1]
	v_and_b32_e32 v62, 7, v127
	v_cmp_ne_u32_e32 vcc, 0, v62
	s_and_saveexec_b64 s[8:9], vcc
	s_cbranch_execz .LBB29_431
; %bb.428:
	v_mov_b32_e32 v63, 0x80
	v_lshl_add_u32 v63, v126, 2, v63
	v_mov_b32_e32 v127, 0
	s_mov_b64 s[10:11], 0
.LBB29_429:                             ; =>This Inner Loop Header: Depth=1
	v_cmp_eq_u32_e32 vcc, 1, v126
	v_cndmask_b32_e32 v128, v32, v33, vcc
	v_add_u32_e32 v62, -1, v62
	v_cmp_eq_u32_e32 vcc, 2, v126
	v_cndmask_b32_e32 v128, v128, v34, vcc
	v_cmp_eq_u32_e32 vcc, 0, v62
	v_cmp_eq_u32_e64 s[0:1], 3, v126
	v_cndmask_b32_e64 v128, v128, v35, s[0:1]
	s_or_b64 s[10:11], vcc, s[10:11]
	v_cmp_eq_u32_e32 vcc, 4, v126
	v_cndmask_b32_e32 v128, v128, v36, vcc
	v_cmp_eq_u32_e32 vcc, 5, v126
	v_cndmask_b32_e32 v128, v128, v37, vcc
	;; [unrolled: 2-line block ×21, first 2 shown]
	v_cmp_eq_u32_e32 vcc, 25, v126
	ds_read_b32 v129, v63
	v_cndmask_b32_e32 v128, v128, v57, vcc
	v_cmp_eq_u32_e32 vcc, 26, v126
	v_cndmask_b32_e32 v128, v128, v58, vcc
	v_cmp_eq_u32_e32 vcc, 27, v126
	;; [unrolled: 2-line block ×4, first 2 shown]
	v_add_co_u32_e64 v126, s[0:1], 1, v126
	v_cndmask_b32_e32 v128, v128, v61, vcc
	v_add_u32_e32 v63, 4, v63
	v_addc_co_u32_e64 v127, s[0:1], 0, v127, s[0:1]
	s_waitcnt lgkmcnt(0)
	v_fmac_f32_e32 v125, v128, v129
	s_andn2_b64 exec, exec, s[10:11]
	s_cbranch_execnz .LBB29_429
; %bb.430:
	s_or_b64 exec, exec, s[10:11]
.LBB29_431:
	s_or_b64 exec, exec, s[8:9]
.LBB29_432:
	s_or_b64 exec, exec, s[6:7]
	v_mov_b32_e32 v33, 0
	ds_read_b32 v33, v33 offset:4
	s_waitcnt lgkmcnt(0)
	v_mul_f32_e32 v33, v125, v33
.LBB29_433:
	s_or_b64 exec, exec, s[4:5]
	v_cmp_ne_u32_e32 vcc, 0, v0
	ds_write_b32 v124, v32
	s_waitcnt lgkmcnt(0)
	; wave barrier
	s_and_saveexec_b64 s[4:5], vcc
	s_cbranch_execz .LBB29_449
; %bb.434:
	s_andn2_b64 vcc, exec, s[62:63]
	s_cbranch_vccnz .LBB29_436
; %bb.435:
	v_cmp_eq_u32_e32 vcc, 1, v0
	v_cndmask_b32_e32 v125, v32, v33, vcc
	v_cmp_eq_u32_e32 vcc, 2, v0
	v_cndmask_b32_e32 v125, v125, v34, vcc
	;; [unrolled: 2-line block ×25, first 2 shown]
	v_cmp_eq_u32_e32 vcc, 26, v0
	ds_read_b32 v126, v124
	v_cndmask_b32_e32 v125, v125, v58, vcc
	v_cmp_eq_u32_e32 vcc, 27, v0
	v_cndmask_b32_e32 v125, v125, v59, vcc
	v_cmp_eq_u32_e32 vcc, 28, v0
	;; [unrolled: 2-line block ×3, first 2 shown]
	v_cndmask_b32_e32 v125, v125, v61, vcc
	s_waitcnt lgkmcnt(0)
	v_mul_f32_e32 v125, v125, v126
	s_cbranch_execz .LBB29_437
	s_branch .LBB29_438
.LBB29_436:
                                        ; implicit-def: $vgpr125
.LBB29_437:
	ds_read_b32 v125, v124
.LBB29_438:
	s_and_saveexec_b64 s[6:7], s[2:3]
	s_cbranch_execz .LBB29_448
; %bb.439:
	v_add_u32_e32 v126, -2, v0
	v_add_u32_e32 v127, -1, v0
	v_cmp_lt_u32_e32 vcc, 6, v126
	v_mov_b32_e32 v126, 1
	s_and_saveexec_b64 s[0:1], vcc
	s_cbranch_execz .LBB29_443
; %bb.440:
	v_and_b32_e32 v126, -8, v127
	v_sub_u32_e32 v128, 0, v126
	s_mov_b64 s[2:3], 8
	s_movk_i32 s10, 0x84
	s_mov_b64 s[8:9], 0
.LBB29_441:                             ; =>This Inner Loop Header: Depth=1
	s_add_i32 s11, s2, -7
	v_mov_b32_e32 v126, s10
	s_add_i32 s12, s2, -6
	s_set_gpr_idx_on s11, gpr_idx(SRC0)
	v_mov_b32_e32 v135, v32
	s_set_gpr_idx_off
	ds_read2_b32 v[129:130], v126 offset1:1
	s_add_i32 s13, s2, -5
	s_set_gpr_idx_on s12, gpr_idx(SRC0)
	v_mov_b32_e32 v136, v32
	s_set_gpr_idx_off
	s_add_i32 s14, s2, -4
	s_set_gpr_idx_on s13, gpr_idx(SRC0)
	v_mov_b32_e32 v137, v32
	s_set_gpr_idx_off
	ds_read2_b32 v[131:132], v126 offset0:2 offset1:3
	s_add_i32 s15, s2, -3
	s_set_gpr_idx_on s14, gpr_idx(SRC0)
	v_mov_b32_e32 v138, v32
	s_set_gpr_idx_off
	s_add_i32 s16, s2, -2
	s_set_gpr_idx_on s15, gpr_idx(SRC0)
	v_mov_b32_e32 v139, v32
	s_set_gpr_idx_off
	ds_read2_b32 v[133:134], v126 offset0:4 offset1:5
	s_add_i32 s17, s2, -1
	s_waitcnt lgkmcnt(2)
	v_fmac_f32_e32 v125, v135, v129
	s_set_gpr_idx_on s16, gpr_idx(SRC0)
	v_mov_b32_e32 v135, v32
	s_set_gpr_idx_off
	v_fmac_f32_e32 v125, v136, v130
	s_set_gpr_idx_on s17, gpr_idx(SRC0)
	v_mov_b32_e32 v136, v32
	s_set_gpr_idx_off
	ds_read2_b32 v[129:130], v126 offset0:6 offset1:7
	s_waitcnt lgkmcnt(2)
	v_fmac_f32_e32 v125, v137, v131
	s_set_gpr_idx_on s2, gpr_idx(SRC0)
	v_mov_b32_e32 v131, v32
	s_set_gpr_idx_off
	v_fmac_f32_e32 v125, v138, v132
	s_add_u32 s2, s2, 8
	s_waitcnt lgkmcnt(1)
	v_fmac_f32_e32 v125, v139, v133
	v_add_u32_e32 v126, s2, v128
	v_fmac_f32_e32 v125, v135, v134
	s_addc_u32 s3, s3, 0
	s_add_i32 s10, s10, 32
	s_add_i32 s11, s2, -7
	v_cmp_eq_u32_e32 vcc, 8, v126
	s_waitcnt lgkmcnt(0)
	v_fmac_f32_e32 v125, v136, v129
	v_mov_b32_e32 v126, s11
	s_or_b64 s[8:9], vcc, s[8:9]
	v_fmac_f32_e32 v125, v131, v130
	s_andn2_b64 exec, exec, s[8:9]
	s_cbranch_execnz .LBB29_441
; %bb.442:
	s_or_b64 exec, exec, s[8:9]
.LBB29_443:
	s_or_b64 exec, exec, s[0:1]
	v_and_b32_e32 v62, 7, v127
	v_cmp_ne_u32_e32 vcc, 0, v62
	s_and_saveexec_b64 s[2:3], vcc
	s_cbranch_execz .LBB29_447
; %bb.444:
	v_mov_b32_e32 v63, 0x80
	v_lshl_add_u32 v63, v126, 2, v63
	v_mov_b32_e32 v127, 0
	s_mov_b64 s[8:9], 0
.LBB29_445:                             ; =>This Inner Loop Header: Depth=1
	v_cmp_eq_u32_e32 vcc, 1, v126
	v_cndmask_b32_e32 v128, v32, v33, vcc
	v_add_u32_e32 v62, -1, v62
	v_cmp_eq_u32_e32 vcc, 2, v126
	v_cndmask_b32_e32 v128, v128, v34, vcc
	v_cmp_eq_u32_e32 vcc, 0, v62
	v_cmp_eq_u32_e64 s[0:1], 3, v126
	v_cndmask_b32_e64 v128, v128, v35, s[0:1]
	s_or_b64 s[8:9], vcc, s[8:9]
	v_cmp_eq_u32_e32 vcc, 4, v126
	v_cndmask_b32_e32 v128, v128, v36, vcc
	v_cmp_eq_u32_e32 vcc, 5, v126
	v_cndmask_b32_e32 v128, v128, v37, vcc
	;; [unrolled: 2-line block ×21, first 2 shown]
	v_cmp_eq_u32_e32 vcc, 25, v126
	ds_read_b32 v129, v63
	v_cndmask_b32_e32 v128, v128, v57, vcc
	v_cmp_eq_u32_e32 vcc, 26, v126
	v_cndmask_b32_e32 v128, v128, v58, vcc
	v_cmp_eq_u32_e32 vcc, 27, v126
	;; [unrolled: 2-line block ×4, first 2 shown]
	v_add_co_u32_e64 v126, s[0:1], 1, v126
	v_cndmask_b32_e32 v128, v128, v61, vcc
	v_add_u32_e32 v63, 4, v63
	v_addc_co_u32_e64 v127, s[0:1], 0, v127, s[0:1]
	s_waitcnt lgkmcnt(0)
	v_fmac_f32_e32 v125, v128, v129
	s_andn2_b64 exec, exec, s[8:9]
	s_cbranch_execnz .LBB29_445
; %bb.446:
	s_or_b64 exec, exec, s[8:9]
.LBB29_447:
	s_or_b64 exec, exec, s[2:3]
.LBB29_448:
	s_or_b64 exec, exec, s[6:7]
	v_mov_b32_e32 v32, 0
	ds_read_b32 v32, v32
	s_waitcnt lgkmcnt(0)
	v_mul_f32_e32 v32, v125, v32
.LBB29_449:
	s_or_b64 exec, exec, s[4:5]
	s_branch .LBB29_743
.LBB29_450:
	v_cmp_eq_u32_e64 s[2:3], 0, v0
	s_waitcnt vmcnt(29)
	ds_write_b32 v124, v3
	s_waitcnt lgkmcnt(0)
	; wave barrier
	s_and_saveexec_b64 s[0:1], s[2:3]
	s_cbranch_execz .LBB29_456
; %bb.451:
	s_and_b64 vcc, exec, s[62:63]
	s_cbranch_vccz .LBB29_453
; %bb.452:
	v_cmp_eq_u32_e32 vcc, 1, v0
	s_waitcnt vmcnt(5)
	v_cndmask_b32_e32 v3, v2, v3, vcc
	v_cmp_eq_u32_e32 vcc, 2, v0
	v_cndmask_b32_e32 v3, v3, v4, vcc
	v_cmp_eq_u32_e32 vcc, 3, v0
	;; [unrolled: 2-line block ×24, first 2 shown]
	s_waitcnt vmcnt(4)
	v_cndmask_b32_e32 v3, v3, v27, vcc
	v_cmp_eq_u32_e32 vcc, 26, v0
	ds_read_b32 v32, v124
	s_waitcnt vmcnt(3)
	v_cndmask_b32_e32 v3, v3, v28, vcc
	v_cmp_eq_u32_e32 vcc, 27, v0
	s_waitcnt vmcnt(2)
	v_cndmask_b32_e32 v3, v3, v29, vcc
	v_cmp_eq_u32_e32 vcc, 28, v0
	;; [unrolled: 3-line block ×3, first 2 shown]
	s_waitcnt vmcnt(0)
	v_cndmask_b32_e32 v3, v3, v31, vcc
	s_waitcnt lgkmcnt(0)
	v_mul_f32_e32 v3, v3, v32
	s_cbranch_execz .LBB29_454
	s_branch .LBB29_455
.LBB29_453:
                                        ; implicit-def: $vgpr3
.LBB29_454:
	ds_read_b32 v3, v124
.LBB29_455:
	v_mov_b32_e32 v32, 0
	ds_read_b32 v32, v32 offset:4
	s_waitcnt lgkmcnt(0)
	v_mul_f32_e32 v3, v3, v32
.LBB29_456:
	s_or_b64 exec, exec, s[0:1]
	v_cndmask_b32_e64 v32, 0, 1, s[62:63]
	v_cmp_gt_u32_e32 vcc, 2, v0
	v_cmp_ne_u32_e64 s[0:1], 1, v32
	s_waitcnt vmcnt(28)
	ds_write_b32 v124, v4
	s_waitcnt lgkmcnt(0)
	; wave barrier
	s_and_saveexec_b64 s[4:5], vcc
	s_cbranch_execz .LBB29_462
; %bb.457:
	s_and_b64 vcc, exec, s[0:1]
	s_cbranch_vccnz .LBB29_459
; %bb.458:
	v_cmp_eq_u32_e32 vcc, 1, v0
	s_waitcnt vmcnt(5)
	v_cndmask_b32_e32 v32, v2, v3, vcc
	v_cmp_eq_u32_e32 vcc, 2, v0
	v_cndmask_b32_e32 v4, v32, v4, vcc
	v_cmp_eq_u32_e32 vcc, 3, v0
	;; [unrolled: 2-line block ×24, first 2 shown]
	s_waitcnt vmcnt(4)
	v_cndmask_b32_e32 v4, v4, v27, vcc
	v_cmp_eq_u32_e32 vcc, 26, v0
	ds_read_b32 v32, v124
	s_waitcnt vmcnt(3)
	v_cndmask_b32_e32 v4, v4, v28, vcc
	v_cmp_eq_u32_e32 vcc, 27, v0
	s_waitcnt vmcnt(2)
	v_cndmask_b32_e32 v4, v4, v29, vcc
	v_cmp_eq_u32_e32 vcc, 28, v0
	;; [unrolled: 3-line block ×3, first 2 shown]
	s_waitcnt vmcnt(0)
	v_cndmask_b32_e32 v4, v4, v31, vcc
	s_waitcnt lgkmcnt(0)
	v_mul_f32_e32 v4, v4, v32
	s_cbranch_execz .LBB29_460
	s_branch .LBB29_461
.LBB29_459:
                                        ; implicit-def: $vgpr4
.LBB29_460:
	ds_read_b32 v4, v124
.LBB29_461:
	v_mov_b32_e32 v32, 0
	ds_read2_b32 v[32:33], v32 offset0:2 offset1:33
	s_waitcnt lgkmcnt(0)
	v_fma_f32 v33, v3, v33, v4
	v_cndmask_b32_e64 v4, v4, v33, s[2:3]
	v_mul_f32_e32 v4, v4, v32
.LBB29_462:
	s_or_b64 exec, exec, s[4:5]
	v_add_u32_e32 v34, 1, v0
	v_cmp_gt_u32_e64 s[4:5], 3, v0
	s_waitcnt vmcnt(27)
	ds_write_b32 v124, v5
	s_waitcnt lgkmcnt(0)
	; wave barrier
	s_and_saveexec_b64 s[6:7], s[4:5]
	s_cbranch_execz .LBB29_470
; %bb.463:
	s_and_b64 vcc, exec, s[0:1]
	s_cbranch_vccnz .LBB29_465
; %bb.464:
	v_cmp_eq_u32_e32 vcc, 1, v0
	s_waitcnt vmcnt(5)
	v_cndmask_b32_e32 v32, v2, v3, vcc
	v_cmp_eq_u32_e32 vcc, 2, v0
	v_cndmask_b32_e32 v32, v32, v4, vcc
	v_cmp_eq_u32_e32 vcc, 3, v0
	;; [unrolled: 2-line block ×24, first 2 shown]
	s_waitcnt vmcnt(4)
	v_cndmask_b32_e32 v32, v32, v27, vcc
	v_cmp_eq_u32_e32 vcc, 26, v0
	ds_read_b32 v33, v124
	s_waitcnt vmcnt(3)
	v_cndmask_b32_e32 v32, v32, v28, vcc
	v_cmp_eq_u32_e32 vcc, 27, v0
	s_waitcnt vmcnt(2)
	v_cndmask_b32_e32 v32, v32, v29, vcc
	v_cmp_eq_u32_e32 vcc, 28, v0
	;; [unrolled: 3-line block ×3, first 2 shown]
	s_waitcnt vmcnt(0)
	v_cndmask_b32_e32 v32, v32, v31, vcc
	s_waitcnt lgkmcnt(0)
	v_mul_f32_e32 v32, v32, v33
	s_cbranch_execz .LBB29_466
	s_branch .LBB29_467
.LBB29_465:
                                        ; implicit-def: $vgpr32
.LBB29_466:
	ds_read_b32 v32, v124
.LBB29_467:
	v_cmp_ne_u32_e32 vcc, 2, v0
	s_and_saveexec_b64 s[8:9], vcc
	s_cbranch_execz .LBB29_469
; %bb.468:
	v_cmp_eq_u32_e32 vcc, 1, v34
	s_waitcnt vmcnt(5)
	v_cndmask_b32_e32 v33, v2, v3, vcc
	v_cmp_eq_u32_e32 vcc, 2, v34
	v_cndmask_b32_e32 v33, v33, v4, vcc
	v_cmp_eq_u32_e32 vcc, 3, v34
	v_cndmask_b32_e32 v5, v33, v5, vcc
	v_cmp_eq_u32_e32 vcc, 4, v34
	v_cndmask_b32_e32 v5, v5, v6, vcc
	v_cmp_eq_u32_e32 vcc, 5, v34
	v_cndmask_b32_e32 v5, v5, v7, vcc
	v_cmp_eq_u32_e32 vcc, 6, v34
	v_cndmask_b32_e32 v5, v5, v8, vcc
	v_cmp_eq_u32_e32 vcc, 7, v34
	v_cndmask_b32_e32 v5, v5, v9, vcc
	v_cmp_eq_u32_e32 vcc, 8, v34
	v_cndmask_b32_e32 v5, v5, v10, vcc
	v_cmp_eq_u32_e32 vcc, 9, v34
	v_cndmask_b32_e32 v5, v5, v11, vcc
	v_cmp_eq_u32_e32 vcc, 10, v34
	v_cndmask_b32_e32 v5, v5, v12, vcc
	v_cmp_eq_u32_e32 vcc, 11, v34
	v_cndmask_b32_e32 v5, v5, v13, vcc
	v_cmp_eq_u32_e32 vcc, 12, v34
	v_cndmask_b32_e32 v5, v5, v14, vcc
	v_cmp_eq_u32_e32 vcc, 13, v34
	v_cndmask_b32_e32 v5, v5, v15, vcc
	v_cmp_eq_u32_e32 vcc, 14, v34
	v_cndmask_b32_e32 v5, v5, v16, vcc
	v_cmp_eq_u32_e32 vcc, 15, v34
	v_cndmask_b32_e32 v5, v5, v17, vcc
	v_cmp_eq_u32_e32 vcc, 16, v34
	v_cndmask_b32_e32 v5, v5, v18, vcc
	v_cmp_eq_u32_e32 vcc, 17, v34
	v_cndmask_b32_e32 v5, v5, v19, vcc
	v_cmp_eq_u32_e32 vcc, 18, v34
	v_cndmask_b32_e32 v5, v5, v20, vcc
	v_cmp_eq_u32_e32 vcc, 19, v34
	v_cndmask_b32_e32 v5, v5, v21, vcc
	v_cmp_eq_u32_e32 vcc, 20, v34
	v_cndmask_b32_e32 v5, v5, v22, vcc
	v_cmp_eq_u32_e32 vcc, 21, v34
	v_cndmask_b32_e32 v5, v5, v23, vcc
	v_cmp_eq_u32_e32 vcc, 22, v34
	v_cndmask_b32_e32 v5, v5, v24, vcc
	v_cmp_eq_u32_e32 vcc, 23, v34
	v_cndmask_b32_e32 v5, v5, v25, vcc
	v_cmp_eq_u32_e32 vcc, 24, v34
	v_cndmask_b32_e32 v5, v5, v26, vcc
	v_cmp_eq_u32_e32 vcc, 25, v34
	s_waitcnt vmcnt(4)
	v_cndmask_b32_e32 v5, v5, v27, vcc
	v_cmp_eq_u32_e32 vcc, 26, v34
	v_mov_b32_e32 v33, 0
	s_waitcnt vmcnt(3)
	v_cndmask_b32_e32 v5, v5, v28, vcc
	v_cmp_eq_u32_e32 vcc, 27, v34
	ds_read_b32 v35, v124 offset:4
	ds_read_b32 v33, v33 offset:136
	s_waitcnt vmcnt(2)
	v_cndmask_b32_e32 v5, v5, v29, vcc
	v_cmp_eq_u32_e32 vcc, 28, v34
	s_waitcnt vmcnt(1)
	v_cndmask_b32_e32 v5, v5, v30, vcc
	v_cmp_eq_u32_e32 vcc, 29, v34
	s_waitcnt vmcnt(0)
	v_cndmask_b32_e32 v5, v5, v31, vcc
	s_waitcnt lgkmcnt(1)
	v_fmac_f32_e32 v32, v5, v35
	s_waitcnt lgkmcnt(0)
	v_fma_f32 v5, v4, v33, v32
	v_cndmask_b32_e64 v32, v32, v5, s[2:3]
.LBB29_469:
	s_or_b64 exec, exec, s[8:9]
	v_mov_b32_e32 v5, 0
	ds_read_b32 v5, v5 offset:12
	s_waitcnt lgkmcnt(0)
	v_mul_f32_e32 v5, v32, v5
.LBB29_470:
	s_or_b64 exec, exec, s[6:7]
	v_cmp_gt_u32_e32 vcc, 4, v0
	s_waitcnt vmcnt(26)
	ds_write_b32 v124, v6
	s_waitcnt lgkmcnt(0)
	; wave barrier
	s_and_saveexec_b64 s[8:9], vcc
	s_cbranch_execz .LBB29_480
; %bb.471:
	s_and_b64 vcc, exec, s[0:1]
	s_cbranch_vccnz .LBB29_473
; %bb.472:
	v_cmp_eq_u32_e32 vcc, 1, v0
	s_waitcnt vmcnt(5)
	v_cndmask_b32_e32 v32, v2, v3, vcc
	v_cmp_eq_u32_e32 vcc, 2, v0
	v_cndmask_b32_e32 v32, v32, v4, vcc
	v_cmp_eq_u32_e32 vcc, 3, v0
	;; [unrolled: 2-line block ×24, first 2 shown]
	s_waitcnt vmcnt(4)
	v_cndmask_b32_e32 v32, v32, v27, vcc
	v_cmp_eq_u32_e32 vcc, 26, v0
	ds_read_b32 v33, v124
	s_waitcnt vmcnt(3)
	v_cndmask_b32_e32 v32, v32, v28, vcc
	v_cmp_eq_u32_e32 vcc, 27, v0
	s_waitcnt vmcnt(2)
	v_cndmask_b32_e32 v32, v32, v29, vcc
	v_cmp_eq_u32_e32 vcc, 28, v0
	;; [unrolled: 3-line block ×3, first 2 shown]
	s_waitcnt vmcnt(0)
	v_cndmask_b32_e32 v32, v32, v31, vcc
	s_waitcnt lgkmcnt(0)
	v_mul_f32_e32 v35, v32, v33
	s_cbranch_execz .LBB29_474
	s_branch .LBB29_475
.LBB29_473:
                                        ; implicit-def: $vgpr35
.LBB29_474:
	ds_read_b32 v35, v124
.LBB29_475:
	v_cmp_ne_u32_e32 vcc, 3, v0
	s_and_saveexec_b64 s[10:11], vcc
	s_cbranch_execz .LBB29_479
; %bb.476:
	v_mov_b32_e32 v32, 0x84
	v_lshl_add_u32 v36, v0, 2, v32
	v_mov_b32_e32 v33, v1
	s_mov_b64 s[12:13], 0
	v_mov_b32_e32 v32, v0
.LBB29_477:                             ; =>This Inner Loop Header: Depth=1
	v_add_co_u32_e32 v32, vcc, 1, v32
	v_addc_co_u32_e32 v33, vcc, 0, v33, vcc
	v_cmp_eq_u32_e32 vcc, 1, v32
	s_waitcnt vmcnt(5)
	v_cndmask_b32_e32 v38, v2, v3, vcc
	v_cmp_lt_u32_e32 vcc, 2, v32
	v_cmp_eq_u32_e64 s[6:7], 2, v32
	v_cndmask_b32_e64 v38, v38, v4, s[6:7]
	s_or_b64 s[12:13], vcc, s[12:13]
	v_cmp_eq_u32_e32 vcc, 3, v32
	v_cndmask_b32_e32 v38, v38, v5, vcc
	v_cmp_eq_u32_e32 vcc, 4, v32
	v_cndmask_b32_e32 v38, v38, v6, vcc
	;; [unrolled: 2-line block ×22, first 2 shown]
	v_cmp_eq_u32_e32 vcc, 25, v32
	ds_read_b32 v37, v36
	s_waitcnt vmcnt(4)
	v_cndmask_b32_e32 v38, v38, v27, vcc
	v_cmp_eq_u32_e32 vcc, 26, v32
	s_waitcnt vmcnt(3)
	v_cndmask_b32_e32 v38, v38, v28, vcc
	v_cmp_eq_u32_e32 vcc, 27, v32
	;; [unrolled: 3-line block ×4, first 2 shown]
	s_waitcnt vmcnt(0)
	v_cndmask_b32_e32 v38, v38, v31, vcc
	v_add_u32_e32 v36, 4, v36
	s_waitcnt lgkmcnt(0)
	v_fmac_f32_e32 v35, v38, v37
	s_andn2_b64 exec, exec, s[12:13]
	s_cbranch_execnz .LBB29_477
; %bb.478:
	s_or_b64 exec, exec, s[12:13]
.LBB29_479:
	s_or_b64 exec, exec, s[10:11]
	v_mov_b32_e32 v6, 0
	ds_read_b32 v6, v6 offset:16
	s_waitcnt lgkmcnt(0)
	v_mul_f32_e32 v6, v35, v6
.LBB29_480:
	s_or_b64 exec, exec, s[8:9]
	v_cmp_gt_u32_e64 s[6:7], 5, v0
	s_waitcnt vmcnt(25)
	ds_write_b32 v124, v7
	s_waitcnt lgkmcnt(0)
	; wave barrier
	s_and_saveexec_b64 s[10:11], s[6:7]
	s_cbranch_execz .LBB29_490
; %bb.481:
	s_and_b64 vcc, exec, s[0:1]
	s_cbranch_vccnz .LBB29_483
; %bb.482:
	v_cmp_eq_u32_e32 vcc, 1, v0
	s_waitcnt vmcnt(5)
	v_cndmask_b32_e32 v32, v2, v3, vcc
	v_cmp_eq_u32_e32 vcc, 2, v0
	v_cndmask_b32_e32 v32, v32, v4, vcc
	v_cmp_eq_u32_e32 vcc, 3, v0
	;; [unrolled: 2-line block ×24, first 2 shown]
	s_waitcnt vmcnt(4)
	v_cndmask_b32_e32 v32, v32, v27, vcc
	v_cmp_eq_u32_e32 vcc, 26, v0
	ds_read_b32 v33, v124
	s_waitcnt vmcnt(3)
	v_cndmask_b32_e32 v32, v32, v28, vcc
	v_cmp_eq_u32_e32 vcc, 27, v0
	s_waitcnt vmcnt(2)
	v_cndmask_b32_e32 v32, v32, v29, vcc
	v_cmp_eq_u32_e32 vcc, 28, v0
	;; [unrolled: 3-line block ×3, first 2 shown]
	s_waitcnt vmcnt(0)
	v_cndmask_b32_e32 v32, v32, v31, vcc
	s_waitcnt lgkmcnt(0)
	v_mul_f32_e32 v35, v32, v33
	s_cbranch_execz .LBB29_484
	s_branch .LBB29_485
.LBB29_483:
                                        ; implicit-def: $vgpr35
.LBB29_484:
	ds_read_b32 v35, v124
.LBB29_485:
	v_cmp_ne_u32_e32 vcc, 4, v0
	s_and_saveexec_b64 s[12:13], vcc
	s_cbranch_execz .LBB29_489
; %bb.486:
	v_mov_b32_e32 v32, 0x84
	v_lshl_add_u32 v36, v0, 2, v32
	v_mov_b32_e32 v33, v1
	s_mov_b64 s[14:15], 0
	v_mov_b32_e32 v32, v0
.LBB29_487:                             ; =>This Inner Loop Header: Depth=1
	v_add_co_u32_e32 v32, vcc, 1, v32
	v_addc_co_u32_e32 v33, vcc, 0, v33, vcc
	v_cmp_eq_u32_e32 vcc, 1, v32
	s_waitcnt vmcnt(5)
	v_cndmask_b32_e32 v38, v2, v3, vcc
	v_cmp_lt_u32_e32 vcc, 3, v32
	v_cmp_eq_u32_e64 s[8:9], 2, v32
	v_cndmask_b32_e64 v38, v38, v4, s[8:9]
	s_or_b64 s[14:15], vcc, s[14:15]
	v_cmp_eq_u32_e32 vcc, 3, v32
	v_cndmask_b32_e32 v38, v38, v5, vcc
	v_cmp_eq_u32_e32 vcc, 4, v32
	v_cndmask_b32_e32 v38, v38, v6, vcc
	;; [unrolled: 2-line block ×22, first 2 shown]
	v_cmp_eq_u32_e32 vcc, 25, v32
	ds_read_b32 v37, v36
	s_waitcnt vmcnt(4)
	v_cndmask_b32_e32 v38, v38, v27, vcc
	v_cmp_eq_u32_e32 vcc, 26, v32
	s_waitcnt vmcnt(3)
	v_cndmask_b32_e32 v38, v38, v28, vcc
	v_cmp_eq_u32_e32 vcc, 27, v32
	s_waitcnt vmcnt(2)
	v_cndmask_b32_e32 v38, v38, v29, vcc
	v_cmp_eq_u32_e32 vcc, 28, v32
	s_waitcnt vmcnt(1)
	v_cndmask_b32_e32 v38, v38, v30, vcc
	v_cmp_eq_u32_e32 vcc, 29, v32
	s_waitcnt vmcnt(0)
	v_cndmask_b32_e32 v38, v38, v31, vcc
	v_add_u32_e32 v36, 4, v36
	s_waitcnt lgkmcnt(0)
	v_fmac_f32_e32 v35, v38, v37
	s_andn2_b64 exec, exec, s[14:15]
	s_cbranch_execnz .LBB29_487
; %bb.488:
	s_or_b64 exec, exec, s[14:15]
.LBB29_489:
	s_or_b64 exec, exec, s[12:13]
	v_mov_b32_e32 v7, 0
	ds_read_b32 v7, v7 offset:20
	s_waitcnt lgkmcnt(0)
	v_mul_f32_e32 v7, v35, v7
.LBB29_490:
	s_or_b64 exec, exec, s[10:11]
	v_cmp_gt_u32_e32 vcc, 6, v0
	s_waitcnt vmcnt(24)
	ds_write_b32 v124, v8
	s_waitcnt lgkmcnt(0)
	; wave barrier
	s_and_saveexec_b64 s[10:11], vcc
	s_cbranch_execz .LBB29_500
; %bb.491:
	s_and_b64 vcc, exec, s[0:1]
	s_cbranch_vccnz .LBB29_493
; %bb.492:
	v_cmp_eq_u32_e32 vcc, 1, v0
	s_waitcnt vmcnt(5)
	v_cndmask_b32_e32 v32, v2, v3, vcc
	v_cmp_eq_u32_e32 vcc, 2, v0
	v_cndmask_b32_e32 v32, v32, v4, vcc
	v_cmp_eq_u32_e32 vcc, 3, v0
	;; [unrolled: 2-line block ×24, first 2 shown]
	s_waitcnt vmcnt(4)
	v_cndmask_b32_e32 v32, v32, v27, vcc
	v_cmp_eq_u32_e32 vcc, 26, v0
	ds_read_b32 v33, v124
	s_waitcnt vmcnt(3)
	v_cndmask_b32_e32 v32, v32, v28, vcc
	v_cmp_eq_u32_e32 vcc, 27, v0
	s_waitcnt vmcnt(2)
	v_cndmask_b32_e32 v32, v32, v29, vcc
	v_cmp_eq_u32_e32 vcc, 28, v0
	;; [unrolled: 3-line block ×3, first 2 shown]
	s_waitcnt vmcnt(0)
	v_cndmask_b32_e32 v32, v32, v31, vcc
	s_waitcnt lgkmcnt(0)
	v_mul_f32_e32 v35, v32, v33
	s_cbranch_execz .LBB29_494
	s_branch .LBB29_495
.LBB29_493:
                                        ; implicit-def: $vgpr35
.LBB29_494:
	ds_read_b32 v35, v124
.LBB29_495:
	v_cmp_ne_u32_e32 vcc, 5, v0
	s_and_saveexec_b64 s[12:13], vcc
	s_cbranch_execz .LBB29_499
; %bb.496:
	v_mov_b32_e32 v32, 0x84
	v_lshl_add_u32 v36, v0, 2, v32
	v_mov_b32_e32 v33, v1
	s_mov_b64 s[14:15], 0
	v_mov_b32_e32 v32, v0
.LBB29_497:                             ; =>This Inner Loop Header: Depth=1
	v_add_co_u32_e32 v32, vcc, 1, v32
	v_addc_co_u32_e32 v33, vcc, 0, v33, vcc
	v_cmp_eq_u32_e32 vcc, 1, v32
	s_waitcnt vmcnt(5)
	v_cndmask_b32_e32 v38, v2, v3, vcc
	v_cmp_lt_u32_e32 vcc, 4, v32
	v_cmp_eq_u32_e64 s[8:9], 2, v32
	v_cndmask_b32_e64 v38, v38, v4, s[8:9]
	s_or_b64 s[14:15], vcc, s[14:15]
	v_cmp_eq_u32_e32 vcc, 3, v32
	v_cndmask_b32_e32 v38, v38, v5, vcc
	v_cmp_eq_u32_e32 vcc, 4, v32
	v_cndmask_b32_e32 v38, v38, v6, vcc
	;; [unrolled: 2-line block ×22, first 2 shown]
	v_cmp_eq_u32_e32 vcc, 25, v32
	ds_read_b32 v37, v36
	s_waitcnt vmcnt(4)
	v_cndmask_b32_e32 v38, v38, v27, vcc
	v_cmp_eq_u32_e32 vcc, 26, v32
	s_waitcnt vmcnt(3)
	v_cndmask_b32_e32 v38, v38, v28, vcc
	v_cmp_eq_u32_e32 vcc, 27, v32
	s_waitcnt vmcnt(2)
	v_cndmask_b32_e32 v38, v38, v29, vcc
	v_cmp_eq_u32_e32 vcc, 28, v32
	s_waitcnt vmcnt(1)
	v_cndmask_b32_e32 v38, v38, v30, vcc
	v_cmp_eq_u32_e32 vcc, 29, v32
	s_waitcnt vmcnt(0)
	v_cndmask_b32_e32 v38, v38, v31, vcc
	v_add_u32_e32 v36, 4, v36
	s_waitcnt lgkmcnt(0)
	v_fmac_f32_e32 v35, v38, v37
	s_andn2_b64 exec, exec, s[14:15]
	s_cbranch_execnz .LBB29_497
; %bb.498:
	s_or_b64 exec, exec, s[14:15]
.LBB29_499:
	s_or_b64 exec, exec, s[12:13]
	v_mov_b32_e32 v8, 0
	ds_read_b32 v8, v8 offset:24
	s_waitcnt lgkmcnt(0)
	v_mul_f32_e32 v8, v35, v8
.LBB29_500:
	s_or_b64 exec, exec, s[10:11]
	v_cmp_gt_u32_e64 s[8:9], 7, v0
	s_waitcnt vmcnt(23)
	ds_write_b32 v124, v9
	s_waitcnt lgkmcnt(0)
	; wave barrier
	s_and_saveexec_b64 s[12:13], s[8:9]
	s_cbranch_execz .LBB29_510
; %bb.501:
	s_and_b64 vcc, exec, s[0:1]
	s_cbranch_vccnz .LBB29_503
; %bb.502:
	v_cmp_eq_u32_e32 vcc, 1, v0
	s_waitcnt vmcnt(5)
	v_cndmask_b32_e32 v32, v2, v3, vcc
	v_cmp_eq_u32_e32 vcc, 2, v0
	v_cndmask_b32_e32 v32, v32, v4, vcc
	v_cmp_eq_u32_e32 vcc, 3, v0
	;; [unrolled: 2-line block ×24, first 2 shown]
	s_waitcnt vmcnt(4)
	v_cndmask_b32_e32 v32, v32, v27, vcc
	v_cmp_eq_u32_e32 vcc, 26, v0
	ds_read_b32 v33, v124
	s_waitcnt vmcnt(3)
	v_cndmask_b32_e32 v32, v32, v28, vcc
	v_cmp_eq_u32_e32 vcc, 27, v0
	s_waitcnt vmcnt(2)
	v_cndmask_b32_e32 v32, v32, v29, vcc
	v_cmp_eq_u32_e32 vcc, 28, v0
	;; [unrolled: 3-line block ×3, first 2 shown]
	s_waitcnt vmcnt(0)
	v_cndmask_b32_e32 v32, v32, v31, vcc
	s_waitcnt lgkmcnt(0)
	v_mul_f32_e32 v35, v32, v33
	s_cbranch_execz .LBB29_504
	s_branch .LBB29_505
.LBB29_503:
                                        ; implicit-def: $vgpr35
.LBB29_504:
	ds_read_b32 v35, v124
.LBB29_505:
	v_cmp_ne_u32_e32 vcc, 6, v0
	s_and_saveexec_b64 s[14:15], vcc
	s_cbranch_execz .LBB29_509
; %bb.506:
	v_mov_b32_e32 v32, 0x84
	v_lshl_add_u32 v36, v0, 2, v32
	v_mov_b32_e32 v33, v1
	s_mov_b64 s[16:17], 0
	v_mov_b32_e32 v32, v0
.LBB29_507:                             ; =>This Inner Loop Header: Depth=1
	v_add_co_u32_e32 v32, vcc, 1, v32
	v_addc_co_u32_e32 v33, vcc, 0, v33, vcc
	v_cmp_eq_u32_e32 vcc, 1, v32
	s_waitcnt vmcnt(5)
	v_cndmask_b32_e32 v38, v2, v3, vcc
	v_cmp_lt_u32_e32 vcc, 5, v32
	v_cmp_eq_u32_e64 s[10:11], 2, v32
	v_cndmask_b32_e64 v38, v38, v4, s[10:11]
	s_or_b64 s[16:17], vcc, s[16:17]
	v_cmp_eq_u32_e32 vcc, 3, v32
	v_cndmask_b32_e32 v38, v38, v5, vcc
	v_cmp_eq_u32_e32 vcc, 4, v32
	v_cndmask_b32_e32 v38, v38, v6, vcc
	;; [unrolled: 2-line block ×22, first 2 shown]
	v_cmp_eq_u32_e32 vcc, 25, v32
	ds_read_b32 v37, v36
	s_waitcnt vmcnt(4)
	v_cndmask_b32_e32 v38, v38, v27, vcc
	v_cmp_eq_u32_e32 vcc, 26, v32
	s_waitcnt vmcnt(3)
	v_cndmask_b32_e32 v38, v38, v28, vcc
	v_cmp_eq_u32_e32 vcc, 27, v32
	;; [unrolled: 3-line block ×4, first 2 shown]
	s_waitcnt vmcnt(0)
	v_cndmask_b32_e32 v38, v38, v31, vcc
	v_add_u32_e32 v36, 4, v36
	s_waitcnt lgkmcnt(0)
	v_fmac_f32_e32 v35, v38, v37
	s_andn2_b64 exec, exec, s[16:17]
	s_cbranch_execnz .LBB29_507
; %bb.508:
	s_or_b64 exec, exec, s[16:17]
.LBB29_509:
	s_or_b64 exec, exec, s[14:15]
	v_mov_b32_e32 v9, 0
	ds_read_b32 v9, v9 offset:28
	s_waitcnt lgkmcnt(0)
	v_mul_f32_e32 v9, v35, v9
.LBB29_510:
	s_or_b64 exec, exec, s[12:13]
	v_cmp_gt_u32_e32 vcc, 8, v0
	s_waitcnt vmcnt(22)
	ds_write_b32 v124, v10
	s_waitcnt lgkmcnt(0)
	; wave barrier
	s_and_saveexec_b64 s[12:13], vcc
	s_cbranch_execz .LBB29_520
; %bb.511:
	s_and_b64 vcc, exec, s[0:1]
	s_cbranch_vccnz .LBB29_513
; %bb.512:
	v_cmp_eq_u32_e32 vcc, 1, v0
	s_waitcnt vmcnt(5)
	v_cndmask_b32_e32 v32, v2, v3, vcc
	v_cmp_eq_u32_e32 vcc, 2, v0
	v_cndmask_b32_e32 v32, v32, v4, vcc
	v_cmp_eq_u32_e32 vcc, 3, v0
	;; [unrolled: 2-line block ×24, first 2 shown]
	s_waitcnt vmcnt(4)
	v_cndmask_b32_e32 v32, v32, v27, vcc
	v_cmp_eq_u32_e32 vcc, 26, v0
	ds_read_b32 v33, v124
	s_waitcnt vmcnt(3)
	v_cndmask_b32_e32 v32, v32, v28, vcc
	v_cmp_eq_u32_e32 vcc, 27, v0
	s_waitcnt vmcnt(2)
	v_cndmask_b32_e32 v32, v32, v29, vcc
	v_cmp_eq_u32_e32 vcc, 28, v0
	s_waitcnt vmcnt(1)
	v_cndmask_b32_e32 v32, v32, v30, vcc
	v_cmp_eq_u32_e32 vcc, 29, v0
	s_waitcnt vmcnt(0)
	v_cndmask_b32_e32 v32, v32, v31, vcc
	s_waitcnt lgkmcnt(0)
	v_mul_f32_e32 v35, v32, v33
	s_cbranch_execz .LBB29_514
	s_branch .LBB29_515
.LBB29_513:
                                        ; implicit-def: $vgpr35
.LBB29_514:
	ds_read_b32 v35, v124
.LBB29_515:
	v_cmp_ne_u32_e32 vcc, 7, v0
	s_and_saveexec_b64 s[14:15], vcc
	s_cbranch_execz .LBB29_519
; %bb.516:
	v_mov_b32_e32 v32, 0x84
	v_lshl_add_u32 v36, v0, 2, v32
	v_mov_b32_e32 v33, v1
	s_mov_b64 s[16:17], 0
	v_mov_b32_e32 v32, v0
.LBB29_517:                             ; =>This Inner Loop Header: Depth=1
	v_add_co_u32_e32 v32, vcc, 1, v32
	v_addc_co_u32_e32 v33, vcc, 0, v33, vcc
	v_cmp_eq_u32_e32 vcc, 1, v32
	s_waitcnt vmcnt(5)
	v_cndmask_b32_e32 v38, v2, v3, vcc
	v_cmp_lt_u32_e32 vcc, 6, v32
	v_cmp_eq_u32_e64 s[10:11], 2, v32
	v_cndmask_b32_e64 v38, v38, v4, s[10:11]
	s_or_b64 s[16:17], vcc, s[16:17]
	v_cmp_eq_u32_e32 vcc, 3, v32
	v_cndmask_b32_e32 v38, v38, v5, vcc
	v_cmp_eq_u32_e32 vcc, 4, v32
	v_cndmask_b32_e32 v38, v38, v6, vcc
	;; [unrolled: 2-line block ×22, first 2 shown]
	v_cmp_eq_u32_e32 vcc, 25, v32
	ds_read_b32 v37, v36
	s_waitcnt vmcnt(4)
	v_cndmask_b32_e32 v38, v38, v27, vcc
	v_cmp_eq_u32_e32 vcc, 26, v32
	s_waitcnt vmcnt(3)
	v_cndmask_b32_e32 v38, v38, v28, vcc
	v_cmp_eq_u32_e32 vcc, 27, v32
	;; [unrolled: 3-line block ×4, first 2 shown]
	s_waitcnt vmcnt(0)
	v_cndmask_b32_e32 v38, v38, v31, vcc
	v_add_u32_e32 v36, 4, v36
	s_waitcnt lgkmcnt(0)
	v_fmac_f32_e32 v35, v38, v37
	s_andn2_b64 exec, exec, s[16:17]
	s_cbranch_execnz .LBB29_517
; %bb.518:
	s_or_b64 exec, exec, s[16:17]
.LBB29_519:
	s_or_b64 exec, exec, s[14:15]
	v_mov_b32_e32 v10, 0
	ds_read_b32 v10, v10 offset:32
	s_waitcnt lgkmcnt(0)
	v_mul_f32_e32 v10, v35, v10
.LBB29_520:
	s_or_b64 exec, exec, s[12:13]
	v_cmp_gt_u32_e32 vcc, 9, v0
	s_waitcnt vmcnt(21)
	ds_write_b32 v124, v11
	s_waitcnt lgkmcnt(0)
	; wave barrier
	s_and_saveexec_b64 s[10:11], vcc
	s_cbranch_execz .LBB29_542
; %bb.521:
	s_and_b64 vcc, exec, s[0:1]
	s_cbranch_vccnz .LBB29_523
; %bb.522:
	v_cmp_eq_u32_e32 vcc, 1, v0
	s_waitcnt vmcnt(5)
	v_cndmask_b32_e32 v32, v2, v3, vcc
	v_cmp_eq_u32_e32 vcc, 2, v0
	v_cndmask_b32_e32 v32, v32, v4, vcc
	v_cmp_eq_u32_e32 vcc, 3, v0
	v_cndmask_b32_e32 v32, v32, v5, vcc
	v_cmp_eq_u32_e32 vcc, 4, v0
	v_cndmask_b32_e32 v32, v32, v6, vcc
	v_cmp_eq_u32_e32 vcc, 5, v0
	v_cndmask_b32_e32 v32, v32, v7, vcc
	v_cmp_eq_u32_e32 vcc, 6, v0
	v_cndmask_b32_e32 v32, v32, v8, vcc
	v_cmp_eq_u32_e32 vcc, 7, v0
	v_cndmask_b32_e32 v32, v32, v9, vcc
	v_cmp_eq_u32_e32 vcc, 8, v0
	v_cndmask_b32_e32 v32, v32, v10, vcc
	v_cmp_eq_u32_e32 vcc, 9, v0
	v_cndmask_b32_e32 v32, v32, v11, vcc
	v_cmp_eq_u32_e32 vcc, 10, v0
	v_cndmask_b32_e32 v32, v32, v12, vcc
	v_cmp_eq_u32_e32 vcc, 11, v0
	v_cndmask_b32_e32 v32, v32, v13, vcc
	v_cmp_eq_u32_e32 vcc, 12, v0
	v_cndmask_b32_e32 v32, v32, v14, vcc
	v_cmp_eq_u32_e32 vcc, 13, v0
	v_cndmask_b32_e32 v32, v32, v15, vcc
	v_cmp_eq_u32_e32 vcc, 14, v0
	v_cndmask_b32_e32 v32, v32, v16, vcc
	v_cmp_eq_u32_e32 vcc, 15, v0
	v_cndmask_b32_e32 v32, v32, v17, vcc
	v_cmp_eq_u32_e32 vcc, 16, v0
	v_cndmask_b32_e32 v32, v32, v18, vcc
	v_cmp_eq_u32_e32 vcc, 17, v0
	v_cndmask_b32_e32 v32, v32, v19, vcc
	v_cmp_eq_u32_e32 vcc, 18, v0
	v_cndmask_b32_e32 v32, v32, v20, vcc
	v_cmp_eq_u32_e32 vcc, 19, v0
	v_cndmask_b32_e32 v32, v32, v21, vcc
	v_cmp_eq_u32_e32 vcc, 20, v0
	v_cndmask_b32_e32 v32, v32, v22, vcc
	v_cmp_eq_u32_e32 vcc, 21, v0
	v_cndmask_b32_e32 v32, v32, v23, vcc
	v_cmp_eq_u32_e32 vcc, 22, v0
	v_cndmask_b32_e32 v32, v32, v24, vcc
	v_cmp_eq_u32_e32 vcc, 23, v0
	v_cndmask_b32_e32 v32, v32, v25, vcc
	v_cmp_eq_u32_e32 vcc, 24, v0
	v_cndmask_b32_e32 v32, v32, v26, vcc
	v_cmp_eq_u32_e32 vcc, 25, v0
	s_waitcnt vmcnt(4)
	v_cndmask_b32_e32 v32, v32, v27, vcc
	v_cmp_eq_u32_e32 vcc, 26, v0
	ds_read_b32 v33, v124
	s_waitcnt vmcnt(3)
	v_cndmask_b32_e32 v32, v32, v28, vcc
	v_cmp_eq_u32_e32 vcc, 27, v0
	s_waitcnt vmcnt(2)
	v_cndmask_b32_e32 v32, v32, v29, vcc
	v_cmp_eq_u32_e32 vcc, 28, v0
	;; [unrolled: 3-line block ×3, first 2 shown]
	s_waitcnt vmcnt(0)
	v_cndmask_b32_e32 v32, v32, v31, vcc
	s_waitcnt lgkmcnt(0)
	v_mul_f32_e32 v32, v32, v33
	s_cbranch_execz .LBB29_524
	s_branch .LBB29_525
.LBB29_523:
                                        ; implicit-def: $vgpr32
.LBB29_524:
	ds_read_b32 v32, v124
.LBB29_525:
	v_cmp_ne_u32_e32 vcc, 8, v0
	s_and_saveexec_b64 s[12:13], vcc
	s_cbranch_execz .LBB29_541
; %bb.526:
	v_cmp_eq_u32_e32 vcc, 1, v34
	s_waitcnt vmcnt(5)
	v_cndmask_b32_e32 v33, v2, v3, vcc
	v_cmp_eq_u32_e32 vcc, 2, v34
	v_cndmask_b32_e32 v33, v33, v4, vcc
	v_cmp_eq_u32_e32 vcc, 3, v34
	;; [unrolled: 2-line block ×24, first 2 shown]
	s_waitcnt vmcnt(4)
	v_cndmask_b32_e32 v33, v33, v27, vcc
	v_cmp_eq_u32_e32 vcc, 26, v34
	ds_read_b32 v35, v124 offset:4
	s_waitcnt vmcnt(3)
	v_cndmask_b32_e32 v33, v33, v28, vcc
	v_cmp_eq_u32_e32 vcc, 27, v34
	s_waitcnt vmcnt(2)
	v_cndmask_b32_e32 v33, v33, v29, vcc
	v_cmp_eq_u32_e32 vcc, 28, v34
	;; [unrolled: 3-line block ×3, first 2 shown]
	s_waitcnt vmcnt(0)
	v_cndmask_b32_e32 v33, v33, v31, vcc
	s_waitcnt lgkmcnt(0)
	v_fmac_f32_e32 v32, v33, v35
	s_and_saveexec_b64 s[14:15], s[8:9]
	s_cbranch_execz .LBB29_540
; %bb.527:
	v_add_u32_e32 v33, 2, v0
	v_cmp_eq_u32_e32 vcc, 1, v33
	v_cndmask_b32_e32 v34, v2, v3, vcc
	v_cmp_eq_u32_e32 vcc, 2, v33
	v_cndmask_b32_e32 v34, v34, v4, vcc
	;; [unrolled: 2-line block ×25, first 2 shown]
	v_cmp_eq_u32_e32 vcc, 26, v33
	ds_read_b32 v35, v124 offset:8
	v_cndmask_b32_e32 v34, v34, v28, vcc
	v_cmp_eq_u32_e32 vcc, 27, v33
	v_cndmask_b32_e32 v34, v34, v29, vcc
	v_cmp_eq_u32_e32 vcc, 28, v33
	;; [unrolled: 2-line block ×3, first 2 shown]
	v_cndmask_b32_e32 v33, v34, v31, vcc
	s_waitcnt lgkmcnt(0)
	v_fmac_f32_e32 v32, v33, v35
	v_cmp_ne_u32_e32 vcc, 6, v0
	s_and_saveexec_b64 s[8:9], vcc
	s_cbranch_execz .LBB29_539
; %bb.528:
	v_add_u32_e32 v33, 3, v0
	v_cmp_eq_u32_e32 vcc, 1, v33
	v_cndmask_b32_e32 v34, v2, v3, vcc
	v_cmp_eq_u32_e32 vcc, 2, v33
	v_cndmask_b32_e32 v34, v34, v4, vcc
	;; [unrolled: 2-line block ×25, first 2 shown]
	v_cmp_eq_u32_e32 vcc, 26, v33
	ds_read_b32 v35, v124 offset:12
	v_cndmask_b32_e32 v34, v34, v28, vcc
	v_cmp_eq_u32_e32 vcc, 27, v33
	v_cndmask_b32_e32 v34, v34, v29, vcc
	v_cmp_eq_u32_e32 vcc, 28, v33
	;; [unrolled: 2-line block ×3, first 2 shown]
	v_cndmask_b32_e32 v33, v34, v31, vcc
	s_waitcnt lgkmcnt(0)
	v_fmac_f32_e32 v32, v33, v35
	s_and_saveexec_b64 s[16:17], s[6:7]
	s_cbranch_execz .LBB29_538
; %bb.529:
	v_add_u32_e32 v33, 4, v0
	v_cmp_eq_u32_e32 vcc, 1, v33
	v_cndmask_b32_e32 v34, v2, v3, vcc
	v_cmp_eq_u32_e32 vcc, 2, v33
	v_cndmask_b32_e32 v34, v34, v4, vcc
	;; [unrolled: 2-line block ×25, first 2 shown]
	v_cmp_eq_u32_e32 vcc, 26, v33
	ds_read_b32 v35, v124 offset:16
	v_cndmask_b32_e32 v34, v34, v28, vcc
	v_cmp_eq_u32_e32 vcc, 27, v33
	v_cndmask_b32_e32 v34, v34, v29, vcc
	v_cmp_eq_u32_e32 vcc, 28, v33
	;; [unrolled: 2-line block ×3, first 2 shown]
	v_cndmask_b32_e32 v33, v34, v31, vcc
	s_waitcnt lgkmcnt(0)
	v_fmac_f32_e32 v32, v33, v35
	v_cmp_ne_u32_e32 vcc, 4, v0
	s_and_saveexec_b64 s[6:7], vcc
	s_cbranch_execz .LBB29_537
; %bb.530:
	v_add_u32_e32 v33, 5, v0
	v_cmp_eq_u32_e32 vcc, 1, v33
	v_cndmask_b32_e32 v34, v2, v3, vcc
	v_cmp_eq_u32_e32 vcc, 2, v33
	v_cndmask_b32_e32 v34, v34, v4, vcc
	;; [unrolled: 2-line block ×25, first 2 shown]
	v_cmp_eq_u32_e32 vcc, 26, v33
	ds_read_b32 v35, v124 offset:20
	v_cndmask_b32_e32 v34, v34, v28, vcc
	v_cmp_eq_u32_e32 vcc, 27, v33
	v_cndmask_b32_e32 v34, v34, v29, vcc
	v_cmp_eq_u32_e32 vcc, 28, v33
	;; [unrolled: 2-line block ×3, first 2 shown]
	v_cndmask_b32_e32 v33, v34, v31, vcc
	s_waitcnt lgkmcnt(0)
	v_fmac_f32_e32 v32, v33, v35
	s_and_saveexec_b64 s[18:19], s[4:5]
	s_cbranch_execz .LBB29_536
; %bb.531:
	v_add_u32_e32 v33, 6, v0
	v_cmp_eq_u32_e32 vcc, 1, v33
	v_cndmask_b32_e32 v34, v2, v3, vcc
	v_cmp_eq_u32_e32 vcc, 2, v33
	v_cndmask_b32_e32 v34, v34, v4, vcc
	;; [unrolled: 2-line block ×25, first 2 shown]
	v_cmp_eq_u32_e32 vcc, 26, v33
	ds_read_b32 v35, v124 offset:24
	v_cndmask_b32_e32 v34, v34, v28, vcc
	v_cmp_eq_u32_e32 vcc, 27, v33
	v_cndmask_b32_e32 v34, v34, v29, vcc
	v_cmp_eq_u32_e32 vcc, 28, v33
	;; [unrolled: 2-line block ×3, first 2 shown]
	v_cndmask_b32_e32 v33, v34, v31, vcc
	s_waitcnt lgkmcnt(0)
	v_fmac_f32_e32 v32, v33, v35
	v_cmp_ne_u32_e32 vcc, 2, v0
	s_and_saveexec_b64 s[4:5], vcc
	s_cbranch_execz .LBB29_535
; %bb.532:
	v_add_u32_e32 v33, 7, v0
	v_cmp_eq_u32_e32 vcc, 1, v33
	v_cndmask_b32_e32 v34, v2, v3, vcc
	v_cmp_eq_u32_e32 vcc, 2, v33
	v_cndmask_b32_e32 v34, v34, v4, vcc
	v_cmp_eq_u32_e32 vcc, 3, v33
	v_cndmask_b32_e32 v34, v34, v5, vcc
	v_cmp_eq_u32_e32 vcc, 4, v33
	v_cndmask_b32_e32 v34, v34, v6, vcc
	v_cmp_eq_u32_e32 vcc, 5, v33
	v_cndmask_b32_e32 v34, v34, v7, vcc
	v_cmp_eq_u32_e32 vcc, 6, v33
	v_cndmask_b32_e32 v34, v34, v8, vcc
	v_cmp_eq_u32_e32 vcc, 7, v33
	v_cndmask_b32_e32 v34, v34, v9, vcc
	v_cmp_eq_u32_e32 vcc, 8, v33
	v_cndmask_b32_e32 v34, v34, v10, vcc
	v_cmp_eq_u32_e32 vcc, 9, v33
	v_cndmask_b32_e32 v11, v34, v11, vcc
	v_cmp_eq_u32_e32 vcc, 10, v33
	v_cndmask_b32_e32 v11, v11, v12, vcc
	v_cmp_eq_u32_e32 vcc, 11, v33
	v_cndmask_b32_e32 v11, v11, v13, vcc
	v_cmp_eq_u32_e32 vcc, 12, v33
	v_cndmask_b32_e32 v11, v11, v14, vcc
	v_cmp_eq_u32_e32 vcc, 13, v33
	v_cndmask_b32_e32 v11, v11, v15, vcc
	v_cmp_eq_u32_e32 vcc, 14, v33
	v_cndmask_b32_e32 v11, v11, v16, vcc
	v_cmp_eq_u32_e32 vcc, 15, v33
	v_cndmask_b32_e32 v11, v11, v17, vcc
	v_cmp_eq_u32_e32 vcc, 16, v33
	v_cndmask_b32_e32 v11, v11, v18, vcc
	v_cmp_eq_u32_e32 vcc, 17, v33
	v_cndmask_b32_e32 v11, v11, v19, vcc
	v_cmp_eq_u32_e32 vcc, 18, v33
	v_cndmask_b32_e32 v11, v11, v20, vcc
	v_cmp_eq_u32_e32 vcc, 19, v33
	v_cndmask_b32_e32 v11, v11, v21, vcc
	v_cmp_eq_u32_e32 vcc, 20, v33
	v_cndmask_b32_e32 v11, v11, v22, vcc
	v_cmp_eq_u32_e32 vcc, 21, v33
	v_cndmask_b32_e32 v11, v11, v23, vcc
	v_cmp_eq_u32_e32 vcc, 22, v33
	v_cndmask_b32_e32 v11, v11, v24, vcc
	v_cmp_eq_u32_e32 vcc, 23, v33
	v_cndmask_b32_e32 v11, v11, v25, vcc
	v_cmp_eq_u32_e32 vcc, 24, v33
	v_cndmask_b32_e32 v11, v11, v26, vcc
	v_cmp_eq_u32_e32 vcc, 25, v33
	v_cndmask_b32_e32 v11, v11, v27, vcc
	v_cmp_eq_u32_e32 vcc, 26, v33
	ds_read_b32 v34, v124 offset:28
	v_cndmask_b32_e32 v11, v11, v28, vcc
	v_cmp_eq_u32_e32 vcc, 27, v33
	v_cndmask_b32_e32 v11, v11, v29, vcc
	v_cmp_eq_u32_e32 vcc, 28, v33
	;; [unrolled: 2-line block ×3, first 2 shown]
	v_cndmask_b32_e32 v11, v11, v31, vcc
	s_waitcnt lgkmcnt(0)
	v_fmac_f32_e32 v32, v11, v34
	s_and_saveexec_b64 s[20:21], s[2:3]
	s_cbranch_execz .LBB29_534
; %bb.533:
	ds_read_b32 v11, v124 offset:32
	s_waitcnt lgkmcnt(0)
	v_fmac_f32_e32 v32, v10, v11
.LBB29_534:
	s_or_b64 exec, exec, s[20:21]
.LBB29_535:
	s_or_b64 exec, exec, s[4:5]
.LBB29_536:
	s_or_b64 exec, exec, s[18:19]
.LBB29_537:
	s_or_b64 exec, exec, s[6:7]
.LBB29_538:
	s_or_b64 exec, exec, s[16:17]
.LBB29_539:
	s_or_b64 exec, exec, s[8:9]
.LBB29_540:
	s_or_b64 exec, exec, s[14:15]
.LBB29_541:
	s_or_b64 exec, exec, s[12:13]
	v_mov_b32_e32 v11, 0
	ds_read_b32 v11, v11 offset:36
	s_waitcnt lgkmcnt(0)
	v_mul_f32_e32 v11, v32, v11
.LBB29_542:
	s_or_b64 exec, exec, s[10:11]
	v_cmp_gt_u32_e32 vcc, 10, v0
	s_waitcnt vmcnt(20)
	ds_write_b32 v124, v12
	s_waitcnt lgkmcnt(0)
	; wave barrier
	s_and_saveexec_b64 s[4:5], vcc
	s_cbranch_execz .LBB29_552
; %bb.543:
	s_and_b64 vcc, exec, s[0:1]
	s_cbranch_vccnz .LBB29_545
; %bb.544:
	v_cmp_eq_u32_e32 vcc, 1, v0
	s_waitcnt vmcnt(5)
	v_cndmask_b32_e32 v32, v2, v3, vcc
	v_cmp_eq_u32_e32 vcc, 2, v0
	v_cndmask_b32_e32 v32, v32, v4, vcc
	v_cmp_eq_u32_e32 vcc, 3, v0
	;; [unrolled: 2-line block ×24, first 2 shown]
	s_waitcnt vmcnt(4)
	v_cndmask_b32_e32 v32, v32, v27, vcc
	v_cmp_eq_u32_e32 vcc, 26, v0
	ds_read_b32 v33, v124
	s_waitcnt vmcnt(3)
	v_cndmask_b32_e32 v32, v32, v28, vcc
	v_cmp_eq_u32_e32 vcc, 27, v0
	s_waitcnt vmcnt(2)
	v_cndmask_b32_e32 v32, v32, v29, vcc
	v_cmp_eq_u32_e32 vcc, 28, v0
	;; [unrolled: 3-line block ×3, first 2 shown]
	s_waitcnt vmcnt(0)
	v_cndmask_b32_e32 v32, v32, v31, vcc
	s_waitcnt lgkmcnt(0)
	v_mul_f32_e32 v34, v32, v33
	s_cbranch_execz .LBB29_546
	s_branch .LBB29_547
.LBB29_545:
                                        ; implicit-def: $vgpr34
.LBB29_546:
	ds_read_b32 v34, v124
.LBB29_547:
	v_cmp_ne_u32_e32 vcc, 9, v0
	s_and_saveexec_b64 s[6:7], vcc
	s_cbranch_execz .LBB29_551
; %bb.548:
	v_mov_b32_e32 v32, 0x84
	v_lshl_add_u32 v35, v0, 2, v32
	v_mov_b32_e32 v33, v1
	s_mov_b64 s[8:9], 0
	v_mov_b32_e32 v32, v0
.LBB29_549:                             ; =>This Inner Loop Header: Depth=1
	v_add_co_u32_e32 v32, vcc, 1, v32
	v_addc_co_u32_e32 v33, vcc, 0, v33, vcc
	v_cmp_eq_u32_e32 vcc, 1, v32
	s_waitcnt vmcnt(5)
	v_cndmask_b32_e32 v37, v2, v3, vcc
	v_cmp_lt_u32_e32 vcc, 8, v32
	v_cmp_eq_u32_e64 s[2:3], 2, v32
	v_cndmask_b32_e64 v37, v37, v4, s[2:3]
	s_or_b64 s[8:9], vcc, s[8:9]
	v_cmp_eq_u32_e32 vcc, 3, v32
	v_cndmask_b32_e32 v37, v37, v5, vcc
	v_cmp_eq_u32_e32 vcc, 4, v32
	v_cndmask_b32_e32 v37, v37, v6, vcc
	;; [unrolled: 2-line block ×22, first 2 shown]
	v_cmp_eq_u32_e32 vcc, 25, v32
	ds_read_b32 v36, v35
	s_waitcnt vmcnt(4)
	v_cndmask_b32_e32 v37, v37, v27, vcc
	v_cmp_eq_u32_e32 vcc, 26, v32
	s_waitcnt vmcnt(3)
	v_cndmask_b32_e32 v37, v37, v28, vcc
	v_cmp_eq_u32_e32 vcc, 27, v32
	;; [unrolled: 3-line block ×4, first 2 shown]
	s_waitcnt vmcnt(0)
	v_cndmask_b32_e32 v37, v37, v31, vcc
	v_add_u32_e32 v35, 4, v35
	s_waitcnt lgkmcnt(0)
	v_fmac_f32_e32 v34, v37, v36
	s_andn2_b64 exec, exec, s[8:9]
	s_cbranch_execnz .LBB29_549
; %bb.550:
	s_or_b64 exec, exec, s[8:9]
.LBB29_551:
	s_or_b64 exec, exec, s[6:7]
	v_mov_b32_e32 v12, 0
	ds_read_b32 v12, v12 offset:40
	s_waitcnt lgkmcnt(0)
	v_mul_f32_e32 v12, v34, v12
.LBB29_552:
	s_or_b64 exec, exec, s[4:5]
	v_cmp_gt_u32_e32 vcc, 11, v0
	s_waitcnt vmcnt(19)
	ds_write_b32 v124, v13
	s_waitcnt lgkmcnt(0)
	; wave barrier
	s_and_saveexec_b64 s[4:5], vcc
	s_cbranch_execz .LBB29_562
; %bb.553:
	s_and_b64 vcc, exec, s[0:1]
	s_cbranch_vccnz .LBB29_555
; %bb.554:
	v_cmp_eq_u32_e32 vcc, 1, v0
	s_waitcnt vmcnt(5)
	v_cndmask_b32_e32 v32, v2, v3, vcc
	v_cmp_eq_u32_e32 vcc, 2, v0
	v_cndmask_b32_e32 v32, v32, v4, vcc
	v_cmp_eq_u32_e32 vcc, 3, v0
	;; [unrolled: 2-line block ×24, first 2 shown]
	s_waitcnt vmcnt(4)
	v_cndmask_b32_e32 v32, v32, v27, vcc
	v_cmp_eq_u32_e32 vcc, 26, v0
	ds_read_b32 v33, v124
	s_waitcnt vmcnt(3)
	v_cndmask_b32_e32 v32, v32, v28, vcc
	v_cmp_eq_u32_e32 vcc, 27, v0
	s_waitcnt vmcnt(2)
	v_cndmask_b32_e32 v32, v32, v29, vcc
	v_cmp_eq_u32_e32 vcc, 28, v0
	;; [unrolled: 3-line block ×3, first 2 shown]
	s_waitcnt vmcnt(0)
	v_cndmask_b32_e32 v32, v32, v31, vcc
	s_waitcnt lgkmcnt(0)
	v_mul_f32_e32 v34, v32, v33
	s_cbranch_execz .LBB29_556
	s_branch .LBB29_557
.LBB29_555:
                                        ; implicit-def: $vgpr34
.LBB29_556:
	ds_read_b32 v34, v124
.LBB29_557:
	v_cmp_ne_u32_e32 vcc, 10, v0
	s_and_saveexec_b64 s[6:7], vcc
	s_cbranch_execz .LBB29_561
; %bb.558:
	v_mov_b32_e32 v32, 0x84
	v_lshl_add_u32 v35, v0, 2, v32
	v_mov_b32_e32 v33, v1
	s_mov_b64 s[8:9], 0
	v_mov_b32_e32 v32, v0
.LBB29_559:                             ; =>This Inner Loop Header: Depth=1
	v_add_co_u32_e32 v32, vcc, 1, v32
	v_addc_co_u32_e32 v33, vcc, 0, v33, vcc
	v_cmp_eq_u32_e32 vcc, 1, v32
	s_waitcnt vmcnt(5)
	v_cndmask_b32_e32 v37, v2, v3, vcc
	v_cmp_lt_u32_e32 vcc, 9, v32
	v_cmp_eq_u32_e64 s[2:3], 2, v32
	v_cndmask_b32_e64 v37, v37, v4, s[2:3]
	s_or_b64 s[8:9], vcc, s[8:9]
	v_cmp_eq_u32_e32 vcc, 3, v32
	v_cndmask_b32_e32 v37, v37, v5, vcc
	v_cmp_eq_u32_e32 vcc, 4, v32
	v_cndmask_b32_e32 v37, v37, v6, vcc
	;; [unrolled: 2-line block ×22, first 2 shown]
	v_cmp_eq_u32_e32 vcc, 25, v32
	ds_read_b32 v36, v35
	s_waitcnt vmcnt(4)
	v_cndmask_b32_e32 v37, v37, v27, vcc
	v_cmp_eq_u32_e32 vcc, 26, v32
	s_waitcnt vmcnt(3)
	v_cndmask_b32_e32 v37, v37, v28, vcc
	v_cmp_eq_u32_e32 vcc, 27, v32
	;; [unrolled: 3-line block ×4, first 2 shown]
	s_waitcnt vmcnt(0)
	v_cndmask_b32_e32 v37, v37, v31, vcc
	v_add_u32_e32 v35, 4, v35
	s_waitcnt lgkmcnt(0)
	v_fmac_f32_e32 v34, v37, v36
	s_andn2_b64 exec, exec, s[8:9]
	s_cbranch_execnz .LBB29_559
; %bb.560:
	s_or_b64 exec, exec, s[8:9]
.LBB29_561:
	s_or_b64 exec, exec, s[6:7]
	v_mov_b32_e32 v13, 0
	ds_read_b32 v13, v13 offset:44
	s_waitcnt lgkmcnt(0)
	v_mul_f32_e32 v13, v34, v13
.LBB29_562:
	s_or_b64 exec, exec, s[4:5]
	v_cmp_gt_u32_e32 vcc, 12, v0
	s_waitcnt vmcnt(18)
	ds_write_b32 v124, v14
	s_waitcnt lgkmcnt(0)
	; wave barrier
	s_and_saveexec_b64 s[4:5], vcc
	s_cbranch_execz .LBB29_572
; %bb.563:
	s_and_b64 vcc, exec, s[0:1]
	s_cbranch_vccnz .LBB29_565
; %bb.564:
	v_cmp_eq_u32_e32 vcc, 1, v0
	s_waitcnt vmcnt(5)
	v_cndmask_b32_e32 v32, v2, v3, vcc
	v_cmp_eq_u32_e32 vcc, 2, v0
	v_cndmask_b32_e32 v32, v32, v4, vcc
	v_cmp_eq_u32_e32 vcc, 3, v0
	;; [unrolled: 2-line block ×24, first 2 shown]
	s_waitcnt vmcnt(4)
	v_cndmask_b32_e32 v32, v32, v27, vcc
	v_cmp_eq_u32_e32 vcc, 26, v0
	ds_read_b32 v33, v124
	s_waitcnt vmcnt(3)
	v_cndmask_b32_e32 v32, v32, v28, vcc
	v_cmp_eq_u32_e32 vcc, 27, v0
	s_waitcnt vmcnt(2)
	v_cndmask_b32_e32 v32, v32, v29, vcc
	v_cmp_eq_u32_e32 vcc, 28, v0
	;; [unrolled: 3-line block ×3, first 2 shown]
	s_waitcnt vmcnt(0)
	v_cndmask_b32_e32 v32, v32, v31, vcc
	s_waitcnt lgkmcnt(0)
	v_mul_f32_e32 v34, v32, v33
	s_cbranch_execz .LBB29_566
	s_branch .LBB29_567
.LBB29_565:
                                        ; implicit-def: $vgpr34
.LBB29_566:
	ds_read_b32 v34, v124
.LBB29_567:
	v_cmp_ne_u32_e32 vcc, 11, v0
	s_and_saveexec_b64 s[6:7], vcc
	s_cbranch_execz .LBB29_571
; %bb.568:
	v_mov_b32_e32 v32, 0x84
	v_lshl_add_u32 v35, v0, 2, v32
	v_mov_b32_e32 v33, v1
	s_mov_b64 s[8:9], 0
	v_mov_b32_e32 v32, v0
.LBB29_569:                             ; =>This Inner Loop Header: Depth=1
	v_add_co_u32_e32 v32, vcc, 1, v32
	v_addc_co_u32_e32 v33, vcc, 0, v33, vcc
	v_cmp_eq_u32_e32 vcc, 1, v32
	s_waitcnt vmcnt(5)
	v_cndmask_b32_e32 v37, v2, v3, vcc
	v_cmp_lt_u32_e32 vcc, 10, v32
	v_cmp_eq_u32_e64 s[2:3], 2, v32
	v_cndmask_b32_e64 v37, v37, v4, s[2:3]
	s_or_b64 s[8:9], vcc, s[8:9]
	v_cmp_eq_u32_e32 vcc, 3, v32
	v_cndmask_b32_e32 v37, v37, v5, vcc
	v_cmp_eq_u32_e32 vcc, 4, v32
	v_cndmask_b32_e32 v37, v37, v6, vcc
	;; [unrolled: 2-line block ×22, first 2 shown]
	v_cmp_eq_u32_e32 vcc, 25, v32
	ds_read_b32 v36, v35
	s_waitcnt vmcnt(4)
	v_cndmask_b32_e32 v37, v37, v27, vcc
	v_cmp_eq_u32_e32 vcc, 26, v32
	s_waitcnt vmcnt(3)
	v_cndmask_b32_e32 v37, v37, v28, vcc
	v_cmp_eq_u32_e32 vcc, 27, v32
	;; [unrolled: 3-line block ×4, first 2 shown]
	s_waitcnt vmcnt(0)
	v_cndmask_b32_e32 v37, v37, v31, vcc
	v_add_u32_e32 v35, 4, v35
	s_waitcnt lgkmcnt(0)
	v_fmac_f32_e32 v34, v37, v36
	s_andn2_b64 exec, exec, s[8:9]
	s_cbranch_execnz .LBB29_569
; %bb.570:
	s_or_b64 exec, exec, s[8:9]
.LBB29_571:
	s_or_b64 exec, exec, s[6:7]
	v_mov_b32_e32 v14, 0
	ds_read_b32 v14, v14 offset:48
	s_waitcnt lgkmcnt(0)
	v_mul_f32_e32 v14, v34, v14
.LBB29_572:
	s_or_b64 exec, exec, s[4:5]
	v_cmp_gt_u32_e32 vcc, 13, v0
	s_waitcnt vmcnt(17)
	ds_write_b32 v124, v15
	s_waitcnt lgkmcnt(0)
	; wave barrier
	s_and_saveexec_b64 s[4:5], vcc
	s_cbranch_execz .LBB29_582
; %bb.573:
	s_and_b64 vcc, exec, s[0:1]
	s_cbranch_vccnz .LBB29_575
; %bb.574:
	v_cmp_eq_u32_e32 vcc, 1, v0
	s_waitcnt vmcnt(5)
	v_cndmask_b32_e32 v32, v2, v3, vcc
	v_cmp_eq_u32_e32 vcc, 2, v0
	v_cndmask_b32_e32 v32, v32, v4, vcc
	v_cmp_eq_u32_e32 vcc, 3, v0
	;; [unrolled: 2-line block ×24, first 2 shown]
	s_waitcnt vmcnt(4)
	v_cndmask_b32_e32 v32, v32, v27, vcc
	v_cmp_eq_u32_e32 vcc, 26, v0
	ds_read_b32 v33, v124
	s_waitcnt vmcnt(3)
	v_cndmask_b32_e32 v32, v32, v28, vcc
	v_cmp_eq_u32_e32 vcc, 27, v0
	s_waitcnt vmcnt(2)
	v_cndmask_b32_e32 v32, v32, v29, vcc
	v_cmp_eq_u32_e32 vcc, 28, v0
	;; [unrolled: 3-line block ×3, first 2 shown]
	s_waitcnt vmcnt(0)
	v_cndmask_b32_e32 v32, v32, v31, vcc
	s_waitcnt lgkmcnt(0)
	v_mul_f32_e32 v34, v32, v33
	s_cbranch_execz .LBB29_576
	s_branch .LBB29_577
.LBB29_575:
                                        ; implicit-def: $vgpr34
.LBB29_576:
	ds_read_b32 v34, v124
.LBB29_577:
	v_cmp_ne_u32_e32 vcc, 12, v0
	s_and_saveexec_b64 s[6:7], vcc
	s_cbranch_execz .LBB29_581
; %bb.578:
	v_mov_b32_e32 v32, 0x84
	v_lshl_add_u32 v35, v0, 2, v32
	v_mov_b32_e32 v33, v1
	s_mov_b64 s[8:9], 0
	v_mov_b32_e32 v32, v0
.LBB29_579:                             ; =>This Inner Loop Header: Depth=1
	v_add_co_u32_e32 v32, vcc, 1, v32
	v_addc_co_u32_e32 v33, vcc, 0, v33, vcc
	v_cmp_eq_u32_e32 vcc, 1, v32
	s_waitcnt vmcnt(5)
	v_cndmask_b32_e32 v37, v2, v3, vcc
	v_cmp_lt_u32_e32 vcc, 11, v32
	v_cmp_eq_u32_e64 s[2:3], 2, v32
	v_cndmask_b32_e64 v37, v37, v4, s[2:3]
	s_or_b64 s[8:9], vcc, s[8:9]
	v_cmp_eq_u32_e32 vcc, 3, v32
	v_cndmask_b32_e32 v37, v37, v5, vcc
	v_cmp_eq_u32_e32 vcc, 4, v32
	v_cndmask_b32_e32 v37, v37, v6, vcc
	;; [unrolled: 2-line block ×22, first 2 shown]
	v_cmp_eq_u32_e32 vcc, 25, v32
	ds_read_b32 v36, v35
	s_waitcnt vmcnt(4)
	v_cndmask_b32_e32 v37, v37, v27, vcc
	v_cmp_eq_u32_e32 vcc, 26, v32
	s_waitcnt vmcnt(3)
	v_cndmask_b32_e32 v37, v37, v28, vcc
	v_cmp_eq_u32_e32 vcc, 27, v32
	;; [unrolled: 3-line block ×4, first 2 shown]
	s_waitcnt vmcnt(0)
	v_cndmask_b32_e32 v37, v37, v31, vcc
	v_add_u32_e32 v35, 4, v35
	s_waitcnt lgkmcnt(0)
	v_fmac_f32_e32 v34, v37, v36
	s_andn2_b64 exec, exec, s[8:9]
	s_cbranch_execnz .LBB29_579
; %bb.580:
	s_or_b64 exec, exec, s[8:9]
.LBB29_581:
	s_or_b64 exec, exec, s[6:7]
	v_mov_b32_e32 v15, 0
	ds_read_b32 v15, v15 offset:52
	s_waitcnt lgkmcnt(0)
	v_mul_f32_e32 v15, v34, v15
.LBB29_582:
	s_or_b64 exec, exec, s[4:5]
	v_cmp_gt_u32_e32 vcc, 14, v0
	s_waitcnt vmcnt(16)
	ds_write_b32 v124, v16
	s_waitcnt lgkmcnt(0)
	; wave barrier
	s_and_saveexec_b64 s[4:5], vcc
	s_cbranch_execz .LBB29_592
; %bb.583:
	s_and_b64 vcc, exec, s[0:1]
	s_cbranch_vccnz .LBB29_585
; %bb.584:
	v_cmp_eq_u32_e32 vcc, 1, v0
	s_waitcnt vmcnt(5)
	v_cndmask_b32_e32 v32, v2, v3, vcc
	v_cmp_eq_u32_e32 vcc, 2, v0
	v_cndmask_b32_e32 v32, v32, v4, vcc
	v_cmp_eq_u32_e32 vcc, 3, v0
	;; [unrolled: 2-line block ×24, first 2 shown]
	s_waitcnt vmcnt(4)
	v_cndmask_b32_e32 v32, v32, v27, vcc
	v_cmp_eq_u32_e32 vcc, 26, v0
	ds_read_b32 v33, v124
	s_waitcnt vmcnt(3)
	v_cndmask_b32_e32 v32, v32, v28, vcc
	v_cmp_eq_u32_e32 vcc, 27, v0
	s_waitcnt vmcnt(2)
	v_cndmask_b32_e32 v32, v32, v29, vcc
	v_cmp_eq_u32_e32 vcc, 28, v0
	;; [unrolled: 3-line block ×3, first 2 shown]
	s_waitcnt vmcnt(0)
	v_cndmask_b32_e32 v32, v32, v31, vcc
	s_waitcnt lgkmcnt(0)
	v_mul_f32_e32 v34, v32, v33
	s_cbranch_execz .LBB29_586
	s_branch .LBB29_587
.LBB29_585:
                                        ; implicit-def: $vgpr34
.LBB29_586:
	ds_read_b32 v34, v124
.LBB29_587:
	v_cmp_ne_u32_e32 vcc, 13, v0
	s_and_saveexec_b64 s[6:7], vcc
	s_cbranch_execz .LBB29_591
; %bb.588:
	v_mov_b32_e32 v32, 0x84
	v_lshl_add_u32 v35, v0, 2, v32
	v_mov_b32_e32 v33, v1
	s_mov_b64 s[8:9], 0
	v_mov_b32_e32 v32, v0
.LBB29_589:                             ; =>This Inner Loop Header: Depth=1
	v_add_co_u32_e32 v32, vcc, 1, v32
	v_addc_co_u32_e32 v33, vcc, 0, v33, vcc
	v_cmp_eq_u32_e32 vcc, 1, v32
	s_waitcnt vmcnt(5)
	v_cndmask_b32_e32 v37, v2, v3, vcc
	v_cmp_lt_u32_e32 vcc, 12, v32
	v_cmp_eq_u32_e64 s[2:3], 2, v32
	v_cndmask_b32_e64 v37, v37, v4, s[2:3]
	s_or_b64 s[8:9], vcc, s[8:9]
	v_cmp_eq_u32_e32 vcc, 3, v32
	v_cndmask_b32_e32 v37, v37, v5, vcc
	v_cmp_eq_u32_e32 vcc, 4, v32
	v_cndmask_b32_e32 v37, v37, v6, vcc
	;; [unrolled: 2-line block ×22, first 2 shown]
	v_cmp_eq_u32_e32 vcc, 25, v32
	ds_read_b32 v36, v35
	s_waitcnt vmcnt(4)
	v_cndmask_b32_e32 v37, v37, v27, vcc
	v_cmp_eq_u32_e32 vcc, 26, v32
	s_waitcnt vmcnt(3)
	v_cndmask_b32_e32 v37, v37, v28, vcc
	v_cmp_eq_u32_e32 vcc, 27, v32
	;; [unrolled: 3-line block ×4, first 2 shown]
	s_waitcnt vmcnt(0)
	v_cndmask_b32_e32 v37, v37, v31, vcc
	v_add_u32_e32 v35, 4, v35
	s_waitcnt lgkmcnt(0)
	v_fmac_f32_e32 v34, v37, v36
	s_andn2_b64 exec, exec, s[8:9]
	s_cbranch_execnz .LBB29_589
; %bb.590:
	s_or_b64 exec, exec, s[8:9]
.LBB29_591:
	s_or_b64 exec, exec, s[6:7]
	v_mov_b32_e32 v16, 0
	ds_read_b32 v16, v16 offset:56
	s_waitcnt lgkmcnt(0)
	v_mul_f32_e32 v16, v34, v16
.LBB29_592:
	s_or_b64 exec, exec, s[4:5]
	v_cmp_gt_u32_e32 vcc, 15, v0
	s_waitcnt vmcnt(15)
	ds_write_b32 v124, v17
	s_waitcnt lgkmcnt(0)
	; wave barrier
	s_and_saveexec_b64 s[4:5], vcc
	s_cbranch_execz .LBB29_602
; %bb.593:
	s_and_b64 vcc, exec, s[0:1]
	s_cbranch_vccnz .LBB29_595
; %bb.594:
	v_cmp_eq_u32_e32 vcc, 1, v0
	s_waitcnt vmcnt(5)
	v_cndmask_b32_e32 v32, v2, v3, vcc
	v_cmp_eq_u32_e32 vcc, 2, v0
	v_cndmask_b32_e32 v32, v32, v4, vcc
	v_cmp_eq_u32_e32 vcc, 3, v0
	;; [unrolled: 2-line block ×24, first 2 shown]
	s_waitcnt vmcnt(4)
	v_cndmask_b32_e32 v32, v32, v27, vcc
	v_cmp_eq_u32_e32 vcc, 26, v0
	ds_read_b32 v33, v124
	s_waitcnt vmcnt(3)
	v_cndmask_b32_e32 v32, v32, v28, vcc
	v_cmp_eq_u32_e32 vcc, 27, v0
	s_waitcnt vmcnt(2)
	v_cndmask_b32_e32 v32, v32, v29, vcc
	v_cmp_eq_u32_e32 vcc, 28, v0
	;; [unrolled: 3-line block ×3, first 2 shown]
	s_waitcnt vmcnt(0)
	v_cndmask_b32_e32 v32, v32, v31, vcc
	s_waitcnt lgkmcnt(0)
	v_mul_f32_e32 v34, v32, v33
	s_cbranch_execz .LBB29_596
	s_branch .LBB29_597
.LBB29_595:
                                        ; implicit-def: $vgpr34
.LBB29_596:
	ds_read_b32 v34, v124
.LBB29_597:
	v_cmp_ne_u32_e32 vcc, 14, v0
	s_and_saveexec_b64 s[6:7], vcc
	s_cbranch_execz .LBB29_601
; %bb.598:
	v_mov_b32_e32 v32, 0x84
	v_lshl_add_u32 v35, v0, 2, v32
	v_mov_b32_e32 v33, v1
	s_mov_b64 s[8:9], 0
	v_mov_b32_e32 v32, v0
.LBB29_599:                             ; =>This Inner Loop Header: Depth=1
	v_add_co_u32_e32 v32, vcc, 1, v32
	v_addc_co_u32_e32 v33, vcc, 0, v33, vcc
	v_cmp_eq_u32_e32 vcc, 1, v32
	s_waitcnt vmcnt(5)
	v_cndmask_b32_e32 v37, v2, v3, vcc
	v_cmp_lt_u32_e32 vcc, 13, v32
	v_cmp_eq_u32_e64 s[2:3], 2, v32
	v_cndmask_b32_e64 v37, v37, v4, s[2:3]
	s_or_b64 s[8:9], vcc, s[8:9]
	v_cmp_eq_u32_e32 vcc, 3, v32
	v_cndmask_b32_e32 v37, v37, v5, vcc
	v_cmp_eq_u32_e32 vcc, 4, v32
	v_cndmask_b32_e32 v37, v37, v6, vcc
	;; [unrolled: 2-line block ×22, first 2 shown]
	v_cmp_eq_u32_e32 vcc, 25, v32
	ds_read_b32 v36, v35
	s_waitcnt vmcnt(4)
	v_cndmask_b32_e32 v37, v37, v27, vcc
	v_cmp_eq_u32_e32 vcc, 26, v32
	s_waitcnt vmcnt(3)
	v_cndmask_b32_e32 v37, v37, v28, vcc
	v_cmp_eq_u32_e32 vcc, 27, v32
	;; [unrolled: 3-line block ×4, first 2 shown]
	s_waitcnt vmcnt(0)
	v_cndmask_b32_e32 v37, v37, v31, vcc
	v_add_u32_e32 v35, 4, v35
	s_waitcnt lgkmcnt(0)
	v_fmac_f32_e32 v34, v37, v36
	s_andn2_b64 exec, exec, s[8:9]
	s_cbranch_execnz .LBB29_599
; %bb.600:
	s_or_b64 exec, exec, s[8:9]
.LBB29_601:
	s_or_b64 exec, exec, s[6:7]
	v_mov_b32_e32 v17, 0
	ds_read_b32 v17, v17 offset:60
	s_waitcnt lgkmcnt(0)
	v_mul_f32_e32 v17, v34, v17
.LBB29_602:
	s_or_b64 exec, exec, s[4:5]
	v_cmp_gt_u32_e32 vcc, 16, v0
	s_waitcnt vmcnt(14)
	ds_write_b32 v124, v18
	s_waitcnt lgkmcnt(0)
	; wave barrier
	s_and_saveexec_b64 s[4:5], vcc
	s_cbranch_execz .LBB29_612
; %bb.603:
	s_and_b64 vcc, exec, s[0:1]
	s_cbranch_vccnz .LBB29_605
; %bb.604:
	v_cmp_eq_u32_e32 vcc, 1, v0
	s_waitcnt vmcnt(5)
	v_cndmask_b32_e32 v32, v2, v3, vcc
	v_cmp_eq_u32_e32 vcc, 2, v0
	v_cndmask_b32_e32 v32, v32, v4, vcc
	v_cmp_eq_u32_e32 vcc, 3, v0
	;; [unrolled: 2-line block ×24, first 2 shown]
	s_waitcnt vmcnt(4)
	v_cndmask_b32_e32 v32, v32, v27, vcc
	v_cmp_eq_u32_e32 vcc, 26, v0
	ds_read_b32 v33, v124
	s_waitcnt vmcnt(3)
	v_cndmask_b32_e32 v32, v32, v28, vcc
	v_cmp_eq_u32_e32 vcc, 27, v0
	s_waitcnt vmcnt(2)
	v_cndmask_b32_e32 v32, v32, v29, vcc
	v_cmp_eq_u32_e32 vcc, 28, v0
	;; [unrolled: 3-line block ×3, first 2 shown]
	s_waitcnt vmcnt(0)
	v_cndmask_b32_e32 v32, v32, v31, vcc
	s_waitcnt lgkmcnt(0)
	v_mul_f32_e32 v34, v32, v33
	s_cbranch_execz .LBB29_606
	s_branch .LBB29_607
.LBB29_605:
                                        ; implicit-def: $vgpr34
.LBB29_606:
	ds_read_b32 v34, v124
.LBB29_607:
	v_cmp_ne_u32_e32 vcc, 15, v0
	s_and_saveexec_b64 s[6:7], vcc
	s_cbranch_execz .LBB29_611
; %bb.608:
	v_mov_b32_e32 v32, 0x84
	v_lshl_add_u32 v35, v0, 2, v32
	v_mov_b32_e32 v33, v1
	s_mov_b64 s[8:9], 0
	v_mov_b32_e32 v32, v0
.LBB29_609:                             ; =>This Inner Loop Header: Depth=1
	v_add_co_u32_e32 v32, vcc, 1, v32
	v_addc_co_u32_e32 v33, vcc, 0, v33, vcc
	v_cmp_eq_u32_e32 vcc, 1, v32
	s_waitcnt vmcnt(5)
	v_cndmask_b32_e32 v37, v2, v3, vcc
	v_cmp_lt_u32_e32 vcc, 14, v32
	v_cmp_eq_u32_e64 s[2:3], 2, v32
	v_cndmask_b32_e64 v37, v37, v4, s[2:3]
	s_or_b64 s[8:9], vcc, s[8:9]
	v_cmp_eq_u32_e32 vcc, 3, v32
	v_cndmask_b32_e32 v37, v37, v5, vcc
	v_cmp_eq_u32_e32 vcc, 4, v32
	v_cndmask_b32_e32 v37, v37, v6, vcc
	;; [unrolled: 2-line block ×22, first 2 shown]
	v_cmp_eq_u32_e32 vcc, 25, v32
	ds_read_b32 v36, v35
	s_waitcnt vmcnt(4)
	v_cndmask_b32_e32 v37, v37, v27, vcc
	v_cmp_eq_u32_e32 vcc, 26, v32
	s_waitcnt vmcnt(3)
	v_cndmask_b32_e32 v37, v37, v28, vcc
	v_cmp_eq_u32_e32 vcc, 27, v32
	;; [unrolled: 3-line block ×4, first 2 shown]
	s_waitcnt vmcnt(0)
	v_cndmask_b32_e32 v37, v37, v31, vcc
	v_add_u32_e32 v35, 4, v35
	s_waitcnt lgkmcnt(0)
	v_fmac_f32_e32 v34, v37, v36
	s_andn2_b64 exec, exec, s[8:9]
	s_cbranch_execnz .LBB29_609
; %bb.610:
	s_or_b64 exec, exec, s[8:9]
.LBB29_611:
	s_or_b64 exec, exec, s[6:7]
	v_mov_b32_e32 v18, 0
	ds_read_b32 v18, v18 offset:64
	s_waitcnt lgkmcnt(0)
	v_mul_f32_e32 v18, v34, v18
.LBB29_612:
	s_or_b64 exec, exec, s[4:5]
	v_cmp_gt_u32_e32 vcc, 17, v0
	s_waitcnt vmcnt(13)
	ds_write_b32 v124, v19
	s_waitcnt lgkmcnt(0)
	; wave barrier
	s_and_saveexec_b64 s[4:5], vcc
	s_cbranch_execz .LBB29_622
; %bb.613:
	s_and_b64 vcc, exec, s[0:1]
	s_cbranch_vccnz .LBB29_615
; %bb.614:
	v_cmp_eq_u32_e32 vcc, 1, v0
	s_waitcnt vmcnt(5)
	v_cndmask_b32_e32 v32, v2, v3, vcc
	v_cmp_eq_u32_e32 vcc, 2, v0
	v_cndmask_b32_e32 v32, v32, v4, vcc
	v_cmp_eq_u32_e32 vcc, 3, v0
	;; [unrolled: 2-line block ×24, first 2 shown]
	s_waitcnt vmcnt(4)
	v_cndmask_b32_e32 v32, v32, v27, vcc
	v_cmp_eq_u32_e32 vcc, 26, v0
	ds_read_b32 v33, v124
	s_waitcnt vmcnt(3)
	v_cndmask_b32_e32 v32, v32, v28, vcc
	v_cmp_eq_u32_e32 vcc, 27, v0
	s_waitcnt vmcnt(2)
	v_cndmask_b32_e32 v32, v32, v29, vcc
	v_cmp_eq_u32_e32 vcc, 28, v0
	;; [unrolled: 3-line block ×3, first 2 shown]
	s_waitcnt vmcnt(0)
	v_cndmask_b32_e32 v32, v32, v31, vcc
	s_waitcnt lgkmcnt(0)
	v_mul_f32_e32 v34, v32, v33
	s_cbranch_execz .LBB29_616
	s_branch .LBB29_617
.LBB29_615:
                                        ; implicit-def: $vgpr34
.LBB29_616:
	ds_read_b32 v34, v124
.LBB29_617:
	v_cmp_ne_u32_e32 vcc, 16, v0
	s_and_saveexec_b64 s[6:7], vcc
	s_cbranch_execz .LBB29_621
; %bb.618:
	v_mov_b32_e32 v32, 0x84
	v_lshl_add_u32 v35, v0, 2, v32
	v_mov_b32_e32 v33, v1
	s_mov_b64 s[8:9], 0
	v_mov_b32_e32 v32, v0
.LBB29_619:                             ; =>This Inner Loop Header: Depth=1
	v_add_co_u32_e32 v32, vcc, 1, v32
	v_addc_co_u32_e32 v33, vcc, 0, v33, vcc
	v_cmp_eq_u32_e32 vcc, 1, v32
	s_waitcnt vmcnt(5)
	v_cndmask_b32_e32 v37, v2, v3, vcc
	v_cmp_lt_u32_e32 vcc, 15, v32
	v_cmp_eq_u32_e64 s[2:3], 2, v32
	v_cndmask_b32_e64 v37, v37, v4, s[2:3]
	s_or_b64 s[8:9], vcc, s[8:9]
	v_cmp_eq_u32_e32 vcc, 3, v32
	v_cndmask_b32_e32 v37, v37, v5, vcc
	v_cmp_eq_u32_e32 vcc, 4, v32
	v_cndmask_b32_e32 v37, v37, v6, vcc
	;; [unrolled: 2-line block ×22, first 2 shown]
	v_cmp_eq_u32_e32 vcc, 25, v32
	ds_read_b32 v36, v35
	s_waitcnt vmcnt(4)
	v_cndmask_b32_e32 v37, v37, v27, vcc
	v_cmp_eq_u32_e32 vcc, 26, v32
	s_waitcnt vmcnt(3)
	v_cndmask_b32_e32 v37, v37, v28, vcc
	v_cmp_eq_u32_e32 vcc, 27, v32
	;; [unrolled: 3-line block ×4, first 2 shown]
	s_waitcnt vmcnt(0)
	v_cndmask_b32_e32 v37, v37, v31, vcc
	v_add_u32_e32 v35, 4, v35
	s_waitcnt lgkmcnt(0)
	v_fmac_f32_e32 v34, v37, v36
	s_andn2_b64 exec, exec, s[8:9]
	s_cbranch_execnz .LBB29_619
; %bb.620:
	s_or_b64 exec, exec, s[8:9]
.LBB29_621:
	s_or_b64 exec, exec, s[6:7]
	v_mov_b32_e32 v19, 0
	ds_read_b32 v19, v19 offset:68
	s_waitcnt lgkmcnt(0)
	v_mul_f32_e32 v19, v34, v19
.LBB29_622:
	s_or_b64 exec, exec, s[4:5]
	v_cmp_gt_u32_e32 vcc, 18, v0
	s_waitcnt vmcnt(12)
	ds_write_b32 v124, v20
	s_waitcnt lgkmcnt(0)
	; wave barrier
	s_and_saveexec_b64 s[4:5], vcc
	s_cbranch_execz .LBB29_632
; %bb.623:
	s_and_b64 vcc, exec, s[0:1]
	s_cbranch_vccnz .LBB29_625
; %bb.624:
	v_cmp_eq_u32_e32 vcc, 1, v0
	s_waitcnt vmcnt(5)
	v_cndmask_b32_e32 v32, v2, v3, vcc
	v_cmp_eq_u32_e32 vcc, 2, v0
	v_cndmask_b32_e32 v32, v32, v4, vcc
	v_cmp_eq_u32_e32 vcc, 3, v0
	;; [unrolled: 2-line block ×24, first 2 shown]
	s_waitcnt vmcnt(4)
	v_cndmask_b32_e32 v32, v32, v27, vcc
	v_cmp_eq_u32_e32 vcc, 26, v0
	ds_read_b32 v33, v124
	s_waitcnt vmcnt(3)
	v_cndmask_b32_e32 v32, v32, v28, vcc
	v_cmp_eq_u32_e32 vcc, 27, v0
	s_waitcnt vmcnt(2)
	v_cndmask_b32_e32 v32, v32, v29, vcc
	v_cmp_eq_u32_e32 vcc, 28, v0
	;; [unrolled: 3-line block ×3, first 2 shown]
	s_waitcnt vmcnt(0)
	v_cndmask_b32_e32 v32, v32, v31, vcc
	s_waitcnt lgkmcnt(0)
	v_mul_f32_e32 v34, v32, v33
	s_cbranch_execz .LBB29_626
	s_branch .LBB29_627
.LBB29_625:
                                        ; implicit-def: $vgpr34
.LBB29_626:
	ds_read_b32 v34, v124
.LBB29_627:
	v_cmp_ne_u32_e32 vcc, 17, v0
	s_and_saveexec_b64 s[6:7], vcc
	s_cbranch_execz .LBB29_631
; %bb.628:
	v_mov_b32_e32 v32, 0x84
	v_lshl_add_u32 v35, v0, 2, v32
	v_mov_b32_e32 v33, v1
	s_mov_b64 s[8:9], 0
	v_mov_b32_e32 v32, v0
.LBB29_629:                             ; =>This Inner Loop Header: Depth=1
	v_add_co_u32_e32 v32, vcc, 1, v32
	v_addc_co_u32_e32 v33, vcc, 0, v33, vcc
	v_cmp_eq_u32_e32 vcc, 1, v32
	s_waitcnt vmcnt(5)
	v_cndmask_b32_e32 v37, v2, v3, vcc
	v_cmp_lt_u32_e32 vcc, 16, v32
	v_cmp_eq_u32_e64 s[2:3], 2, v32
	v_cndmask_b32_e64 v37, v37, v4, s[2:3]
	s_or_b64 s[8:9], vcc, s[8:9]
	v_cmp_eq_u32_e32 vcc, 3, v32
	v_cndmask_b32_e32 v37, v37, v5, vcc
	v_cmp_eq_u32_e32 vcc, 4, v32
	v_cndmask_b32_e32 v37, v37, v6, vcc
	;; [unrolled: 2-line block ×22, first 2 shown]
	v_cmp_eq_u32_e32 vcc, 25, v32
	ds_read_b32 v36, v35
	s_waitcnt vmcnt(4)
	v_cndmask_b32_e32 v37, v37, v27, vcc
	v_cmp_eq_u32_e32 vcc, 26, v32
	s_waitcnt vmcnt(3)
	v_cndmask_b32_e32 v37, v37, v28, vcc
	v_cmp_eq_u32_e32 vcc, 27, v32
	;; [unrolled: 3-line block ×4, first 2 shown]
	s_waitcnt vmcnt(0)
	v_cndmask_b32_e32 v37, v37, v31, vcc
	v_add_u32_e32 v35, 4, v35
	s_waitcnt lgkmcnt(0)
	v_fmac_f32_e32 v34, v37, v36
	s_andn2_b64 exec, exec, s[8:9]
	s_cbranch_execnz .LBB29_629
; %bb.630:
	s_or_b64 exec, exec, s[8:9]
.LBB29_631:
	s_or_b64 exec, exec, s[6:7]
	v_mov_b32_e32 v20, 0
	ds_read_b32 v20, v20 offset:72
	s_waitcnt lgkmcnt(0)
	v_mul_f32_e32 v20, v34, v20
.LBB29_632:
	s_or_b64 exec, exec, s[4:5]
	v_cmp_gt_u32_e32 vcc, 19, v0
	s_waitcnt vmcnt(11)
	ds_write_b32 v124, v21
	s_waitcnt lgkmcnt(0)
	; wave barrier
	s_and_saveexec_b64 s[4:5], vcc
	s_cbranch_execz .LBB29_642
; %bb.633:
	s_and_b64 vcc, exec, s[0:1]
	s_cbranch_vccnz .LBB29_635
; %bb.634:
	v_cmp_eq_u32_e32 vcc, 1, v0
	s_waitcnt vmcnt(5)
	v_cndmask_b32_e32 v32, v2, v3, vcc
	v_cmp_eq_u32_e32 vcc, 2, v0
	v_cndmask_b32_e32 v32, v32, v4, vcc
	v_cmp_eq_u32_e32 vcc, 3, v0
	;; [unrolled: 2-line block ×24, first 2 shown]
	s_waitcnt vmcnt(4)
	v_cndmask_b32_e32 v32, v32, v27, vcc
	v_cmp_eq_u32_e32 vcc, 26, v0
	ds_read_b32 v33, v124
	s_waitcnt vmcnt(3)
	v_cndmask_b32_e32 v32, v32, v28, vcc
	v_cmp_eq_u32_e32 vcc, 27, v0
	s_waitcnt vmcnt(2)
	v_cndmask_b32_e32 v32, v32, v29, vcc
	v_cmp_eq_u32_e32 vcc, 28, v0
	;; [unrolled: 3-line block ×3, first 2 shown]
	s_waitcnt vmcnt(0)
	v_cndmask_b32_e32 v32, v32, v31, vcc
	s_waitcnt lgkmcnt(0)
	v_mul_f32_e32 v34, v32, v33
	s_cbranch_execz .LBB29_636
	s_branch .LBB29_637
.LBB29_635:
                                        ; implicit-def: $vgpr34
.LBB29_636:
	ds_read_b32 v34, v124
.LBB29_637:
	v_cmp_ne_u32_e32 vcc, 18, v0
	s_and_saveexec_b64 s[6:7], vcc
	s_cbranch_execz .LBB29_641
; %bb.638:
	v_mov_b32_e32 v32, 0x84
	v_lshl_add_u32 v35, v0, 2, v32
	v_mov_b32_e32 v33, v1
	s_mov_b64 s[8:9], 0
	v_mov_b32_e32 v32, v0
.LBB29_639:                             ; =>This Inner Loop Header: Depth=1
	v_add_co_u32_e32 v32, vcc, 1, v32
	v_addc_co_u32_e32 v33, vcc, 0, v33, vcc
	v_cmp_eq_u32_e32 vcc, 1, v32
	s_waitcnt vmcnt(5)
	v_cndmask_b32_e32 v37, v2, v3, vcc
	v_cmp_lt_u32_e32 vcc, 17, v32
	v_cmp_eq_u32_e64 s[2:3], 2, v32
	v_cndmask_b32_e64 v37, v37, v4, s[2:3]
	s_or_b64 s[8:9], vcc, s[8:9]
	v_cmp_eq_u32_e32 vcc, 3, v32
	v_cndmask_b32_e32 v37, v37, v5, vcc
	v_cmp_eq_u32_e32 vcc, 4, v32
	v_cndmask_b32_e32 v37, v37, v6, vcc
	;; [unrolled: 2-line block ×22, first 2 shown]
	v_cmp_eq_u32_e32 vcc, 25, v32
	ds_read_b32 v36, v35
	s_waitcnt vmcnt(4)
	v_cndmask_b32_e32 v37, v37, v27, vcc
	v_cmp_eq_u32_e32 vcc, 26, v32
	s_waitcnt vmcnt(3)
	v_cndmask_b32_e32 v37, v37, v28, vcc
	v_cmp_eq_u32_e32 vcc, 27, v32
	;; [unrolled: 3-line block ×4, first 2 shown]
	s_waitcnt vmcnt(0)
	v_cndmask_b32_e32 v37, v37, v31, vcc
	v_add_u32_e32 v35, 4, v35
	s_waitcnt lgkmcnt(0)
	v_fmac_f32_e32 v34, v37, v36
	s_andn2_b64 exec, exec, s[8:9]
	s_cbranch_execnz .LBB29_639
; %bb.640:
	s_or_b64 exec, exec, s[8:9]
.LBB29_641:
	s_or_b64 exec, exec, s[6:7]
	v_mov_b32_e32 v21, 0
	ds_read_b32 v21, v21 offset:76
	s_waitcnt lgkmcnt(0)
	v_mul_f32_e32 v21, v34, v21
.LBB29_642:
	s_or_b64 exec, exec, s[4:5]
	v_cmp_gt_u32_e32 vcc, 20, v0
	s_waitcnt vmcnt(10)
	ds_write_b32 v124, v22
	s_waitcnt lgkmcnt(0)
	; wave barrier
	s_and_saveexec_b64 s[4:5], vcc
	s_cbranch_execz .LBB29_652
; %bb.643:
	s_and_b64 vcc, exec, s[0:1]
	s_cbranch_vccnz .LBB29_645
; %bb.644:
	v_cmp_eq_u32_e32 vcc, 1, v0
	s_waitcnt vmcnt(5)
	v_cndmask_b32_e32 v32, v2, v3, vcc
	v_cmp_eq_u32_e32 vcc, 2, v0
	v_cndmask_b32_e32 v32, v32, v4, vcc
	v_cmp_eq_u32_e32 vcc, 3, v0
	;; [unrolled: 2-line block ×24, first 2 shown]
	s_waitcnt vmcnt(4)
	v_cndmask_b32_e32 v32, v32, v27, vcc
	v_cmp_eq_u32_e32 vcc, 26, v0
	ds_read_b32 v33, v124
	s_waitcnt vmcnt(3)
	v_cndmask_b32_e32 v32, v32, v28, vcc
	v_cmp_eq_u32_e32 vcc, 27, v0
	s_waitcnt vmcnt(2)
	v_cndmask_b32_e32 v32, v32, v29, vcc
	v_cmp_eq_u32_e32 vcc, 28, v0
	s_waitcnt vmcnt(1)
	v_cndmask_b32_e32 v32, v32, v30, vcc
	v_cmp_eq_u32_e32 vcc, 29, v0
	s_waitcnt vmcnt(0)
	v_cndmask_b32_e32 v32, v32, v31, vcc
	s_waitcnt lgkmcnt(0)
	v_mul_f32_e32 v34, v32, v33
	s_cbranch_execz .LBB29_646
	s_branch .LBB29_647
.LBB29_645:
                                        ; implicit-def: $vgpr34
.LBB29_646:
	ds_read_b32 v34, v124
.LBB29_647:
	v_cmp_ne_u32_e32 vcc, 19, v0
	s_and_saveexec_b64 s[6:7], vcc
	s_cbranch_execz .LBB29_651
; %bb.648:
	v_mov_b32_e32 v32, 0x84
	v_lshl_add_u32 v35, v0, 2, v32
	v_mov_b32_e32 v33, v1
	s_mov_b64 s[8:9], 0
	v_mov_b32_e32 v32, v0
.LBB29_649:                             ; =>This Inner Loop Header: Depth=1
	v_add_co_u32_e32 v32, vcc, 1, v32
	v_addc_co_u32_e32 v33, vcc, 0, v33, vcc
	v_cmp_eq_u32_e32 vcc, 1, v32
	s_waitcnt vmcnt(5)
	v_cndmask_b32_e32 v37, v2, v3, vcc
	v_cmp_lt_u32_e32 vcc, 18, v32
	v_cmp_eq_u32_e64 s[2:3], 2, v32
	v_cndmask_b32_e64 v37, v37, v4, s[2:3]
	s_or_b64 s[8:9], vcc, s[8:9]
	v_cmp_eq_u32_e32 vcc, 3, v32
	v_cndmask_b32_e32 v37, v37, v5, vcc
	v_cmp_eq_u32_e32 vcc, 4, v32
	v_cndmask_b32_e32 v37, v37, v6, vcc
	;; [unrolled: 2-line block ×22, first 2 shown]
	v_cmp_eq_u32_e32 vcc, 25, v32
	ds_read_b32 v36, v35
	s_waitcnt vmcnt(4)
	v_cndmask_b32_e32 v37, v37, v27, vcc
	v_cmp_eq_u32_e32 vcc, 26, v32
	s_waitcnt vmcnt(3)
	v_cndmask_b32_e32 v37, v37, v28, vcc
	v_cmp_eq_u32_e32 vcc, 27, v32
	;; [unrolled: 3-line block ×4, first 2 shown]
	s_waitcnt vmcnt(0)
	v_cndmask_b32_e32 v37, v37, v31, vcc
	v_add_u32_e32 v35, 4, v35
	s_waitcnt lgkmcnt(0)
	v_fmac_f32_e32 v34, v37, v36
	s_andn2_b64 exec, exec, s[8:9]
	s_cbranch_execnz .LBB29_649
; %bb.650:
	s_or_b64 exec, exec, s[8:9]
.LBB29_651:
	s_or_b64 exec, exec, s[6:7]
	v_mov_b32_e32 v22, 0
	ds_read_b32 v22, v22 offset:80
	s_waitcnt lgkmcnt(0)
	v_mul_f32_e32 v22, v34, v22
.LBB29_652:
	s_or_b64 exec, exec, s[4:5]
	v_cmp_gt_u32_e32 vcc, 21, v0
	s_waitcnt vmcnt(9)
	ds_write_b32 v124, v23
	s_waitcnt lgkmcnt(0)
	; wave barrier
	s_and_saveexec_b64 s[4:5], vcc
	s_cbranch_execz .LBB29_662
; %bb.653:
	s_and_b64 vcc, exec, s[0:1]
	s_cbranch_vccnz .LBB29_655
; %bb.654:
	v_cmp_eq_u32_e32 vcc, 1, v0
	s_waitcnt vmcnt(5)
	v_cndmask_b32_e32 v32, v2, v3, vcc
	v_cmp_eq_u32_e32 vcc, 2, v0
	v_cndmask_b32_e32 v32, v32, v4, vcc
	v_cmp_eq_u32_e32 vcc, 3, v0
	;; [unrolled: 2-line block ×24, first 2 shown]
	s_waitcnt vmcnt(4)
	v_cndmask_b32_e32 v32, v32, v27, vcc
	v_cmp_eq_u32_e32 vcc, 26, v0
	ds_read_b32 v33, v124
	s_waitcnt vmcnt(3)
	v_cndmask_b32_e32 v32, v32, v28, vcc
	v_cmp_eq_u32_e32 vcc, 27, v0
	s_waitcnt vmcnt(2)
	v_cndmask_b32_e32 v32, v32, v29, vcc
	v_cmp_eq_u32_e32 vcc, 28, v0
	;; [unrolled: 3-line block ×3, first 2 shown]
	s_waitcnt vmcnt(0)
	v_cndmask_b32_e32 v32, v32, v31, vcc
	s_waitcnt lgkmcnt(0)
	v_mul_f32_e32 v34, v32, v33
	s_cbranch_execz .LBB29_656
	s_branch .LBB29_657
.LBB29_655:
                                        ; implicit-def: $vgpr34
.LBB29_656:
	ds_read_b32 v34, v124
.LBB29_657:
	v_cmp_ne_u32_e32 vcc, 20, v0
	s_and_saveexec_b64 s[6:7], vcc
	s_cbranch_execz .LBB29_661
; %bb.658:
	v_mov_b32_e32 v32, 0x84
	v_lshl_add_u32 v35, v0, 2, v32
	v_mov_b32_e32 v33, v1
	s_mov_b64 s[8:9], 0
	v_mov_b32_e32 v32, v0
.LBB29_659:                             ; =>This Inner Loop Header: Depth=1
	v_add_co_u32_e32 v32, vcc, 1, v32
	v_addc_co_u32_e32 v33, vcc, 0, v33, vcc
	v_cmp_eq_u32_e32 vcc, 1, v32
	s_waitcnt vmcnt(5)
	v_cndmask_b32_e32 v37, v2, v3, vcc
	v_cmp_lt_u32_e32 vcc, 19, v32
	v_cmp_eq_u32_e64 s[2:3], 2, v32
	v_cndmask_b32_e64 v37, v37, v4, s[2:3]
	s_or_b64 s[8:9], vcc, s[8:9]
	v_cmp_eq_u32_e32 vcc, 3, v32
	v_cndmask_b32_e32 v37, v37, v5, vcc
	v_cmp_eq_u32_e32 vcc, 4, v32
	v_cndmask_b32_e32 v37, v37, v6, vcc
	;; [unrolled: 2-line block ×22, first 2 shown]
	v_cmp_eq_u32_e32 vcc, 25, v32
	ds_read_b32 v36, v35
	s_waitcnt vmcnt(4)
	v_cndmask_b32_e32 v37, v37, v27, vcc
	v_cmp_eq_u32_e32 vcc, 26, v32
	s_waitcnt vmcnt(3)
	v_cndmask_b32_e32 v37, v37, v28, vcc
	v_cmp_eq_u32_e32 vcc, 27, v32
	;; [unrolled: 3-line block ×4, first 2 shown]
	s_waitcnt vmcnt(0)
	v_cndmask_b32_e32 v37, v37, v31, vcc
	v_add_u32_e32 v35, 4, v35
	s_waitcnt lgkmcnt(0)
	v_fmac_f32_e32 v34, v37, v36
	s_andn2_b64 exec, exec, s[8:9]
	s_cbranch_execnz .LBB29_659
; %bb.660:
	s_or_b64 exec, exec, s[8:9]
.LBB29_661:
	s_or_b64 exec, exec, s[6:7]
	v_mov_b32_e32 v23, 0
	ds_read_b32 v23, v23 offset:84
	s_waitcnt lgkmcnt(0)
	v_mul_f32_e32 v23, v34, v23
.LBB29_662:
	s_or_b64 exec, exec, s[4:5]
	v_cmp_gt_u32_e32 vcc, 22, v0
	s_waitcnt vmcnt(8)
	ds_write_b32 v124, v24
	s_waitcnt lgkmcnt(0)
	; wave barrier
	s_and_saveexec_b64 s[4:5], vcc
	s_cbranch_execz .LBB29_672
; %bb.663:
	s_and_b64 vcc, exec, s[0:1]
	s_cbranch_vccnz .LBB29_665
; %bb.664:
	v_cmp_eq_u32_e32 vcc, 1, v0
	s_waitcnt vmcnt(5)
	v_cndmask_b32_e32 v32, v2, v3, vcc
	v_cmp_eq_u32_e32 vcc, 2, v0
	v_cndmask_b32_e32 v32, v32, v4, vcc
	v_cmp_eq_u32_e32 vcc, 3, v0
	;; [unrolled: 2-line block ×24, first 2 shown]
	s_waitcnt vmcnt(4)
	v_cndmask_b32_e32 v32, v32, v27, vcc
	v_cmp_eq_u32_e32 vcc, 26, v0
	ds_read_b32 v33, v124
	s_waitcnt vmcnt(3)
	v_cndmask_b32_e32 v32, v32, v28, vcc
	v_cmp_eq_u32_e32 vcc, 27, v0
	s_waitcnt vmcnt(2)
	v_cndmask_b32_e32 v32, v32, v29, vcc
	v_cmp_eq_u32_e32 vcc, 28, v0
	;; [unrolled: 3-line block ×3, first 2 shown]
	s_waitcnt vmcnt(0)
	v_cndmask_b32_e32 v32, v32, v31, vcc
	s_waitcnt lgkmcnt(0)
	v_mul_f32_e32 v34, v32, v33
	s_cbranch_execz .LBB29_666
	s_branch .LBB29_667
.LBB29_665:
                                        ; implicit-def: $vgpr34
.LBB29_666:
	ds_read_b32 v34, v124
.LBB29_667:
	v_cmp_ne_u32_e32 vcc, 21, v0
	s_and_saveexec_b64 s[6:7], vcc
	s_cbranch_execz .LBB29_671
; %bb.668:
	v_mov_b32_e32 v32, 0x84
	v_lshl_add_u32 v35, v0, 2, v32
	v_mov_b32_e32 v33, v1
	s_mov_b64 s[8:9], 0
	v_mov_b32_e32 v32, v0
.LBB29_669:                             ; =>This Inner Loop Header: Depth=1
	v_add_co_u32_e32 v32, vcc, 1, v32
	v_addc_co_u32_e32 v33, vcc, 0, v33, vcc
	v_cmp_eq_u32_e32 vcc, 1, v32
	s_waitcnt vmcnt(5)
	v_cndmask_b32_e32 v37, v2, v3, vcc
	v_cmp_lt_u32_e32 vcc, 20, v32
	v_cmp_eq_u32_e64 s[2:3], 2, v32
	v_cndmask_b32_e64 v37, v37, v4, s[2:3]
	s_or_b64 s[8:9], vcc, s[8:9]
	v_cmp_eq_u32_e32 vcc, 3, v32
	v_cndmask_b32_e32 v37, v37, v5, vcc
	v_cmp_eq_u32_e32 vcc, 4, v32
	v_cndmask_b32_e32 v37, v37, v6, vcc
	;; [unrolled: 2-line block ×22, first 2 shown]
	v_cmp_eq_u32_e32 vcc, 25, v32
	ds_read_b32 v36, v35
	s_waitcnt vmcnt(4)
	v_cndmask_b32_e32 v37, v37, v27, vcc
	v_cmp_eq_u32_e32 vcc, 26, v32
	s_waitcnt vmcnt(3)
	v_cndmask_b32_e32 v37, v37, v28, vcc
	v_cmp_eq_u32_e32 vcc, 27, v32
	;; [unrolled: 3-line block ×4, first 2 shown]
	s_waitcnt vmcnt(0)
	v_cndmask_b32_e32 v37, v37, v31, vcc
	v_add_u32_e32 v35, 4, v35
	s_waitcnt lgkmcnt(0)
	v_fmac_f32_e32 v34, v37, v36
	s_andn2_b64 exec, exec, s[8:9]
	s_cbranch_execnz .LBB29_669
; %bb.670:
	s_or_b64 exec, exec, s[8:9]
.LBB29_671:
	s_or_b64 exec, exec, s[6:7]
	v_mov_b32_e32 v24, 0
	ds_read_b32 v24, v24 offset:88
	s_waitcnt lgkmcnt(0)
	v_mul_f32_e32 v24, v34, v24
.LBB29_672:
	s_or_b64 exec, exec, s[4:5]
	v_cmp_gt_u32_e32 vcc, 23, v0
	s_waitcnt vmcnt(7)
	ds_write_b32 v124, v25
	s_waitcnt lgkmcnt(0)
	; wave barrier
	s_and_saveexec_b64 s[4:5], vcc
	s_cbranch_execz .LBB29_682
; %bb.673:
	s_and_b64 vcc, exec, s[0:1]
	s_cbranch_vccnz .LBB29_675
; %bb.674:
	v_cmp_eq_u32_e32 vcc, 1, v0
	s_waitcnt vmcnt(5)
	v_cndmask_b32_e32 v32, v2, v3, vcc
	v_cmp_eq_u32_e32 vcc, 2, v0
	v_cndmask_b32_e32 v32, v32, v4, vcc
	v_cmp_eq_u32_e32 vcc, 3, v0
	;; [unrolled: 2-line block ×24, first 2 shown]
	s_waitcnt vmcnt(4)
	v_cndmask_b32_e32 v32, v32, v27, vcc
	v_cmp_eq_u32_e32 vcc, 26, v0
	ds_read_b32 v33, v124
	s_waitcnt vmcnt(3)
	v_cndmask_b32_e32 v32, v32, v28, vcc
	v_cmp_eq_u32_e32 vcc, 27, v0
	s_waitcnt vmcnt(2)
	v_cndmask_b32_e32 v32, v32, v29, vcc
	v_cmp_eq_u32_e32 vcc, 28, v0
	;; [unrolled: 3-line block ×3, first 2 shown]
	s_waitcnt vmcnt(0)
	v_cndmask_b32_e32 v32, v32, v31, vcc
	s_waitcnt lgkmcnt(0)
	v_mul_f32_e32 v34, v32, v33
	s_cbranch_execz .LBB29_676
	s_branch .LBB29_677
.LBB29_675:
                                        ; implicit-def: $vgpr34
.LBB29_676:
	ds_read_b32 v34, v124
.LBB29_677:
	v_cmp_ne_u32_e32 vcc, 22, v0
	s_and_saveexec_b64 s[6:7], vcc
	s_cbranch_execz .LBB29_681
; %bb.678:
	v_mov_b32_e32 v32, 0x84
	v_lshl_add_u32 v35, v0, 2, v32
	v_mov_b32_e32 v33, v1
	s_mov_b64 s[8:9], 0
	v_mov_b32_e32 v32, v0
.LBB29_679:                             ; =>This Inner Loop Header: Depth=1
	v_add_co_u32_e32 v32, vcc, 1, v32
	v_addc_co_u32_e32 v33, vcc, 0, v33, vcc
	v_cmp_eq_u32_e32 vcc, 1, v32
	s_waitcnt vmcnt(5)
	v_cndmask_b32_e32 v37, v2, v3, vcc
	v_cmp_lt_u32_e32 vcc, 21, v32
	v_cmp_eq_u32_e64 s[2:3], 2, v32
	v_cndmask_b32_e64 v37, v37, v4, s[2:3]
	s_or_b64 s[8:9], vcc, s[8:9]
	v_cmp_eq_u32_e32 vcc, 3, v32
	v_cndmask_b32_e32 v37, v37, v5, vcc
	v_cmp_eq_u32_e32 vcc, 4, v32
	v_cndmask_b32_e32 v37, v37, v6, vcc
	;; [unrolled: 2-line block ×22, first 2 shown]
	v_cmp_eq_u32_e32 vcc, 25, v32
	ds_read_b32 v36, v35
	s_waitcnt vmcnt(4)
	v_cndmask_b32_e32 v37, v37, v27, vcc
	v_cmp_eq_u32_e32 vcc, 26, v32
	s_waitcnt vmcnt(3)
	v_cndmask_b32_e32 v37, v37, v28, vcc
	v_cmp_eq_u32_e32 vcc, 27, v32
	;; [unrolled: 3-line block ×4, first 2 shown]
	s_waitcnt vmcnt(0)
	v_cndmask_b32_e32 v37, v37, v31, vcc
	v_add_u32_e32 v35, 4, v35
	s_waitcnt lgkmcnt(0)
	v_fmac_f32_e32 v34, v37, v36
	s_andn2_b64 exec, exec, s[8:9]
	s_cbranch_execnz .LBB29_679
; %bb.680:
	s_or_b64 exec, exec, s[8:9]
.LBB29_681:
	s_or_b64 exec, exec, s[6:7]
	v_mov_b32_e32 v25, 0
	ds_read_b32 v25, v25 offset:92
	s_waitcnt lgkmcnt(0)
	v_mul_f32_e32 v25, v34, v25
.LBB29_682:
	s_or_b64 exec, exec, s[4:5]
	v_cmp_gt_u32_e32 vcc, 24, v0
	s_waitcnt vmcnt(6)
	ds_write_b32 v124, v26
	s_waitcnt lgkmcnt(0)
	; wave barrier
	s_and_saveexec_b64 s[4:5], vcc
	s_cbranch_execz .LBB29_692
; %bb.683:
	s_and_b64 vcc, exec, s[0:1]
	s_cbranch_vccnz .LBB29_685
; %bb.684:
	v_cmp_eq_u32_e32 vcc, 1, v0
	s_waitcnt vmcnt(5)
	v_cndmask_b32_e32 v32, v2, v3, vcc
	v_cmp_eq_u32_e32 vcc, 2, v0
	v_cndmask_b32_e32 v32, v32, v4, vcc
	v_cmp_eq_u32_e32 vcc, 3, v0
	;; [unrolled: 2-line block ×24, first 2 shown]
	s_waitcnt vmcnt(4)
	v_cndmask_b32_e32 v32, v32, v27, vcc
	v_cmp_eq_u32_e32 vcc, 26, v0
	ds_read_b32 v33, v124
	s_waitcnt vmcnt(3)
	v_cndmask_b32_e32 v32, v32, v28, vcc
	v_cmp_eq_u32_e32 vcc, 27, v0
	s_waitcnt vmcnt(2)
	v_cndmask_b32_e32 v32, v32, v29, vcc
	v_cmp_eq_u32_e32 vcc, 28, v0
	;; [unrolled: 3-line block ×3, first 2 shown]
	s_waitcnt vmcnt(0)
	v_cndmask_b32_e32 v32, v32, v31, vcc
	s_waitcnt lgkmcnt(0)
	v_mul_f32_e32 v34, v32, v33
	s_cbranch_execz .LBB29_686
	s_branch .LBB29_687
.LBB29_685:
                                        ; implicit-def: $vgpr34
.LBB29_686:
	ds_read_b32 v34, v124
.LBB29_687:
	v_cmp_ne_u32_e32 vcc, 23, v0
	s_and_saveexec_b64 s[6:7], vcc
	s_cbranch_execz .LBB29_691
; %bb.688:
	v_mov_b32_e32 v32, 0x84
	v_lshl_add_u32 v35, v0, 2, v32
	v_mov_b32_e32 v33, v1
	s_mov_b64 s[8:9], 0
	v_mov_b32_e32 v32, v0
.LBB29_689:                             ; =>This Inner Loop Header: Depth=1
	v_add_co_u32_e32 v32, vcc, 1, v32
	v_addc_co_u32_e32 v33, vcc, 0, v33, vcc
	v_cmp_eq_u32_e32 vcc, 1, v32
	s_waitcnt vmcnt(5)
	v_cndmask_b32_e32 v37, v2, v3, vcc
	v_cmp_lt_u32_e32 vcc, 22, v32
	v_cmp_eq_u32_e64 s[2:3], 2, v32
	v_cndmask_b32_e64 v37, v37, v4, s[2:3]
	s_or_b64 s[8:9], vcc, s[8:9]
	v_cmp_eq_u32_e32 vcc, 3, v32
	v_cndmask_b32_e32 v37, v37, v5, vcc
	v_cmp_eq_u32_e32 vcc, 4, v32
	v_cndmask_b32_e32 v37, v37, v6, vcc
	;; [unrolled: 2-line block ×22, first 2 shown]
	v_cmp_eq_u32_e32 vcc, 25, v32
	ds_read_b32 v36, v35
	s_waitcnt vmcnt(4)
	v_cndmask_b32_e32 v37, v37, v27, vcc
	v_cmp_eq_u32_e32 vcc, 26, v32
	s_waitcnt vmcnt(3)
	v_cndmask_b32_e32 v37, v37, v28, vcc
	v_cmp_eq_u32_e32 vcc, 27, v32
	;; [unrolled: 3-line block ×4, first 2 shown]
	s_waitcnt vmcnt(0)
	v_cndmask_b32_e32 v37, v37, v31, vcc
	v_add_u32_e32 v35, 4, v35
	s_waitcnt lgkmcnt(0)
	v_fmac_f32_e32 v34, v37, v36
	s_andn2_b64 exec, exec, s[8:9]
	s_cbranch_execnz .LBB29_689
; %bb.690:
	s_or_b64 exec, exec, s[8:9]
.LBB29_691:
	s_or_b64 exec, exec, s[6:7]
	v_mov_b32_e32 v26, 0
	ds_read_b32 v26, v26 offset:96
	s_waitcnt lgkmcnt(0)
	v_mul_f32_e32 v26, v34, v26
.LBB29_692:
	s_or_b64 exec, exec, s[4:5]
	v_cmp_gt_u32_e32 vcc, 25, v0
	s_waitcnt vmcnt(4)
	ds_write_b32 v124, v27
	s_waitcnt lgkmcnt(0)
	; wave barrier
	s_and_saveexec_b64 s[4:5], vcc
	s_cbranch_execz .LBB29_702
; %bb.693:
	s_and_b64 vcc, exec, s[0:1]
	s_cbranch_vccnz .LBB29_695
; %bb.694:
	v_cmp_eq_u32_e32 vcc, 1, v0
	v_cndmask_b32_e32 v32, v2, v3, vcc
	v_cmp_eq_u32_e32 vcc, 2, v0
	v_cndmask_b32_e32 v32, v32, v4, vcc
	;; [unrolled: 2-line block ×25, first 2 shown]
	v_cmp_eq_u32_e32 vcc, 26, v0
	ds_read_b32 v33, v124
	s_waitcnt vmcnt(3)
	v_cndmask_b32_e32 v32, v32, v28, vcc
	v_cmp_eq_u32_e32 vcc, 27, v0
	s_waitcnt vmcnt(2)
	v_cndmask_b32_e32 v32, v32, v29, vcc
	v_cmp_eq_u32_e32 vcc, 28, v0
	;; [unrolled: 3-line block ×3, first 2 shown]
	s_waitcnt vmcnt(0)
	v_cndmask_b32_e32 v32, v32, v31, vcc
	s_waitcnt lgkmcnt(0)
	v_mul_f32_e32 v34, v32, v33
	s_cbranch_execz .LBB29_696
	s_branch .LBB29_697
.LBB29_695:
                                        ; implicit-def: $vgpr34
.LBB29_696:
	ds_read_b32 v34, v124
.LBB29_697:
	v_cmp_ne_u32_e32 vcc, 24, v0
	s_and_saveexec_b64 s[6:7], vcc
	s_cbranch_execz .LBB29_701
; %bb.698:
	v_mov_b32_e32 v32, 0x84
	v_lshl_add_u32 v35, v0, 2, v32
	v_mov_b32_e32 v33, v1
	s_mov_b64 s[8:9], 0
	v_mov_b32_e32 v32, v0
.LBB29_699:                             ; =>This Inner Loop Header: Depth=1
	v_add_co_u32_e32 v32, vcc, 1, v32
	v_addc_co_u32_e32 v33, vcc, 0, v33, vcc
	v_cmp_eq_u32_e32 vcc, 1, v32
	v_cndmask_b32_e32 v37, v2, v3, vcc
	v_cmp_lt_u32_e32 vcc, 23, v32
	v_cmp_eq_u32_e64 s[2:3], 2, v32
	v_cndmask_b32_e64 v37, v37, v4, s[2:3]
	s_or_b64 s[8:9], vcc, s[8:9]
	v_cmp_eq_u32_e32 vcc, 3, v32
	v_cndmask_b32_e32 v37, v37, v5, vcc
	v_cmp_eq_u32_e32 vcc, 4, v32
	v_cndmask_b32_e32 v37, v37, v6, vcc
	;; [unrolled: 2-line block ×22, first 2 shown]
	v_cmp_eq_u32_e32 vcc, 25, v32
	ds_read_b32 v36, v35
	v_cndmask_b32_e32 v37, v37, v27, vcc
	v_cmp_eq_u32_e32 vcc, 26, v32
	s_waitcnt vmcnt(3)
	v_cndmask_b32_e32 v37, v37, v28, vcc
	v_cmp_eq_u32_e32 vcc, 27, v32
	s_waitcnt vmcnt(2)
	;; [unrolled: 3-line block ×4, first 2 shown]
	v_cndmask_b32_e32 v37, v37, v31, vcc
	v_add_u32_e32 v35, 4, v35
	s_waitcnt lgkmcnt(0)
	v_fmac_f32_e32 v34, v37, v36
	s_andn2_b64 exec, exec, s[8:9]
	s_cbranch_execnz .LBB29_699
; %bb.700:
	s_or_b64 exec, exec, s[8:9]
.LBB29_701:
	s_or_b64 exec, exec, s[6:7]
	v_mov_b32_e32 v27, 0
	ds_read_b32 v27, v27 offset:100
	s_waitcnt lgkmcnt(0)
	v_mul_f32_e32 v27, v34, v27
.LBB29_702:
	s_or_b64 exec, exec, s[4:5]
	v_cmp_gt_u32_e32 vcc, 26, v0
	s_waitcnt vmcnt(3)
	ds_write_b32 v124, v28
	s_waitcnt lgkmcnt(0)
	; wave barrier
	s_and_saveexec_b64 s[4:5], vcc
	s_cbranch_execz .LBB29_712
; %bb.703:
	s_and_b64 vcc, exec, s[0:1]
	s_cbranch_vccnz .LBB29_705
; %bb.704:
	v_cmp_eq_u32_e32 vcc, 1, v0
	v_cndmask_b32_e32 v32, v2, v3, vcc
	v_cmp_eq_u32_e32 vcc, 2, v0
	v_cndmask_b32_e32 v32, v32, v4, vcc
	v_cmp_eq_u32_e32 vcc, 3, v0
	v_cndmask_b32_e32 v32, v32, v5, vcc
	v_cmp_eq_u32_e32 vcc, 4, v0
	v_cndmask_b32_e32 v32, v32, v6, vcc
	v_cmp_eq_u32_e32 vcc, 5, v0
	v_cndmask_b32_e32 v32, v32, v7, vcc
	v_cmp_eq_u32_e32 vcc, 6, v0
	v_cndmask_b32_e32 v32, v32, v8, vcc
	v_cmp_eq_u32_e32 vcc, 7, v0
	v_cndmask_b32_e32 v32, v32, v9, vcc
	v_cmp_eq_u32_e32 vcc, 8, v0
	v_cndmask_b32_e32 v32, v32, v10, vcc
	v_cmp_eq_u32_e32 vcc, 9, v0
	v_cndmask_b32_e32 v32, v32, v11, vcc
	v_cmp_eq_u32_e32 vcc, 10, v0
	v_cndmask_b32_e32 v32, v32, v12, vcc
	v_cmp_eq_u32_e32 vcc, 11, v0
	v_cndmask_b32_e32 v32, v32, v13, vcc
	v_cmp_eq_u32_e32 vcc, 12, v0
	v_cndmask_b32_e32 v32, v32, v14, vcc
	v_cmp_eq_u32_e32 vcc, 13, v0
	v_cndmask_b32_e32 v32, v32, v15, vcc
	v_cmp_eq_u32_e32 vcc, 14, v0
	v_cndmask_b32_e32 v32, v32, v16, vcc
	v_cmp_eq_u32_e32 vcc, 15, v0
	v_cndmask_b32_e32 v32, v32, v17, vcc
	v_cmp_eq_u32_e32 vcc, 16, v0
	v_cndmask_b32_e32 v32, v32, v18, vcc
	v_cmp_eq_u32_e32 vcc, 17, v0
	v_cndmask_b32_e32 v32, v32, v19, vcc
	v_cmp_eq_u32_e32 vcc, 18, v0
	v_cndmask_b32_e32 v32, v32, v20, vcc
	v_cmp_eq_u32_e32 vcc, 19, v0
	v_cndmask_b32_e32 v32, v32, v21, vcc
	v_cmp_eq_u32_e32 vcc, 20, v0
	v_cndmask_b32_e32 v32, v32, v22, vcc
	v_cmp_eq_u32_e32 vcc, 21, v0
	v_cndmask_b32_e32 v32, v32, v23, vcc
	v_cmp_eq_u32_e32 vcc, 22, v0
	v_cndmask_b32_e32 v32, v32, v24, vcc
	v_cmp_eq_u32_e32 vcc, 23, v0
	v_cndmask_b32_e32 v32, v32, v25, vcc
	v_cmp_eq_u32_e32 vcc, 24, v0
	v_cndmask_b32_e32 v32, v32, v26, vcc
	v_cmp_eq_u32_e32 vcc, 25, v0
	v_cndmask_b32_e32 v32, v32, v27, vcc
	v_cmp_eq_u32_e32 vcc, 26, v0
	ds_read_b32 v33, v124
	v_cndmask_b32_e32 v32, v32, v28, vcc
	v_cmp_eq_u32_e32 vcc, 27, v0
	s_waitcnt vmcnt(2)
	v_cndmask_b32_e32 v32, v32, v29, vcc
	v_cmp_eq_u32_e32 vcc, 28, v0
	s_waitcnt vmcnt(1)
	;; [unrolled: 3-line block ×3, first 2 shown]
	v_cndmask_b32_e32 v32, v32, v31, vcc
	s_waitcnt lgkmcnt(0)
	v_mul_f32_e32 v34, v32, v33
	s_cbranch_execz .LBB29_706
	s_branch .LBB29_707
.LBB29_705:
                                        ; implicit-def: $vgpr34
.LBB29_706:
	ds_read_b32 v34, v124
.LBB29_707:
	v_cmp_ne_u32_e32 vcc, 25, v0
	s_and_saveexec_b64 s[6:7], vcc
	s_cbranch_execz .LBB29_711
; %bb.708:
	v_mov_b32_e32 v32, 0x84
	v_lshl_add_u32 v35, v0, 2, v32
	v_mov_b32_e32 v33, v1
	s_mov_b64 s[8:9], 0
	v_mov_b32_e32 v32, v0
.LBB29_709:                             ; =>This Inner Loop Header: Depth=1
	v_add_co_u32_e32 v32, vcc, 1, v32
	v_addc_co_u32_e32 v33, vcc, 0, v33, vcc
	v_cmp_eq_u32_e32 vcc, 1, v32
	v_cndmask_b32_e32 v37, v2, v3, vcc
	v_cmp_lt_u32_e32 vcc, 24, v32
	v_cmp_eq_u32_e64 s[2:3], 2, v32
	v_cndmask_b32_e64 v37, v37, v4, s[2:3]
	s_or_b64 s[8:9], vcc, s[8:9]
	v_cmp_eq_u32_e32 vcc, 3, v32
	v_cndmask_b32_e32 v37, v37, v5, vcc
	v_cmp_eq_u32_e32 vcc, 4, v32
	v_cndmask_b32_e32 v37, v37, v6, vcc
	v_cmp_eq_u32_e32 vcc, 5, v32
	v_cndmask_b32_e32 v37, v37, v7, vcc
	v_cmp_eq_u32_e32 vcc, 6, v32
	v_cndmask_b32_e32 v37, v37, v8, vcc
	v_cmp_eq_u32_e32 vcc, 7, v32
	v_cndmask_b32_e32 v37, v37, v9, vcc
	v_cmp_eq_u32_e32 vcc, 8, v32
	v_cndmask_b32_e32 v37, v37, v10, vcc
	v_cmp_eq_u32_e32 vcc, 9, v32
	v_cndmask_b32_e32 v37, v37, v11, vcc
	v_cmp_eq_u32_e32 vcc, 10, v32
	v_cndmask_b32_e32 v37, v37, v12, vcc
	v_cmp_eq_u32_e32 vcc, 11, v32
	v_cndmask_b32_e32 v37, v37, v13, vcc
	v_cmp_eq_u32_e32 vcc, 12, v32
	v_cndmask_b32_e32 v37, v37, v14, vcc
	v_cmp_eq_u32_e32 vcc, 13, v32
	v_cndmask_b32_e32 v37, v37, v15, vcc
	v_cmp_eq_u32_e32 vcc, 14, v32
	v_cndmask_b32_e32 v37, v37, v16, vcc
	v_cmp_eq_u32_e32 vcc, 15, v32
	v_cndmask_b32_e32 v37, v37, v17, vcc
	v_cmp_eq_u32_e32 vcc, 16, v32
	v_cndmask_b32_e32 v37, v37, v18, vcc
	v_cmp_eq_u32_e32 vcc, 17, v32
	v_cndmask_b32_e32 v37, v37, v19, vcc
	v_cmp_eq_u32_e32 vcc, 18, v32
	v_cndmask_b32_e32 v37, v37, v20, vcc
	v_cmp_eq_u32_e32 vcc, 19, v32
	v_cndmask_b32_e32 v37, v37, v21, vcc
	v_cmp_eq_u32_e32 vcc, 20, v32
	v_cndmask_b32_e32 v37, v37, v22, vcc
	v_cmp_eq_u32_e32 vcc, 21, v32
	v_cndmask_b32_e32 v37, v37, v23, vcc
	v_cmp_eq_u32_e32 vcc, 22, v32
	v_cndmask_b32_e32 v37, v37, v24, vcc
	v_cmp_eq_u32_e32 vcc, 23, v32
	v_cndmask_b32_e32 v37, v37, v25, vcc
	v_cmp_eq_u32_e32 vcc, 24, v32
	v_cndmask_b32_e32 v37, v37, v26, vcc
	v_cmp_eq_u32_e32 vcc, 25, v32
	ds_read_b32 v36, v35
	v_cndmask_b32_e32 v37, v37, v27, vcc
	v_cmp_eq_u32_e32 vcc, 26, v32
	v_cndmask_b32_e32 v37, v37, v28, vcc
	v_cmp_eq_u32_e32 vcc, 27, v32
	s_waitcnt vmcnt(2)
	v_cndmask_b32_e32 v37, v37, v29, vcc
	v_cmp_eq_u32_e32 vcc, 28, v32
	s_waitcnt vmcnt(1)
	;; [unrolled: 3-line block ×3, first 2 shown]
	v_cndmask_b32_e32 v37, v37, v31, vcc
	v_add_u32_e32 v35, 4, v35
	s_waitcnt lgkmcnt(0)
	v_fmac_f32_e32 v34, v37, v36
	s_andn2_b64 exec, exec, s[8:9]
	s_cbranch_execnz .LBB29_709
; %bb.710:
	s_or_b64 exec, exec, s[8:9]
.LBB29_711:
	s_or_b64 exec, exec, s[6:7]
	v_mov_b32_e32 v28, 0
	ds_read_b32 v28, v28 offset:104
	s_waitcnt lgkmcnt(0)
	v_mul_f32_e32 v28, v34, v28
.LBB29_712:
	s_or_b64 exec, exec, s[4:5]
	v_cmp_gt_u32_e32 vcc, 27, v0
	s_waitcnt vmcnt(2)
	ds_write_b32 v124, v29
	s_waitcnt lgkmcnt(0)
	; wave barrier
	s_and_saveexec_b64 s[4:5], vcc
	s_cbranch_execz .LBB29_722
; %bb.713:
	s_and_b64 vcc, exec, s[0:1]
	s_cbranch_vccnz .LBB29_715
; %bb.714:
	v_cmp_eq_u32_e32 vcc, 1, v0
	v_cndmask_b32_e32 v32, v2, v3, vcc
	v_cmp_eq_u32_e32 vcc, 2, v0
	v_cndmask_b32_e32 v32, v32, v4, vcc
	;; [unrolled: 2-line block ×25, first 2 shown]
	v_cmp_eq_u32_e32 vcc, 26, v0
	ds_read_b32 v33, v124
	v_cndmask_b32_e32 v32, v32, v28, vcc
	v_cmp_eq_u32_e32 vcc, 27, v0
	v_cndmask_b32_e32 v32, v32, v29, vcc
	v_cmp_eq_u32_e32 vcc, 28, v0
	s_waitcnt vmcnt(1)
	v_cndmask_b32_e32 v32, v32, v30, vcc
	v_cmp_eq_u32_e32 vcc, 29, v0
	s_waitcnt vmcnt(0)
	v_cndmask_b32_e32 v32, v32, v31, vcc
	s_waitcnt lgkmcnt(0)
	v_mul_f32_e32 v34, v32, v33
	s_cbranch_execz .LBB29_716
	s_branch .LBB29_717
.LBB29_715:
                                        ; implicit-def: $vgpr34
.LBB29_716:
	ds_read_b32 v34, v124
.LBB29_717:
	v_cmp_ne_u32_e32 vcc, 26, v0
	s_and_saveexec_b64 s[6:7], vcc
	s_cbranch_execz .LBB29_721
; %bb.718:
	v_mov_b32_e32 v32, 0x84
	v_lshl_add_u32 v35, v0, 2, v32
	v_mov_b32_e32 v33, v1
	s_mov_b64 s[8:9], 0
	v_mov_b32_e32 v32, v0
.LBB29_719:                             ; =>This Inner Loop Header: Depth=1
	v_add_co_u32_e32 v32, vcc, 1, v32
	v_addc_co_u32_e32 v33, vcc, 0, v33, vcc
	v_cmp_eq_u32_e32 vcc, 1, v32
	v_cndmask_b32_e32 v37, v2, v3, vcc
	v_cmp_lt_u32_e32 vcc, 25, v32
	v_cmp_eq_u32_e64 s[2:3], 2, v32
	v_cndmask_b32_e64 v37, v37, v4, s[2:3]
	s_or_b64 s[8:9], vcc, s[8:9]
	v_cmp_eq_u32_e32 vcc, 3, v32
	v_cndmask_b32_e32 v37, v37, v5, vcc
	v_cmp_eq_u32_e32 vcc, 4, v32
	v_cndmask_b32_e32 v37, v37, v6, vcc
	;; [unrolled: 2-line block ×22, first 2 shown]
	v_cmp_eq_u32_e32 vcc, 25, v32
	ds_read_b32 v36, v35
	v_cndmask_b32_e32 v37, v37, v27, vcc
	v_cmp_eq_u32_e32 vcc, 26, v32
	v_cndmask_b32_e32 v37, v37, v28, vcc
	v_cmp_eq_u32_e32 vcc, 27, v32
	;; [unrolled: 2-line block ×3, first 2 shown]
	s_waitcnt vmcnt(1)
	v_cndmask_b32_e32 v37, v37, v30, vcc
	v_cmp_eq_u32_e32 vcc, 29, v32
	s_waitcnt vmcnt(0)
	v_cndmask_b32_e32 v37, v37, v31, vcc
	v_add_u32_e32 v35, 4, v35
	s_waitcnt lgkmcnt(0)
	v_fmac_f32_e32 v34, v37, v36
	s_andn2_b64 exec, exec, s[8:9]
	s_cbranch_execnz .LBB29_719
; %bb.720:
	s_or_b64 exec, exec, s[8:9]
.LBB29_721:
	s_or_b64 exec, exec, s[6:7]
	v_mov_b32_e32 v29, 0
	ds_read_b32 v29, v29 offset:108
	s_waitcnt lgkmcnt(0)
	v_mul_f32_e32 v29, v34, v29
.LBB29_722:
	s_or_b64 exec, exec, s[4:5]
	v_cmp_gt_u32_e64 s[2:3], 28, v0
	s_waitcnt vmcnt(1)
	ds_write_b32 v124, v30
	s_waitcnt lgkmcnt(0)
	; wave barrier
	s_and_saveexec_b64 s[6:7], s[2:3]
	s_cbranch_execz .LBB29_732
; %bb.723:
	s_and_b64 vcc, exec, s[0:1]
	s_cbranch_vccnz .LBB29_725
; %bb.724:
	v_cmp_eq_u32_e32 vcc, 1, v0
	v_cndmask_b32_e32 v32, v2, v3, vcc
	v_cmp_eq_u32_e32 vcc, 2, v0
	v_cndmask_b32_e32 v32, v32, v4, vcc
	;; [unrolled: 2-line block ×25, first 2 shown]
	v_cmp_eq_u32_e32 vcc, 26, v0
	ds_read_b32 v33, v124
	v_cndmask_b32_e32 v32, v32, v28, vcc
	v_cmp_eq_u32_e32 vcc, 27, v0
	v_cndmask_b32_e32 v32, v32, v29, vcc
	v_cmp_eq_u32_e32 vcc, 28, v0
	;; [unrolled: 2-line block ×3, first 2 shown]
	s_waitcnt vmcnt(0)
	v_cndmask_b32_e32 v32, v32, v31, vcc
	s_waitcnt lgkmcnt(0)
	v_mul_f32_e32 v34, v32, v33
	s_cbranch_execz .LBB29_726
	s_branch .LBB29_727
.LBB29_725:
                                        ; implicit-def: $vgpr34
.LBB29_726:
	ds_read_b32 v34, v124
.LBB29_727:
	v_cmp_ne_u32_e32 vcc, 27, v0
	s_and_saveexec_b64 s[8:9], vcc
	s_cbranch_execz .LBB29_731
; %bb.728:
	v_mov_b32_e32 v32, 0x84
	v_lshl_add_u32 v35, v0, 2, v32
	v_mov_b32_e32 v33, v1
	s_mov_b64 s[10:11], 0
	v_mov_b32_e32 v32, v0
.LBB29_729:                             ; =>This Inner Loop Header: Depth=1
	v_add_co_u32_e32 v32, vcc, 1, v32
	v_addc_co_u32_e32 v33, vcc, 0, v33, vcc
	v_cmp_eq_u32_e32 vcc, 1, v32
	v_cndmask_b32_e32 v37, v2, v3, vcc
	v_cmp_lt_u32_e32 vcc, 26, v32
	v_cmp_eq_u32_e64 s[4:5], 2, v32
	v_cndmask_b32_e64 v37, v37, v4, s[4:5]
	s_or_b64 s[10:11], vcc, s[10:11]
	v_cmp_eq_u32_e32 vcc, 3, v32
	v_cndmask_b32_e32 v37, v37, v5, vcc
	v_cmp_eq_u32_e32 vcc, 4, v32
	v_cndmask_b32_e32 v37, v37, v6, vcc
	;; [unrolled: 2-line block ×22, first 2 shown]
	v_cmp_eq_u32_e32 vcc, 25, v32
	ds_read_b32 v36, v35
	v_cndmask_b32_e32 v37, v37, v27, vcc
	v_cmp_eq_u32_e32 vcc, 26, v32
	v_cndmask_b32_e32 v37, v37, v28, vcc
	v_cmp_eq_u32_e32 vcc, 27, v32
	;; [unrolled: 2-line block ×4, first 2 shown]
	s_waitcnt vmcnt(0)
	v_cndmask_b32_e32 v37, v37, v31, vcc
	v_add_u32_e32 v35, 4, v35
	s_waitcnt lgkmcnt(0)
	v_fmac_f32_e32 v34, v37, v36
	s_andn2_b64 exec, exec, s[10:11]
	s_cbranch_execnz .LBB29_729
; %bb.730:
	s_or_b64 exec, exec, s[10:11]
.LBB29_731:
	s_or_b64 exec, exec, s[8:9]
	v_mov_b32_e32 v30, 0
	ds_read_b32 v30, v30 offset:112
	s_waitcnt lgkmcnt(0)
	v_mul_f32_e32 v30, v34, v30
.LBB29_732:
	s_or_b64 exec, exec, s[6:7]
	v_cmp_ne_u32_e32 vcc, 29, v0
	s_waitcnt vmcnt(0)
	ds_write_b32 v124, v31
	s_waitcnt lgkmcnt(0)
	; wave barrier
	s_and_saveexec_b64 s[4:5], vcc
	s_cbranch_execz .LBB29_742
; %bb.733:
	s_and_b64 vcc, exec, s[0:1]
	s_cbranch_vccnz .LBB29_735
; %bb.734:
	v_cmp_eq_u32_e32 vcc, 1, v0
	v_cndmask_b32_e32 v32, v2, v3, vcc
	v_cmp_eq_u32_e32 vcc, 2, v0
	v_cndmask_b32_e32 v32, v32, v4, vcc
	;; [unrolled: 2-line block ×25, first 2 shown]
	v_cmp_eq_u32_e32 vcc, 26, v0
	ds_read_b32 v33, v124
	v_cndmask_b32_e32 v32, v32, v28, vcc
	v_cmp_eq_u32_e32 vcc, 27, v0
	v_cndmask_b32_e32 v32, v32, v29, vcc
	v_cmp_eq_u32_e32 vcc, 28, v0
	;; [unrolled: 2-line block ×3, first 2 shown]
	v_cndmask_b32_e32 v32, v32, v31, vcc
	s_waitcnt lgkmcnt(0)
	v_mul_f32_e32 v32, v32, v33
	s_cbranch_execz .LBB29_736
	s_branch .LBB29_737
.LBB29_735:
                                        ; implicit-def: $vgpr32
.LBB29_736:
	ds_read_b32 v32, v124
.LBB29_737:
	s_and_saveexec_b64 s[6:7], s[2:3]
	s_cbranch_execz .LBB29_741
; %bb.738:
	v_mov_b32_e32 v33, 0x84
	v_lshl_add_u32 v33, v0, 2, v33
	s_mov_b64 s[2:3], 0
.LBB29_739:                             ; =>This Inner Loop Header: Depth=1
	v_add_co_u32_e32 v0, vcc, 1, v0
	v_addc_co_u32_e32 v1, vcc, 0, v1, vcc
	v_cmp_eq_u32_e32 vcc, 1, v0
	v_cndmask_b32_e32 v35, v2, v3, vcc
	v_cmp_lt_u32_e32 vcc, 27, v0
	v_cmp_eq_u32_e64 s[0:1], 2, v0
	v_cndmask_b32_e64 v35, v35, v4, s[0:1]
	s_or_b64 s[2:3], vcc, s[2:3]
	v_cmp_eq_u32_e32 vcc, 3, v0
	v_cndmask_b32_e32 v35, v35, v5, vcc
	v_cmp_eq_u32_e32 vcc, 4, v0
	v_cndmask_b32_e32 v35, v35, v6, vcc
	;; [unrolled: 2-line block ×22, first 2 shown]
	v_cmp_eq_u32_e32 vcc, 25, v0
	ds_read_b32 v34, v33
	v_cndmask_b32_e32 v35, v35, v27, vcc
	v_cmp_eq_u32_e32 vcc, 26, v0
	v_cndmask_b32_e32 v35, v35, v28, vcc
	v_cmp_eq_u32_e32 vcc, 27, v0
	;; [unrolled: 2-line block ×4, first 2 shown]
	v_cndmask_b32_e32 v35, v35, v31, vcc
	v_add_u32_e32 v33, 4, v33
	s_waitcnt lgkmcnt(0)
	v_fmac_f32_e32 v32, v35, v34
	s_andn2_b64 exec, exec, s[2:3]
	s_cbranch_execnz .LBB29_739
; %bb.740:
	s_or_b64 exec, exec, s[2:3]
.LBB29_741:
	s_or_b64 exec, exec, s[6:7]
	v_mov_b32_e32 v0, 0
	ds_read_b32 v0, v0 offset:116
	s_waitcnt lgkmcnt(0)
	v_mul_f32_e32 v31, v32, v0
.LBB29_742:
	s_or_b64 exec, exec, s[4:5]
	v_mov_b32_e32 v63, v33
	v_mov_b32_e32 v62, v32
	;; [unrolled: 1-line block ×32, first 2 shown]
.LBB29_743:
	global_store_dword v[120:121], v32, off
	global_store_dword v[122:123], v33, off
	;; [unrolled: 1-line block ×30, first 2 shown]
.LBB29_744:
	s_endpgm
	.section	.rodata,"a",@progbits
	.p2align	6, 0x0
	.amdhsa_kernel _ZN9rocsolver6v33100L18trti2_kernel_smallILi30EfPfEEv13rocblas_fill_17rocblas_diagonal_T1_iil
		.amdhsa_group_segment_fixed_size 248
		.amdhsa_private_segment_fixed_size 0
		.amdhsa_kernarg_size 32
		.amdhsa_user_sgpr_count 6
		.amdhsa_user_sgpr_private_segment_buffer 1
		.amdhsa_user_sgpr_dispatch_ptr 0
		.amdhsa_user_sgpr_queue_ptr 0
		.amdhsa_user_sgpr_kernarg_segment_ptr 1
		.amdhsa_user_sgpr_dispatch_id 0
		.amdhsa_user_sgpr_flat_scratch_init 0
		.amdhsa_user_sgpr_private_segment_size 0
		.amdhsa_uses_dynamic_stack 0
		.amdhsa_system_sgpr_private_segment_wavefront_offset 0
		.amdhsa_system_sgpr_workgroup_id_x 1
		.amdhsa_system_sgpr_workgroup_id_y 0
		.amdhsa_system_sgpr_workgroup_id_z 0
		.amdhsa_system_sgpr_workgroup_info 0
		.amdhsa_system_vgpr_workitem_id 0
		.amdhsa_next_free_vgpr 142
		.amdhsa_next_free_sgpr 72
		.amdhsa_reserve_vcc 1
		.amdhsa_reserve_flat_scratch 0
		.amdhsa_float_round_mode_32 0
		.amdhsa_float_round_mode_16_64 0
		.amdhsa_float_denorm_mode_32 3
		.amdhsa_float_denorm_mode_16_64 3
		.amdhsa_dx10_clamp 1
		.amdhsa_ieee_mode 1
		.amdhsa_fp16_overflow 0
		.amdhsa_exception_fp_ieee_invalid_op 0
		.amdhsa_exception_fp_denorm_src 0
		.amdhsa_exception_fp_ieee_div_zero 0
		.amdhsa_exception_fp_ieee_overflow 0
		.amdhsa_exception_fp_ieee_underflow 0
		.amdhsa_exception_fp_ieee_inexact 0
		.amdhsa_exception_int_div_zero 0
	.end_amdhsa_kernel
	.section	.text._ZN9rocsolver6v33100L18trti2_kernel_smallILi30EfPfEEv13rocblas_fill_17rocblas_diagonal_T1_iil,"axG",@progbits,_ZN9rocsolver6v33100L18trti2_kernel_smallILi30EfPfEEv13rocblas_fill_17rocblas_diagonal_T1_iil,comdat
.Lfunc_end29:
	.size	_ZN9rocsolver6v33100L18trti2_kernel_smallILi30EfPfEEv13rocblas_fill_17rocblas_diagonal_T1_iil, .Lfunc_end29-_ZN9rocsolver6v33100L18trti2_kernel_smallILi30EfPfEEv13rocblas_fill_17rocblas_diagonal_T1_iil
                                        ; -- End function
	.set _ZN9rocsolver6v33100L18trti2_kernel_smallILi30EfPfEEv13rocblas_fill_17rocblas_diagonal_T1_iil.num_vgpr, 142
	.set _ZN9rocsolver6v33100L18trti2_kernel_smallILi30EfPfEEv13rocblas_fill_17rocblas_diagonal_T1_iil.num_agpr, 0
	.set _ZN9rocsolver6v33100L18trti2_kernel_smallILi30EfPfEEv13rocblas_fill_17rocblas_diagonal_T1_iil.numbered_sgpr, 72
	.set _ZN9rocsolver6v33100L18trti2_kernel_smallILi30EfPfEEv13rocblas_fill_17rocblas_diagonal_T1_iil.num_named_barrier, 0
	.set _ZN9rocsolver6v33100L18trti2_kernel_smallILi30EfPfEEv13rocblas_fill_17rocblas_diagonal_T1_iil.private_seg_size, 0
	.set _ZN9rocsolver6v33100L18trti2_kernel_smallILi30EfPfEEv13rocblas_fill_17rocblas_diagonal_T1_iil.uses_vcc, 1
	.set _ZN9rocsolver6v33100L18trti2_kernel_smallILi30EfPfEEv13rocblas_fill_17rocblas_diagonal_T1_iil.uses_flat_scratch, 0
	.set _ZN9rocsolver6v33100L18trti2_kernel_smallILi30EfPfEEv13rocblas_fill_17rocblas_diagonal_T1_iil.has_dyn_sized_stack, 0
	.set _ZN9rocsolver6v33100L18trti2_kernel_smallILi30EfPfEEv13rocblas_fill_17rocblas_diagonal_T1_iil.has_recursion, 0
	.set _ZN9rocsolver6v33100L18trti2_kernel_smallILi30EfPfEEv13rocblas_fill_17rocblas_diagonal_T1_iil.has_indirect_call, 0
	.section	.AMDGPU.csdata,"",@progbits
; Kernel info:
; codeLenInByte = 50448
; TotalNumSgprs: 76
; NumVgprs: 142
; ScratchSize: 0
; MemoryBound: 0
; FloatMode: 240
; IeeeMode: 1
; LDSByteSize: 248 bytes/workgroup (compile time only)
; SGPRBlocks: 9
; VGPRBlocks: 35
; NumSGPRsForWavesPerEU: 76
; NumVGPRsForWavesPerEU: 142
; Occupancy: 1
; WaveLimiterHint : 0
; COMPUTE_PGM_RSRC2:SCRATCH_EN: 0
; COMPUTE_PGM_RSRC2:USER_SGPR: 6
; COMPUTE_PGM_RSRC2:TRAP_HANDLER: 0
; COMPUTE_PGM_RSRC2:TGID_X_EN: 1
; COMPUTE_PGM_RSRC2:TGID_Y_EN: 0
; COMPUTE_PGM_RSRC2:TGID_Z_EN: 0
; COMPUTE_PGM_RSRC2:TIDIG_COMP_CNT: 0
	.section	.text._ZN9rocsolver6v33100L18trti2_kernel_smallILi31EfPfEEv13rocblas_fill_17rocblas_diagonal_T1_iil,"axG",@progbits,_ZN9rocsolver6v33100L18trti2_kernel_smallILi31EfPfEEv13rocblas_fill_17rocblas_diagonal_T1_iil,comdat
	.globl	_ZN9rocsolver6v33100L18trti2_kernel_smallILi31EfPfEEv13rocblas_fill_17rocblas_diagonal_T1_iil ; -- Begin function _ZN9rocsolver6v33100L18trti2_kernel_smallILi31EfPfEEv13rocblas_fill_17rocblas_diagonal_T1_iil
	.p2align	8
	.type	_ZN9rocsolver6v33100L18trti2_kernel_smallILi31EfPfEEv13rocblas_fill_17rocblas_diagonal_T1_iil,@function
_ZN9rocsolver6v33100L18trti2_kernel_smallILi31EfPfEEv13rocblas_fill_17rocblas_diagonal_T1_iil: ; @_ZN9rocsolver6v33100L18trti2_kernel_smallILi31EfPfEEv13rocblas_fill_17rocblas_diagonal_T1_iil
; %bb.0:
	v_cmp_gt_u32_e32 vcc, 31, v0
	s_and_saveexec_b64 s[0:1], vcc
	s_cbranch_execz .LBB30_770
; %bb.1:
	s_load_dwordx8 s[64:71], s[4:5], 0x0
	s_ashr_i32 s2, s6, 31
	v_lshlrev_b32_e32 v33, 2, v0
	v_mov_b32_e32 v34, -1.0
	s_waitcnt lgkmcnt(0)
	s_mul_hi_u32 s3, s70, s6
	s_mul_i32 s2, s70, s2
	s_add_i32 s2, s3, s2
	s_mul_i32 s3, s71, s6
	s_add_i32 s3, s2, s3
	s_mul_i32 s2, s70, s6
	s_ashr_i32 s1, s68, 31
	s_lshl_b64 s[2:3], s[2:3], 2
	s_mov_b32 s0, s68
	s_add_u32 s2, s66, s2
	s_addc_u32 s3, s67, s3
	s_lshl_b64 s[0:1], s[0:1], 2
	s_add_u32 s0, s2, s0
	s_addc_u32 s1, s3, s1
	s_add_i32 s2, s69, s69
	v_add_u32_e32 v1, s2, v0
	v_ashrrev_i32_e32 v2, 31, v1
	v_lshlrev_b64 v[2:3], 2, v[1:2]
	v_add_u32_e32 v1, s69, v1
	v_mov_b32_e32 v4, s1
	v_add_co_u32_e32 v65, vcc, s0, v2
	v_ashrrev_i32_e32 v2, 31, v1
	v_addc_co_u32_e32 v66, vcc, v4, v3, vcc
	v_lshlrev_b64 v[2:3], 2, v[1:2]
	v_add_u32_e32 v1, s69, v1
	v_add_co_u32_e32 v67, vcc, s0, v2
	v_ashrrev_i32_e32 v2, 31, v1
	v_addc_co_u32_e32 v68, vcc, v4, v3, vcc
	v_lshlrev_b64 v[2:3], 2, v[1:2]
	v_add_u32_e32 v1, s69, v1
	;; [unrolled: 5-line block ×27, first 2 shown]
	v_add_co_u32_e32 v119, vcc, s0, v2
	v_ashrrev_i32_e32 v2, 31, v1
	v_lshlrev_b64 v[1:2], 2, v[1:2]
	v_addc_co_u32_e32 v120, vcc, v4, v3, vcc
	v_mov_b32_e32 v3, s1
	v_add_co_u32_e32 v121, vcc, s0, v1
	v_addc_co_u32_e32 v122, vcc, v3, v2, vcc
	v_mov_b32_e32 v1, s1
	v_add_co_u32_e32 v123, vcc, s0, v33
	s_ashr_i32 s3, s69, 31
	s_mov_b32 s2, s69
	v_addc_co_u32_e32 v124, vcc, 0, v1, vcc
	s_lshl_b64 s[2:3], s[2:3], 2
	v_mov_b32_e32 v1, s3
	v_add_co_u32_e32 v125, vcc, s2, v123
	v_addc_co_u32_e32 v126, vcc, v124, v1, vcc
	global_load_dword v3, v[125:126], off
	global_load_dword v4, v[65:66], off
	;; [unrolled: 1-line block ×24, first 2 shown]
	global_load_dword v2, v33, s[0:1]
	global_load_dword v27, v[111:112], off
	global_load_dword v28, v[113:114], off
	;; [unrolled: 1-line block ×5, first 2 shown]
                                        ; kill: killed $sgpr0 killed $sgpr1
	global_load_dword v32, v[121:122], off
	s_cmpk_lg_i32 s65, 0x84
	v_mov_b32_e32 v1, 0
	s_cselect_b64 s[66:67], -1, 0
	s_cmpk_eq_i32 s65, 0x84
	v_cmp_eq_u32_e64 s[0:1], 0, v0
	s_cbranch_scc1 .LBB30_3
; %bb.2:
	v_cmp_eq_u32_e64 s[2:3], 1, v0
	s_waitcnt vmcnt(6)
	v_cndmask_b32_e64 v34, v2, v3, s[2:3]
	v_cmp_eq_u32_e64 s[4:5], 2, v0
	v_cndmask_b32_e64 v34, v34, v4, s[4:5]
	v_cmp_eq_u32_e64 s[6:7], 3, v0
	;; [unrolled: 2-line block ×24, first 2 shown]
	s_waitcnt vmcnt(5)
	v_cndmask_b32_e64 v34, v34, v27, s[52:53]
	v_cmp_eq_u32_e64 s[54:55], 26, v0
	s_waitcnt vmcnt(4)
	v_cndmask_b32_e64 v34, v34, v28, s[54:55]
	v_cmp_eq_u32_e64 s[56:57], 27, v0
	s_waitcnt vmcnt(3)
	v_cndmask_b32_e64 v34, v34, v29, s[56:57]
	v_cmp_eq_u32_e64 s[58:59], 28, v0
	s_waitcnt vmcnt(2)
	v_cndmask_b32_e64 v34, v34, v30, s[58:59]
	v_cmp_eq_u32_e64 s[60:61], 29, v0
	s_waitcnt vmcnt(1)
	v_cndmask_b32_e64 v34, v34, v31, s[60:61]
	v_cmp_eq_u32_e64 s[62:63], 30, v0
	s_waitcnt vmcnt(0)
	v_cndmask_b32_e64 v34, v34, v32, s[62:63]
	v_div_scale_f32 v35, s[68:69], v34, v34, 1.0
	v_div_scale_f32 v36, vcc, 1.0, v34, 1.0
	v_rcp_f32_e32 v37, v35
	v_fma_f32 v38, -v35, v37, 1.0
	v_fmac_f32_e32 v37, v38, v37
	v_mul_f32_e32 v38, v36, v37
	v_fma_f32 v39, -v35, v38, v36
	v_fmac_f32_e32 v38, v39, v37
	v_fma_f32 v35, -v35, v38, v36
	v_div_fmas_f32 v35, v35, v37, v38
	v_div_fixup_f32 v34, v35, v34, 1.0
	v_cndmask_b32_e64 v32, v32, v34, s[62:63]
	v_cndmask_b32_e64 v31, v31, v34, s[60:61]
	;; [unrolled: 1-line block ×31, first 2 shown]
	v_xor_b32_e32 v34, 0x80000000, v34
.LBB30_3:
	s_cmpk_eq_i32 s64, 0x79
	v_add_u32_e32 v127, 0x80, v33
	ds_write_b32 v33, v34
	s_cbranch_scc1 .LBB30_7
; %bb.4:
	s_waitcnt vmcnt(0)
	v_mov_b32_e32 v64, v33
	v_mov_b32_e32 v63, v32
	;; [unrolled: 1-line block ×32, first 2 shown]
	v_cmp_eq_u32_e64 s[2:3], 30, v0
	ds_write_b32 v127, v31
	s_waitcnt lgkmcnt(0)
	; wave barrier
	s_and_saveexec_b64 s[0:1], s[2:3]
	s_cbranch_execz .LBB30_11
; %bb.5:
	s_and_b64 vcc, exec, s[66:67]
	s_cbranch_vccz .LBB30_8
; %bb.6:
	v_cmp_eq_u32_e32 vcc, 1, v0
	v_cndmask_b32_e32 v33, v2, v3, vcc
	v_cmp_eq_u32_e32 vcc, 2, v0
	v_cndmask_b32_e32 v33, v33, v4, vcc
	v_cmp_eq_u32_e32 vcc, 3, v0
	v_cndmask_b32_e32 v33, v33, v5, vcc
	v_cmp_eq_u32_e32 vcc, 4, v0
	v_cndmask_b32_e32 v33, v33, v6, vcc
	v_cmp_eq_u32_e32 vcc, 5, v0
	v_cndmask_b32_e32 v33, v33, v7, vcc
	v_cmp_eq_u32_e32 vcc, 6, v0
	v_cndmask_b32_e32 v33, v33, v8, vcc
	v_cmp_eq_u32_e32 vcc, 7, v0
	v_cndmask_b32_e32 v33, v33, v9, vcc
	v_cmp_eq_u32_e32 vcc, 8, v0
	v_cndmask_b32_e32 v33, v33, v10, vcc
	v_cmp_eq_u32_e32 vcc, 9, v0
	v_cndmask_b32_e32 v33, v33, v11, vcc
	v_cmp_eq_u32_e32 vcc, 10, v0
	v_cndmask_b32_e32 v33, v33, v12, vcc
	v_cmp_eq_u32_e32 vcc, 11, v0
	v_cndmask_b32_e32 v33, v33, v13, vcc
	v_cmp_eq_u32_e32 vcc, 12, v0
	v_cndmask_b32_e32 v33, v33, v14, vcc
	v_cmp_eq_u32_e32 vcc, 13, v0
	v_cndmask_b32_e32 v33, v33, v15, vcc
	v_cmp_eq_u32_e32 vcc, 14, v0
	v_cndmask_b32_e32 v33, v33, v16, vcc
	v_cmp_eq_u32_e32 vcc, 15, v0
	v_cndmask_b32_e32 v33, v33, v17, vcc
	v_cmp_eq_u32_e32 vcc, 16, v0
	v_cndmask_b32_e32 v33, v33, v18, vcc
	v_cmp_eq_u32_e32 vcc, 17, v0
	v_cndmask_b32_e32 v33, v33, v19, vcc
	v_cmp_eq_u32_e32 vcc, 18, v0
	v_cndmask_b32_e32 v33, v33, v20, vcc
	v_cmp_eq_u32_e32 vcc, 19, v0
	v_cndmask_b32_e32 v33, v33, v21, vcc
	v_cmp_eq_u32_e32 vcc, 20, v0
	v_cndmask_b32_e32 v33, v33, v22, vcc
	v_cmp_eq_u32_e32 vcc, 21, v0
	v_cndmask_b32_e32 v33, v33, v23, vcc
	v_cmp_eq_u32_e32 vcc, 22, v0
	v_cndmask_b32_e32 v33, v33, v24, vcc
	v_cmp_eq_u32_e32 vcc, 23, v0
	v_cndmask_b32_e32 v33, v33, v25, vcc
	v_cmp_eq_u32_e32 vcc, 24, v0
	v_cndmask_b32_e32 v33, v33, v26, vcc
	v_cmp_eq_u32_e32 vcc, 25, v0
	v_cndmask_b32_e32 v33, v33, v27, vcc
	v_cmp_eq_u32_e32 vcc, 26, v0
	v_cndmask_b32_e32 v33, v33, v28, vcc
	v_cmp_eq_u32_e32 vcc, 27, v0
	ds_read_b32 v34, v127
	v_cndmask_b32_e32 v33, v33, v29, vcc
	v_cmp_eq_u32_e32 vcc, 28, v0
	v_cndmask_b32_e32 v33, v33, v30, vcc
	v_cmp_eq_u32_e32 vcc, 29, v0
	;; [unrolled: 2-line block ×3, first 2 shown]
	v_cndmask_b32_e32 v33, v33, v32, vcc
	s_waitcnt lgkmcnt(0)
	v_mul_f32_e32 v37, v33, v34
	s_cbranch_execz .LBB30_9
	s_branch .LBB30_10
.LBB30_7:
                                        ; implicit-def: $vgpr33_vgpr34_vgpr35_vgpr36_vgpr37_vgpr38_vgpr39_vgpr40_vgpr41_vgpr42_vgpr43_vgpr44_vgpr45_vgpr46_vgpr47_vgpr48_vgpr49_vgpr50_vgpr51_vgpr52_vgpr53_vgpr54_vgpr55_vgpr56_vgpr57_vgpr58_vgpr59_vgpr60_vgpr61_vgpr62_vgpr63_vgpr64
	s_cbranch_execnz .LBB30_466
	s_branch .LBB30_769
.LBB30_8:
                                        ; implicit-def: $vgpr37
.LBB30_9:
	ds_read_b32 v37, v127
.LBB30_10:
	v_mov_b32_e32 v33, 0
	ds_read_b32 v38, v33 offset:116
	v_mov_b32_e32 v33, v2
	v_mov_b32_e32 v34, v3
	;; [unrolled: 1-line block ×4, first 2 shown]
	s_waitcnt lgkmcnt(0)
	v_mul_f32_e32 v62, v37, v38
	v_mov_b32_e32 v37, v6
	v_mov_b32_e32 v38, v7
	;; [unrolled: 1-line block ×26, first 2 shown]
.LBB30_11:
	s_or_b64 exec, exec, s[0:1]
	v_cmp_lt_u32_e64 s[0:1], 28, v0
	ds_write_b32 v127, v61
	s_waitcnt lgkmcnt(0)
	; wave barrier
	s_and_saveexec_b64 s[4:5], s[0:1]
	s_cbranch_execz .LBB30_17
; %bb.12:
	s_andn2_b64 vcc, exec, s[66:67]
	s_cbranch_vccnz .LBB30_14
; %bb.13:
	v_cmp_eq_u32_e32 vcc, 1, v0
	v_cndmask_b32_e32 v64, v33, v34, vcc
	v_cmp_eq_u32_e32 vcc, 2, v0
	v_cndmask_b32_e32 v64, v64, v35, vcc
	;; [unrolled: 2-line block ×28, first 2 shown]
	ds_read_b32 v64, v127
	v_cmp_eq_u32_e32 vcc, 29, v0
	v_cndmask_b32_e32 v61, v61, v62, vcc
	v_cmp_eq_u32_e32 vcc, 30, v0
	v_cndmask_b32_e32 v61, v61, v63, vcc
	s_waitcnt lgkmcnt(0)
	v_mul_f32_e32 v61, v61, v64
	s_cbranch_execz .LBB30_15
	s_branch .LBB30_16
.LBB30_14:
                                        ; implicit-def: $vgpr61
.LBB30_15:
	ds_read_b32 v61, v127
.LBB30_16:
	v_mov_b32_e32 v64, 0
	ds_read2_b32 v[128:129], v64 offset0:28 offset1:61
	s_waitcnt lgkmcnt(0)
	v_fma_f32 v64, v62, v129, v61
	v_cndmask_b32_e64 v61, v61, v64, s[2:3]
	v_mul_f32_e32 v61, v61, v128
.LBB30_17:
	s_or_b64 exec, exec, s[4:5]
	v_cmp_lt_u32_e64 s[2:3], 27, v0
	ds_write_b32 v127, v60
	s_waitcnt lgkmcnt(0)
	; wave barrier
	s_and_saveexec_b64 s[4:5], s[2:3]
	s_cbranch_execz .LBB30_33
; %bb.18:
	s_andn2_b64 vcc, exec, s[66:67]
	s_cbranch_vccnz .LBB30_20
; %bb.19:
	v_cmp_eq_u32_e32 vcc, 1, v0
	v_cndmask_b32_e32 v128, v33, v34, vcc
	v_cmp_eq_u32_e32 vcc, 2, v0
	v_cndmask_b32_e32 v128, v128, v35, vcc
	;; [unrolled: 2-line block ×26, first 2 shown]
	v_cmp_eq_u32_e32 vcc, 27, v0
	ds_read_b32 v129, v127
	v_cndmask_b32_e32 v128, v128, v60, vcc
	v_cmp_eq_u32_e32 vcc, 28, v0
	v_cndmask_b32_e32 v128, v128, v61, vcc
	v_cmp_eq_u32_e32 vcc, 29, v0
	;; [unrolled: 2-line block ×3, first 2 shown]
	v_cndmask_b32_e32 v128, v128, v63, vcc
	s_waitcnt lgkmcnt(0)
	v_mul_f32_e32 v128, v128, v129
	s_cbranch_execz .LBB30_21
	s_branch .LBB30_22
.LBB30_20:
                                        ; implicit-def: $vgpr128
.LBB30_21:
	ds_read_b32 v128, v127
.LBB30_22:
	s_and_saveexec_b64 s[6:7], s[0:1]
	s_cbranch_execz .LBB30_32
; %bb.23:
	v_subrev_u32_e32 v131, 29, v0
	v_mov_b32_e32 v129, 28
	v_subrev_u32_e32 v130, 28, v0
	v_cmp_lt_u32_e32 vcc, 6, v131
	s_and_saveexec_b64 s[0:1], vcc
	s_cbranch_execz .LBB30_27
; %bb.24:
	v_and_b32_e32 v129, -8, v130
	v_sub_u32_e32 v131, 0, v129
	s_mov_b64 s[8:9], 35
	s_movk_i32 s12, 0xf0
	s_mov_b64 s[10:11], 0
.LBB30_25:                              ; =>This Inner Loop Header: Depth=1
	s_add_i32 s13, s8, -7
	v_mov_b32_e32 v129, s12
	s_add_i32 s14, s8, -6
	s_set_gpr_idx_on s13, gpr_idx(SRC0)
	v_mov_b32_e32 v140, v33
	s_set_gpr_idx_off
	s_add_i32 s15, s8, -5
	ds_read_b128 v[132:135], v129
	ds_read_b128 v[136:139], v129 offset:16
	s_set_gpr_idx_on s14, gpr_idx(SRC0)
	v_mov_b32_e32 v129, v33
	s_set_gpr_idx_off
	s_add_i32 s16, s8, -4
	s_set_gpr_idx_on s15, gpr_idx(SRC0)
	v_mov_b32_e32 v141, v33
	s_set_gpr_idx_off
	s_add_i32 s17, s8, -3
	;; [unrolled: 4-line block ×4, first 2 shown]
	s_waitcnt lgkmcnt(1)
	v_fmac_f32_e32 v128, v140, v132
	s_set_gpr_idx_on s18, gpr_idx(SRC0)
	v_mov_b32_e32 v132, v33
	s_set_gpr_idx_off
	v_fmac_f32_e32 v128, v129, v133
	s_set_gpr_idx_on s19, gpr_idx(SRC0)
	v_mov_b32_e32 v133, v33
	s_set_gpr_idx_off
	;; [unrolled: 4-line block ×3, first 2 shown]
	v_fmac_f32_e32 v128, v142, v135
	s_add_u32 s8, s8, 8
	s_waitcnt lgkmcnt(0)
	v_fmac_f32_e32 v128, v143, v136
	v_add_u32_e32 v129, s8, v131
	v_fmac_f32_e32 v128, v132, v137
	s_addc_u32 s9, s9, 0
	s_add_i32 s12, s12, 32
	s_add_i32 s13, s8, -7
	v_cmp_eq_u32_e32 vcc, 35, v129
	v_fmac_f32_e32 v128, v133, v138
	v_mov_b32_e32 v129, s13
	s_or_b64 s[10:11], vcc, s[10:11]
	v_fmac_f32_e32 v128, v134, v139
	s_andn2_b64 exec, exec, s[10:11]
	s_cbranch_execnz .LBB30_25
; %bb.26:
	s_or_b64 exec, exec, s[10:11]
.LBB30_27:
	s_or_b64 exec, exec, s[0:1]
	v_and_b32_e32 v64, 7, v130
	v_cmp_ne_u32_e32 vcc, 0, v64
	s_and_saveexec_b64 s[8:9], vcc
	s_cbranch_execz .LBB30_31
; %bb.28:
	v_mov_b32_e32 v130, 0x80
	v_lshl_add_u32 v130, v129, 2, v130
	v_mov_b32_e32 v131, 0
	s_mov_b64 s[10:11], 0
.LBB30_29:                              ; =>This Inner Loop Header: Depth=1
	v_cmp_eq_u32_e32 vcc, 1, v129
	v_cndmask_b32_e32 v132, v33, v34, vcc
	v_add_u32_e32 v64, -1, v64
	v_cmp_eq_u32_e32 vcc, 2, v129
	v_cndmask_b32_e32 v132, v132, v35, vcc
	v_cmp_eq_u32_e32 vcc, 0, v64
	v_cmp_eq_u32_e64 s[0:1], 3, v129
	v_cndmask_b32_e64 v132, v132, v36, s[0:1]
	s_or_b64 s[10:11], vcc, s[10:11]
	v_cmp_eq_u32_e32 vcc, 4, v129
	v_cndmask_b32_e32 v132, v132, v37, vcc
	v_cmp_eq_u32_e32 vcc, 5, v129
	v_cndmask_b32_e32 v132, v132, v38, vcc
	;; [unrolled: 2-line block ×22, first 2 shown]
	v_cmp_eq_u32_e32 vcc, 26, v129
	ds_read_b32 v133, v130
	v_cndmask_b32_e32 v132, v132, v59, vcc
	v_cmp_eq_u32_e32 vcc, 27, v129
	v_cndmask_b32_e32 v132, v132, v60, vcc
	v_cmp_eq_u32_e32 vcc, 28, v129
	;; [unrolled: 2-line block ×4, first 2 shown]
	v_add_co_u32_e64 v129, s[0:1], 1, v129
	v_cndmask_b32_e32 v132, v132, v63, vcc
	v_add_u32_e32 v130, 4, v130
	v_addc_co_u32_e64 v131, s[0:1], 0, v131, s[0:1]
	s_waitcnt lgkmcnt(0)
	v_fmac_f32_e32 v128, v132, v133
	s_andn2_b64 exec, exec, s[10:11]
	s_cbranch_execnz .LBB30_29
; %bb.30:
	s_or_b64 exec, exec, s[10:11]
.LBB30_31:
	s_or_b64 exec, exec, s[8:9]
.LBB30_32:
	s_or_b64 exec, exec, s[6:7]
	v_mov_b32_e32 v60, 0
	ds_read_b32 v60, v60 offset:108
	s_waitcnt lgkmcnt(0)
	v_mul_f32_e32 v60, v128, v60
.LBB30_33:
	s_or_b64 exec, exec, s[4:5]
	v_cmp_lt_u32_e64 s[0:1], 26, v0
	ds_write_b32 v127, v59
	s_waitcnt lgkmcnt(0)
	; wave barrier
	s_and_saveexec_b64 s[4:5], s[0:1]
	s_cbranch_execz .LBB30_49
; %bb.34:
	s_andn2_b64 vcc, exec, s[66:67]
	s_cbranch_vccnz .LBB30_36
; %bb.35:
	v_cmp_eq_u32_e32 vcc, 1, v0
	v_cndmask_b32_e32 v128, v33, v34, vcc
	v_cmp_eq_u32_e32 vcc, 2, v0
	v_cndmask_b32_e32 v128, v128, v35, vcc
	;; [unrolled: 2-line block ×26, first 2 shown]
	v_cmp_eq_u32_e32 vcc, 27, v0
	ds_read_b32 v129, v127
	v_cndmask_b32_e32 v128, v128, v60, vcc
	v_cmp_eq_u32_e32 vcc, 28, v0
	v_cndmask_b32_e32 v128, v128, v61, vcc
	v_cmp_eq_u32_e32 vcc, 29, v0
	;; [unrolled: 2-line block ×3, first 2 shown]
	v_cndmask_b32_e32 v128, v128, v63, vcc
	s_waitcnt lgkmcnt(0)
	v_mul_f32_e32 v128, v128, v129
	s_cbranch_execz .LBB30_37
	s_branch .LBB30_38
.LBB30_36:
                                        ; implicit-def: $vgpr128
.LBB30_37:
	ds_read_b32 v128, v127
.LBB30_38:
	s_and_saveexec_b64 s[6:7], s[2:3]
	s_cbranch_execz .LBB30_48
; %bb.39:
	v_subrev_u32_e32 v131, 28, v0
	v_mov_b32_e32 v129, 27
	v_subrev_u32_e32 v130, 27, v0
	v_cmp_lt_u32_e32 vcc, 6, v131
	s_and_saveexec_b64 s[2:3], vcc
	s_cbranch_execz .LBB30_43
; %bb.40:
	v_and_b32_e32 v129, -8, v130
	v_sub_u32_e32 v131, 0, v129
	s_mov_b64 s[8:9], 34
	s_movk_i32 s12, 0xec
	s_mov_b64 s[10:11], 0
.LBB30_41:                              ; =>This Inner Loop Header: Depth=1
	s_add_i32 s13, s8, -7
	v_mov_b32_e32 v129, s12
	s_add_i32 s14, s8, -6
	s_set_gpr_idx_on s13, gpr_idx(SRC0)
	v_mov_b32_e32 v138, v33
	s_set_gpr_idx_off
	ds_read2_b32 v[132:133], v129 offset1:1
	s_add_i32 s15, s8, -5
	s_set_gpr_idx_on s14, gpr_idx(SRC0)
	v_mov_b32_e32 v139, v33
	s_set_gpr_idx_off
	s_add_i32 s16, s8, -4
	s_set_gpr_idx_on s15, gpr_idx(SRC0)
	v_mov_b32_e32 v140, v33
	s_set_gpr_idx_off
	ds_read2_b32 v[134:135], v129 offset0:2 offset1:3
	s_add_i32 s17, s8, -3
	s_set_gpr_idx_on s16, gpr_idx(SRC0)
	v_mov_b32_e32 v141, v33
	s_set_gpr_idx_off
	s_add_i32 s18, s8, -2
	s_set_gpr_idx_on s17, gpr_idx(SRC0)
	v_mov_b32_e32 v142, v33
	s_set_gpr_idx_off
	ds_read2_b32 v[136:137], v129 offset0:4 offset1:5
	s_add_i32 s19, s8, -1
	s_waitcnt lgkmcnt(2)
	v_fmac_f32_e32 v128, v138, v132
	s_set_gpr_idx_on s18, gpr_idx(SRC0)
	v_mov_b32_e32 v138, v33
	s_set_gpr_idx_off
	v_fmac_f32_e32 v128, v139, v133
	s_set_gpr_idx_on s19, gpr_idx(SRC0)
	v_mov_b32_e32 v139, v33
	s_set_gpr_idx_off
	ds_read2_b32 v[132:133], v129 offset0:6 offset1:7
	s_waitcnt lgkmcnt(2)
	v_fmac_f32_e32 v128, v140, v134
	s_set_gpr_idx_on s8, gpr_idx(SRC0)
	v_mov_b32_e32 v134, v33
	s_set_gpr_idx_off
	v_fmac_f32_e32 v128, v141, v135
	s_add_u32 s8, s8, 8
	s_waitcnt lgkmcnt(1)
	v_fmac_f32_e32 v128, v142, v136
	v_add_u32_e32 v129, s8, v131
	v_fmac_f32_e32 v128, v138, v137
	s_addc_u32 s9, s9, 0
	s_add_i32 s12, s12, 32
	s_add_i32 s13, s8, -7
	v_cmp_eq_u32_e32 vcc, 34, v129
	s_waitcnt lgkmcnt(0)
	v_fmac_f32_e32 v128, v139, v132
	v_mov_b32_e32 v129, s13
	s_or_b64 s[10:11], vcc, s[10:11]
	v_fmac_f32_e32 v128, v134, v133
	s_andn2_b64 exec, exec, s[10:11]
	s_cbranch_execnz .LBB30_41
; %bb.42:
	s_or_b64 exec, exec, s[10:11]
.LBB30_43:
	s_or_b64 exec, exec, s[2:3]
	v_and_b32_e32 v64, 7, v130
	v_cmp_ne_u32_e32 vcc, 0, v64
	s_and_saveexec_b64 s[8:9], vcc
	s_cbranch_execz .LBB30_47
; %bb.44:
	v_mov_b32_e32 v130, 0x80
	v_lshl_add_u32 v130, v129, 2, v130
	v_mov_b32_e32 v131, 0
	s_mov_b64 s[10:11], 0
.LBB30_45:                              ; =>This Inner Loop Header: Depth=1
	v_cmp_eq_u32_e32 vcc, 1, v129
	v_cndmask_b32_e32 v132, v33, v34, vcc
	v_add_u32_e32 v64, -1, v64
	v_cmp_eq_u32_e32 vcc, 2, v129
	v_cndmask_b32_e32 v132, v132, v35, vcc
	v_cmp_eq_u32_e32 vcc, 0, v64
	v_cmp_eq_u32_e64 s[2:3], 3, v129
	v_cndmask_b32_e64 v132, v132, v36, s[2:3]
	s_or_b64 s[10:11], vcc, s[10:11]
	v_cmp_eq_u32_e32 vcc, 4, v129
	v_cndmask_b32_e32 v132, v132, v37, vcc
	v_cmp_eq_u32_e32 vcc, 5, v129
	v_cndmask_b32_e32 v132, v132, v38, vcc
	;; [unrolled: 2-line block ×22, first 2 shown]
	v_cmp_eq_u32_e32 vcc, 26, v129
	ds_read_b32 v133, v130
	v_cndmask_b32_e32 v132, v132, v59, vcc
	v_cmp_eq_u32_e32 vcc, 27, v129
	v_cndmask_b32_e32 v132, v132, v60, vcc
	v_cmp_eq_u32_e32 vcc, 28, v129
	;; [unrolled: 2-line block ×4, first 2 shown]
	v_add_co_u32_e64 v129, s[2:3], 1, v129
	v_cndmask_b32_e32 v132, v132, v63, vcc
	v_add_u32_e32 v130, 4, v130
	v_addc_co_u32_e64 v131, s[2:3], 0, v131, s[2:3]
	s_waitcnt lgkmcnt(0)
	v_fmac_f32_e32 v128, v132, v133
	s_andn2_b64 exec, exec, s[10:11]
	s_cbranch_execnz .LBB30_45
; %bb.46:
	s_or_b64 exec, exec, s[10:11]
.LBB30_47:
	s_or_b64 exec, exec, s[8:9]
.LBB30_48:
	s_or_b64 exec, exec, s[6:7]
	v_mov_b32_e32 v59, 0
	ds_read_b32 v59, v59 offset:104
	s_waitcnt lgkmcnt(0)
	v_mul_f32_e32 v59, v128, v59
.LBB30_49:
	s_or_b64 exec, exec, s[4:5]
	v_cmp_lt_u32_e64 s[2:3], 25, v0
	ds_write_b32 v127, v58
	s_waitcnt lgkmcnt(0)
	; wave barrier
	s_and_saveexec_b64 s[4:5], s[2:3]
	s_cbranch_execz .LBB30_65
; %bb.50:
	s_andn2_b64 vcc, exec, s[66:67]
	s_cbranch_vccnz .LBB30_52
; %bb.51:
	v_cmp_eq_u32_e32 vcc, 1, v0
	v_cndmask_b32_e32 v128, v33, v34, vcc
	v_cmp_eq_u32_e32 vcc, 2, v0
	v_cndmask_b32_e32 v128, v128, v35, vcc
	;; [unrolled: 2-line block ×26, first 2 shown]
	v_cmp_eq_u32_e32 vcc, 27, v0
	ds_read_b32 v129, v127
	v_cndmask_b32_e32 v128, v128, v60, vcc
	v_cmp_eq_u32_e32 vcc, 28, v0
	v_cndmask_b32_e32 v128, v128, v61, vcc
	v_cmp_eq_u32_e32 vcc, 29, v0
	;; [unrolled: 2-line block ×3, first 2 shown]
	v_cndmask_b32_e32 v128, v128, v63, vcc
	s_waitcnt lgkmcnt(0)
	v_mul_f32_e32 v128, v128, v129
	s_cbranch_execz .LBB30_53
	s_branch .LBB30_54
.LBB30_52:
                                        ; implicit-def: $vgpr128
.LBB30_53:
	ds_read_b32 v128, v127
.LBB30_54:
	s_and_saveexec_b64 s[6:7], s[0:1]
	s_cbranch_execz .LBB30_64
; %bb.55:
	v_subrev_u32_e32 v131, 27, v0
	v_mov_b32_e32 v129, 26
	v_subrev_u32_e32 v130, 26, v0
	v_cmp_lt_u32_e32 vcc, 6, v131
	s_and_saveexec_b64 s[0:1], vcc
	s_cbranch_execz .LBB30_59
; %bb.56:
	v_and_b32_e32 v129, -8, v130
	v_sub_u32_e32 v131, 0, v129
	s_mov_b64 s[8:9], 33
	s_movk_i32 s12, 0xe8
	s_mov_b64 s[10:11], 0
.LBB30_57:                              ; =>This Inner Loop Header: Depth=1
	s_add_i32 s13, s8, -7
	v_mov_b32_e32 v129, s12
	s_add_i32 s14, s8, -6
	s_set_gpr_idx_on s13, gpr_idx(SRC0)
	v_mov_b32_e32 v140, v33
	s_set_gpr_idx_off
	ds_read2_b64 v[132:135], v129 offset1:1
	s_add_i32 s15, s8, -5
	s_set_gpr_idx_on s14, gpr_idx(SRC0)
	v_mov_b32_e32 v141, v33
	s_set_gpr_idx_off
	s_add_i32 s16, s8, -4
	s_set_gpr_idx_on s15, gpr_idx(SRC0)
	v_mov_b32_e32 v142, v33
	s_set_gpr_idx_off
	;; [unrolled: 4-line block ×4, first 2 shown]
	ds_read2_b64 v[136:139], v129 offset0:2 offset1:3
	s_add_i32 s19, s8, -1
	s_waitcnt lgkmcnt(1)
	v_fmac_f32_e32 v128, v140, v132
	s_set_gpr_idx_on s18, gpr_idx(SRC0)
	v_mov_b32_e32 v132, v33
	s_set_gpr_idx_off
	v_fmac_f32_e32 v128, v141, v133
	s_set_gpr_idx_on s19, gpr_idx(SRC0)
	v_mov_b32_e32 v133, v33
	s_set_gpr_idx_off
	;; [unrolled: 4-line block ×3, first 2 shown]
	v_fmac_f32_e32 v128, v143, v135
	s_add_u32 s8, s8, 8
	s_waitcnt lgkmcnt(0)
	v_fmac_f32_e32 v128, v144, v136
	v_add_u32_e32 v129, s8, v131
	v_fmac_f32_e32 v128, v132, v137
	s_addc_u32 s9, s9, 0
	s_add_i32 s12, s12, 32
	s_add_i32 s13, s8, -7
	v_cmp_eq_u32_e32 vcc, 33, v129
	v_fmac_f32_e32 v128, v133, v138
	v_mov_b32_e32 v129, s13
	s_or_b64 s[10:11], vcc, s[10:11]
	v_fmac_f32_e32 v128, v134, v139
	s_andn2_b64 exec, exec, s[10:11]
	s_cbranch_execnz .LBB30_57
; %bb.58:
	s_or_b64 exec, exec, s[10:11]
.LBB30_59:
	s_or_b64 exec, exec, s[0:1]
	v_and_b32_e32 v64, 7, v130
	v_cmp_ne_u32_e32 vcc, 0, v64
	s_and_saveexec_b64 s[8:9], vcc
	s_cbranch_execz .LBB30_63
; %bb.60:
	v_mov_b32_e32 v130, 0x80
	v_lshl_add_u32 v130, v129, 2, v130
	v_mov_b32_e32 v131, 0
	s_mov_b64 s[10:11], 0
.LBB30_61:                              ; =>This Inner Loop Header: Depth=1
	v_cmp_eq_u32_e32 vcc, 1, v129
	v_cndmask_b32_e32 v132, v33, v34, vcc
	v_add_u32_e32 v64, -1, v64
	v_cmp_eq_u32_e32 vcc, 2, v129
	v_cndmask_b32_e32 v132, v132, v35, vcc
	v_cmp_eq_u32_e32 vcc, 0, v64
	v_cmp_eq_u32_e64 s[0:1], 3, v129
	v_cndmask_b32_e64 v132, v132, v36, s[0:1]
	s_or_b64 s[10:11], vcc, s[10:11]
	v_cmp_eq_u32_e32 vcc, 4, v129
	v_cndmask_b32_e32 v132, v132, v37, vcc
	v_cmp_eq_u32_e32 vcc, 5, v129
	v_cndmask_b32_e32 v132, v132, v38, vcc
	;; [unrolled: 2-line block ×22, first 2 shown]
	v_cmp_eq_u32_e32 vcc, 26, v129
	ds_read_b32 v133, v130
	v_cndmask_b32_e32 v132, v132, v59, vcc
	v_cmp_eq_u32_e32 vcc, 27, v129
	v_cndmask_b32_e32 v132, v132, v60, vcc
	v_cmp_eq_u32_e32 vcc, 28, v129
	;; [unrolled: 2-line block ×4, first 2 shown]
	v_add_co_u32_e64 v129, s[0:1], 1, v129
	v_cndmask_b32_e32 v132, v132, v63, vcc
	v_add_u32_e32 v130, 4, v130
	v_addc_co_u32_e64 v131, s[0:1], 0, v131, s[0:1]
	s_waitcnt lgkmcnt(0)
	v_fmac_f32_e32 v128, v132, v133
	s_andn2_b64 exec, exec, s[10:11]
	s_cbranch_execnz .LBB30_61
; %bb.62:
	s_or_b64 exec, exec, s[10:11]
.LBB30_63:
	s_or_b64 exec, exec, s[8:9]
.LBB30_64:
	s_or_b64 exec, exec, s[6:7]
	v_mov_b32_e32 v58, 0
	ds_read_b32 v58, v58 offset:100
	s_waitcnt lgkmcnt(0)
	v_mul_f32_e32 v58, v128, v58
.LBB30_65:
	s_or_b64 exec, exec, s[4:5]
	v_cmp_lt_u32_e64 s[0:1], 24, v0
	ds_write_b32 v127, v57
	s_waitcnt lgkmcnt(0)
	; wave barrier
	s_and_saveexec_b64 s[4:5], s[0:1]
	s_cbranch_execz .LBB30_81
; %bb.66:
	s_andn2_b64 vcc, exec, s[66:67]
	s_cbranch_vccnz .LBB30_68
; %bb.67:
	v_cmp_eq_u32_e32 vcc, 1, v0
	v_cndmask_b32_e32 v128, v33, v34, vcc
	v_cmp_eq_u32_e32 vcc, 2, v0
	v_cndmask_b32_e32 v128, v128, v35, vcc
	;; [unrolled: 2-line block ×26, first 2 shown]
	v_cmp_eq_u32_e32 vcc, 27, v0
	ds_read_b32 v129, v127
	v_cndmask_b32_e32 v128, v128, v60, vcc
	v_cmp_eq_u32_e32 vcc, 28, v0
	v_cndmask_b32_e32 v128, v128, v61, vcc
	v_cmp_eq_u32_e32 vcc, 29, v0
	;; [unrolled: 2-line block ×3, first 2 shown]
	v_cndmask_b32_e32 v128, v128, v63, vcc
	s_waitcnt lgkmcnt(0)
	v_mul_f32_e32 v128, v128, v129
	s_cbranch_execz .LBB30_69
	s_branch .LBB30_70
.LBB30_68:
                                        ; implicit-def: $vgpr128
.LBB30_69:
	ds_read_b32 v128, v127
.LBB30_70:
	s_and_saveexec_b64 s[6:7], s[2:3]
	s_cbranch_execz .LBB30_80
; %bb.71:
	v_subrev_u32_e32 v131, 26, v0
	v_mov_b32_e32 v129, 25
	v_subrev_u32_e32 v130, 25, v0
	v_cmp_lt_u32_e32 vcc, 6, v131
	s_and_saveexec_b64 s[2:3], vcc
	s_cbranch_execz .LBB30_75
; %bb.72:
	v_and_b32_e32 v129, -8, v130
	v_sub_u32_e32 v131, 0, v129
	s_mov_b64 s[8:9], 32
	s_movk_i32 s12, 0xe4
	s_mov_b64 s[10:11], 0
.LBB30_73:                              ; =>This Inner Loop Header: Depth=1
	s_add_i32 s13, s8, -7
	v_mov_b32_e32 v129, s12
	s_add_i32 s14, s8, -6
	s_set_gpr_idx_on s13, gpr_idx(SRC0)
	v_mov_b32_e32 v138, v33
	s_set_gpr_idx_off
	ds_read2_b32 v[132:133], v129 offset1:1
	s_add_i32 s15, s8, -5
	s_set_gpr_idx_on s14, gpr_idx(SRC0)
	v_mov_b32_e32 v139, v33
	s_set_gpr_idx_off
	s_add_i32 s16, s8, -4
	s_set_gpr_idx_on s15, gpr_idx(SRC0)
	v_mov_b32_e32 v140, v33
	s_set_gpr_idx_off
	ds_read2_b32 v[134:135], v129 offset0:2 offset1:3
	s_add_i32 s17, s8, -3
	s_set_gpr_idx_on s16, gpr_idx(SRC0)
	v_mov_b32_e32 v141, v33
	s_set_gpr_idx_off
	s_add_i32 s18, s8, -2
	s_set_gpr_idx_on s17, gpr_idx(SRC0)
	v_mov_b32_e32 v142, v33
	s_set_gpr_idx_off
	ds_read2_b32 v[136:137], v129 offset0:4 offset1:5
	s_add_i32 s19, s8, -1
	s_waitcnt lgkmcnt(2)
	v_fmac_f32_e32 v128, v138, v132
	s_set_gpr_idx_on s18, gpr_idx(SRC0)
	v_mov_b32_e32 v138, v33
	s_set_gpr_idx_off
	v_fmac_f32_e32 v128, v139, v133
	s_set_gpr_idx_on s19, gpr_idx(SRC0)
	v_mov_b32_e32 v139, v33
	s_set_gpr_idx_off
	ds_read2_b32 v[132:133], v129 offset0:6 offset1:7
	s_waitcnt lgkmcnt(2)
	v_fmac_f32_e32 v128, v140, v134
	s_set_gpr_idx_on s8, gpr_idx(SRC0)
	v_mov_b32_e32 v134, v33
	s_set_gpr_idx_off
	v_fmac_f32_e32 v128, v141, v135
	s_add_u32 s8, s8, 8
	s_waitcnt lgkmcnt(1)
	v_fmac_f32_e32 v128, v142, v136
	v_add_u32_e32 v129, s8, v131
	v_fmac_f32_e32 v128, v138, v137
	s_addc_u32 s9, s9, 0
	s_add_i32 s12, s12, 32
	s_add_i32 s13, s8, -7
	v_cmp_eq_u32_e32 vcc, 32, v129
	s_waitcnt lgkmcnt(0)
	v_fmac_f32_e32 v128, v139, v132
	v_mov_b32_e32 v129, s13
	s_or_b64 s[10:11], vcc, s[10:11]
	v_fmac_f32_e32 v128, v134, v133
	s_andn2_b64 exec, exec, s[10:11]
	s_cbranch_execnz .LBB30_73
; %bb.74:
	s_or_b64 exec, exec, s[10:11]
.LBB30_75:
	s_or_b64 exec, exec, s[2:3]
	v_and_b32_e32 v64, 7, v130
	v_cmp_ne_u32_e32 vcc, 0, v64
	s_and_saveexec_b64 s[8:9], vcc
	s_cbranch_execz .LBB30_79
; %bb.76:
	v_mov_b32_e32 v130, 0x80
	v_lshl_add_u32 v130, v129, 2, v130
	v_mov_b32_e32 v131, 0
	s_mov_b64 s[10:11], 0
.LBB30_77:                              ; =>This Inner Loop Header: Depth=1
	v_cmp_eq_u32_e32 vcc, 1, v129
	v_cndmask_b32_e32 v132, v33, v34, vcc
	v_add_u32_e32 v64, -1, v64
	v_cmp_eq_u32_e32 vcc, 2, v129
	v_cndmask_b32_e32 v132, v132, v35, vcc
	v_cmp_eq_u32_e32 vcc, 0, v64
	v_cmp_eq_u32_e64 s[2:3], 3, v129
	v_cndmask_b32_e64 v132, v132, v36, s[2:3]
	s_or_b64 s[10:11], vcc, s[10:11]
	v_cmp_eq_u32_e32 vcc, 4, v129
	v_cndmask_b32_e32 v132, v132, v37, vcc
	v_cmp_eq_u32_e32 vcc, 5, v129
	v_cndmask_b32_e32 v132, v132, v38, vcc
	;; [unrolled: 2-line block ×22, first 2 shown]
	v_cmp_eq_u32_e32 vcc, 26, v129
	ds_read_b32 v133, v130
	v_cndmask_b32_e32 v132, v132, v59, vcc
	v_cmp_eq_u32_e32 vcc, 27, v129
	v_cndmask_b32_e32 v132, v132, v60, vcc
	v_cmp_eq_u32_e32 vcc, 28, v129
	;; [unrolled: 2-line block ×4, first 2 shown]
	v_add_co_u32_e64 v129, s[2:3], 1, v129
	v_cndmask_b32_e32 v132, v132, v63, vcc
	v_add_u32_e32 v130, 4, v130
	v_addc_co_u32_e64 v131, s[2:3], 0, v131, s[2:3]
	s_waitcnt lgkmcnt(0)
	v_fmac_f32_e32 v128, v132, v133
	s_andn2_b64 exec, exec, s[10:11]
	s_cbranch_execnz .LBB30_77
; %bb.78:
	s_or_b64 exec, exec, s[10:11]
.LBB30_79:
	s_or_b64 exec, exec, s[8:9]
.LBB30_80:
	s_or_b64 exec, exec, s[6:7]
	v_mov_b32_e32 v57, 0
	ds_read_b32 v57, v57 offset:96
	s_waitcnt lgkmcnt(0)
	v_mul_f32_e32 v57, v128, v57
.LBB30_81:
	s_or_b64 exec, exec, s[4:5]
	v_cmp_lt_u32_e64 s[2:3], 23, v0
	ds_write_b32 v127, v56
	s_waitcnt lgkmcnt(0)
	; wave barrier
	s_and_saveexec_b64 s[4:5], s[2:3]
	s_cbranch_execz .LBB30_97
; %bb.82:
	s_andn2_b64 vcc, exec, s[66:67]
	s_cbranch_vccnz .LBB30_84
; %bb.83:
	v_cmp_eq_u32_e32 vcc, 1, v0
	v_cndmask_b32_e32 v128, v33, v34, vcc
	v_cmp_eq_u32_e32 vcc, 2, v0
	v_cndmask_b32_e32 v128, v128, v35, vcc
	;; [unrolled: 2-line block ×26, first 2 shown]
	v_cmp_eq_u32_e32 vcc, 27, v0
	ds_read_b32 v129, v127
	v_cndmask_b32_e32 v128, v128, v60, vcc
	v_cmp_eq_u32_e32 vcc, 28, v0
	v_cndmask_b32_e32 v128, v128, v61, vcc
	v_cmp_eq_u32_e32 vcc, 29, v0
	;; [unrolled: 2-line block ×3, first 2 shown]
	v_cndmask_b32_e32 v128, v128, v63, vcc
	s_waitcnt lgkmcnt(0)
	v_mul_f32_e32 v128, v128, v129
	s_cbranch_execz .LBB30_85
	s_branch .LBB30_86
.LBB30_84:
                                        ; implicit-def: $vgpr128
.LBB30_85:
	ds_read_b32 v128, v127
.LBB30_86:
	s_and_saveexec_b64 s[6:7], s[0:1]
	s_cbranch_execz .LBB30_96
; %bb.87:
	v_subrev_u32_e32 v129, 25, v0
	v_cmp_lt_u32_e32 vcc, 6, v129
	v_mov_b32_e32 v129, 24
	s_and_saveexec_b64 s[0:1], vcc
	s_cbranch_execz .LBB30_91
; %bb.88:
	v_and_b32_e32 v129, 24, v0
	v_sub_u32_e32 v130, 0, v129
	s_mov_b64 s[8:9], 31
	s_movk_i32 s12, 0xe0
	s_mov_b64 s[10:11], 0
.LBB30_89:                              ; =>This Inner Loop Header: Depth=1
	s_add_i32 s13, s8, -7
	v_mov_b32_e32 v129, s12
	s_add_i32 s14, s8, -6
	s_set_gpr_idx_on s13, gpr_idx(SRC0)
	v_mov_b32_e32 v139, v33
	s_set_gpr_idx_off
	s_add_i32 s15, s8, -5
	ds_read_b128 v[131:134], v129
	ds_read_b128 v[135:138], v129 offset:16
	s_set_gpr_idx_on s14, gpr_idx(SRC0)
	v_mov_b32_e32 v129, v33
	s_set_gpr_idx_off
	s_add_i32 s16, s8, -4
	s_set_gpr_idx_on s15, gpr_idx(SRC0)
	v_mov_b32_e32 v140, v33
	s_set_gpr_idx_off
	s_add_i32 s17, s8, -3
	;; [unrolled: 4-line block ×4, first 2 shown]
	s_waitcnt lgkmcnt(1)
	v_fmac_f32_e32 v128, v139, v131
	s_set_gpr_idx_on s18, gpr_idx(SRC0)
	v_mov_b32_e32 v131, v33
	s_set_gpr_idx_off
	v_fmac_f32_e32 v128, v129, v132
	s_set_gpr_idx_on s19, gpr_idx(SRC0)
	v_mov_b32_e32 v132, v33
	s_set_gpr_idx_off
	;; [unrolled: 4-line block ×3, first 2 shown]
	v_fmac_f32_e32 v128, v141, v134
	s_add_u32 s8, s8, 8
	s_waitcnt lgkmcnt(0)
	v_fmac_f32_e32 v128, v142, v135
	v_add_u32_e32 v129, s8, v130
	v_fmac_f32_e32 v128, v131, v136
	s_addc_u32 s9, s9, 0
	s_add_i32 s12, s12, 32
	s_add_i32 s13, s8, -7
	v_cmp_eq_u32_e32 vcc, 7, v129
	v_fmac_f32_e32 v128, v132, v137
	v_mov_b32_e32 v129, s13
	s_or_b64 s[10:11], vcc, s[10:11]
	v_fmac_f32_e32 v128, v133, v138
	s_andn2_b64 exec, exec, s[10:11]
	s_cbranch_execnz .LBB30_89
; %bb.90:
	s_or_b64 exec, exec, s[10:11]
.LBB30_91:
	s_or_b64 exec, exec, s[0:1]
	v_and_b32_e32 v64, 7, v0
	v_cmp_ne_u32_e32 vcc, 0, v64
	s_and_saveexec_b64 s[8:9], vcc
	s_cbranch_execz .LBB30_95
; %bb.92:
	v_mov_b32_e32 v130, 0x80
	v_lshl_add_u32 v130, v129, 2, v130
	v_mov_b32_e32 v131, 0
	s_mov_b64 s[10:11], 0
.LBB30_93:                              ; =>This Inner Loop Header: Depth=1
	v_cmp_eq_u32_e32 vcc, 1, v129
	v_cndmask_b32_e32 v132, v33, v34, vcc
	v_add_u32_e32 v64, -1, v64
	v_cmp_eq_u32_e32 vcc, 2, v129
	v_cndmask_b32_e32 v132, v132, v35, vcc
	v_cmp_eq_u32_e32 vcc, 0, v64
	v_cmp_eq_u32_e64 s[0:1], 3, v129
	v_cndmask_b32_e64 v132, v132, v36, s[0:1]
	s_or_b64 s[10:11], vcc, s[10:11]
	v_cmp_eq_u32_e32 vcc, 4, v129
	v_cndmask_b32_e32 v132, v132, v37, vcc
	v_cmp_eq_u32_e32 vcc, 5, v129
	v_cndmask_b32_e32 v132, v132, v38, vcc
	;; [unrolled: 2-line block ×22, first 2 shown]
	v_cmp_eq_u32_e32 vcc, 26, v129
	ds_read_b32 v133, v130
	v_cndmask_b32_e32 v132, v132, v59, vcc
	v_cmp_eq_u32_e32 vcc, 27, v129
	v_cndmask_b32_e32 v132, v132, v60, vcc
	v_cmp_eq_u32_e32 vcc, 28, v129
	;; [unrolled: 2-line block ×4, first 2 shown]
	v_add_co_u32_e64 v129, s[0:1], 1, v129
	v_cndmask_b32_e32 v132, v132, v63, vcc
	v_add_u32_e32 v130, 4, v130
	v_addc_co_u32_e64 v131, s[0:1], 0, v131, s[0:1]
	s_waitcnt lgkmcnt(0)
	v_fmac_f32_e32 v128, v132, v133
	s_andn2_b64 exec, exec, s[10:11]
	s_cbranch_execnz .LBB30_93
; %bb.94:
	s_or_b64 exec, exec, s[10:11]
.LBB30_95:
	s_or_b64 exec, exec, s[8:9]
.LBB30_96:
	s_or_b64 exec, exec, s[6:7]
	v_mov_b32_e32 v56, 0
	ds_read_b32 v56, v56 offset:92
	s_waitcnt lgkmcnt(0)
	v_mul_f32_e32 v56, v128, v56
.LBB30_97:
	s_or_b64 exec, exec, s[4:5]
	v_cmp_lt_u32_e64 s[0:1], 22, v0
	ds_write_b32 v127, v55
	s_waitcnt lgkmcnt(0)
	; wave barrier
	s_and_saveexec_b64 s[4:5], s[0:1]
	s_cbranch_execz .LBB30_113
; %bb.98:
	s_andn2_b64 vcc, exec, s[66:67]
	s_cbranch_vccnz .LBB30_100
; %bb.99:
	v_cmp_eq_u32_e32 vcc, 1, v0
	v_cndmask_b32_e32 v128, v33, v34, vcc
	v_cmp_eq_u32_e32 vcc, 2, v0
	v_cndmask_b32_e32 v128, v128, v35, vcc
	;; [unrolled: 2-line block ×26, first 2 shown]
	v_cmp_eq_u32_e32 vcc, 27, v0
	ds_read_b32 v129, v127
	v_cndmask_b32_e32 v128, v128, v60, vcc
	v_cmp_eq_u32_e32 vcc, 28, v0
	v_cndmask_b32_e32 v128, v128, v61, vcc
	v_cmp_eq_u32_e32 vcc, 29, v0
	v_cndmask_b32_e32 v128, v128, v62, vcc
	v_cmp_eq_u32_e32 vcc, 30, v0
	v_cndmask_b32_e32 v128, v128, v63, vcc
	s_waitcnt lgkmcnt(0)
	v_mul_f32_e32 v128, v128, v129
	s_cbranch_execz .LBB30_101
	s_branch .LBB30_102
.LBB30_100:
                                        ; implicit-def: $vgpr128
.LBB30_101:
	ds_read_b32 v128, v127
.LBB30_102:
	s_and_saveexec_b64 s[6:7], s[2:3]
	s_cbranch_execz .LBB30_112
; %bb.103:
	v_subrev_u32_e32 v131, 24, v0
	v_mov_b32_e32 v129, 23
	v_subrev_u32_e32 v130, 23, v0
	v_cmp_lt_u32_e32 vcc, 6, v131
	s_and_saveexec_b64 s[2:3], vcc
	s_cbranch_execz .LBB30_107
; %bb.104:
	v_and_b32_e32 v129, -8, v130
	v_sub_u32_e32 v131, 0, v129
	s_mov_b64 s[8:9], 30
	s_movk_i32 s12, 0xdc
	s_mov_b64 s[10:11], 0
.LBB30_105:                             ; =>This Inner Loop Header: Depth=1
	s_add_i32 s13, s8, -7
	v_mov_b32_e32 v129, s12
	s_add_i32 s14, s8, -6
	s_set_gpr_idx_on s13, gpr_idx(SRC0)
	v_mov_b32_e32 v138, v33
	s_set_gpr_idx_off
	ds_read2_b32 v[132:133], v129 offset1:1
	s_add_i32 s15, s8, -5
	s_set_gpr_idx_on s14, gpr_idx(SRC0)
	v_mov_b32_e32 v139, v33
	s_set_gpr_idx_off
	s_add_i32 s16, s8, -4
	s_set_gpr_idx_on s15, gpr_idx(SRC0)
	v_mov_b32_e32 v140, v33
	s_set_gpr_idx_off
	ds_read2_b32 v[134:135], v129 offset0:2 offset1:3
	s_add_i32 s17, s8, -3
	s_set_gpr_idx_on s16, gpr_idx(SRC0)
	v_mov_b32_e32 v141, v33
	s_set_gpr_idx_off
	s_add_i32 s18, s8, -2
	s_set_gpr_idx_on s17, gpr_idx(SRC0)
	v_mov_b32_e32 v142, v33
	s_set_gpr_idx_off
	ds_read2_b32 v[136:137], v129 offset0:4 offset1:5
	s_add_i32 s19, s8, -1
	s_waitcnt lgkmcnt(2)
	v_fmac_f32_e32 v128, v138, v132
	s_set_gpr_idx_on s18, gpr_idx(SRC0)
	v_mov_b32_e32 v138, v33
	s_set_gpr_idx_off
	v_fmac_f32_e32 v128, v139, v133
	s_set_gpr_idx_on s19, gpr_idx(SRC0)
	v_mov_b32_e32 v139, v33
	s_set_gpr_idx_off
	ds_read2_b32 v[132:133], v129 offset0:6 offset1:7
	s_waitcnt lgkmcnt(2)
	v_fmac_f32_e32 v128, v140, v134
	s_set_gpr_idx_on s8, gpr_idx(SRC0)
	v_mov_b32_e32 v134, v33
	s_set_gpr_idx_off
	v_fmac_f32_e32 v128, v141, v135
	s_add_u32 s8, s8, 8
	s_waitcnt lgkmcnt(1)
	v_fmac_f32_e32 v128, v142, v136
	v_add_u32_e32 v129, s8, v131
	v_fmac_f32_e32 v128, v138, v137
	s_addc_u32 s9, s9, 0
	s_add_i32 s12, s12, 32
	s_add_i32 s13, s8, -7
	v_cmp_eq_u32_e32 vcc, 30, v129
	s_waitcnt lgkmcnt(0)
	v_fmac_f32_e32 v128, v139, v132
	v_mov_b32_e32 v129, s13
	s_or_b64 s[10:11], vcc, s[10:11]
	v_fmac_f32_e32 v128, v134, v133
	s_andn2_b64 exec, exec, s[10:11]
	s_cbranch_execnz .LBB30_105
; %bb.106:
	s_or_b64 exec, exec, s[10:11]
.LBB30_107:
	s_or_b64 exec, exec, s[2:3]
	v_and_b32_e32 v64, 7, v130
	v_cmp_ne_u32_e32 vcc, 0, v64
	s_and_saveexec_b64 s[8:9], vcc
	s_cbranch_execz .LBB30_111
; %bb.108:
	v_mov_b32_e32 v130, 0x80
	v_lshl_add_u32 v130, v129, 2, v130
	v_mov_b32_e32 v131, 0
	s_mov_b64 s[10:11], 0
.LBB30_109:                             ; =>This Inner Loop Header: Depth=1
	v_cmp_eq_u32_e32 vcc, 1, v129
	v_cndmask_b32_e32 v132, v33, v34, vcc
	v_add_u32_e32 v64, -1, v64
	v_cmp_eq_u32_e32 vcc, 2, v129
	v_cndmask_b32_e32 v132, v132, v35, vcc
	v_cmp_eq_u32_e32 vcc, 0, v64
	v_cmp_eq_u32_e64 s[2:3], 3, v129
	v_cndmask_b32_e64 v132, v132, v36, s[2:3]
	s_or_b64 s[10:11], vcc, s[10:11]
	v_cmp_eq_u32_e32 vcc, 4, v129
	v_cndmask_b32_e32 v132, v132, v37, vcc
	v_cmp_eq_u32_e32 vcc, 5, v129
	v_cndmask_b32_e32 v132, v132, v38, vcc
	;; [unrolled: 2-line block ×22, first 2 shown]
	v_cmp_eq_u32_e32 vcc, 26, v129
	ds_read_b32 v133, v130
	v_cndmask_b32_e32 v132, v132, v59, vcc
	v_cmp_eq_u32_e32 vcc, 27, v129
	v_cndmask_b32_e32 v132, v132, v60, vcc
	v_cmp_eq_u32_e32 vcc, 28, v129
	;; [unrolled: 2-line block ×4, first 2 shown]
	v_add_co_u32_e64 v129, s[2:3], 1, v129
	v_cndmask_b32_e32 v132, v132, v63, vcc
	v_add_u32_e32 v130, 4, v130
	v_addc_co_u32_e64 v131, s[2:3], 0, v131, s[2:3]
	s_waitcnt lgkmcnt(0)
	v_fmac_f32_e32 v128, v132, v133
	s_andn2_b64 exec, exec, s[10:11]
	s_cbranch_execnz .LBB30_109
; %bb.110:
	s_or_b64 exec, exec, s[10:11]
.LBB30_111:
	s_or_b64 exec, exec, s[8:9]
.LBB30_112:
	s_or_b64 exec, exec, s[6:7]
	v_mov_b32_e32 v55, 0
	ds_read_b32 v55, v55 offset:88
	s_waitcnt lgkmcnt(0)
	v_mul_f32_e32 v55, v128, v55
.LBB30_113:
	s_or_b64 exec, exec, s[4:5]
	v_cmp_lt_u32_e64 s[2:3], 21, v0
	ds_write_b32 v127, v54
	s_waitcnt lgkmcnt(0)
	; wave barrier
	s_and_saveexec_b64 s[4:5], s[2:3]
	s_cbranch_execz .LBB30_129
; %bb.114:
	s_andn2_b64 vcc, exec, s[66:67]
	s_cbranch_vccnz .LBB30_116
; %bb.115:
	v_cmp_eq_u32_e32 vcc, 1, v0
	v_cndmask_b32_e32 v128, v33, v34, vcc
	v_cmp_eq_u32_e32 vcc, 2, v0
	v_cndmask_b32_e32 v128, v128, v35, vcc
	;; [unrolled: 2-line block ×26, first 2 shown]
	v_cmp_eq_u32_e32 vcc, 27, v0
	ds_read_b32 v129, v127
	v_cndmask_b32_e32 v128, v128, v60, vcc
	v_cmp_eq_u32_e32 vcc, 28, v0
	v_cndmask_b32_e32 v128, v128, v61, vcc
	v_cmp_eq_u32_e32 vcc, 29, v0
	;; [unrolled: 2-line block ×3, first 2 shown]
	v_cndmask_b32_e32 v128, v128, v63, vcc
	s_waitcnt lgkmcnt(0)
	v_mul_f32_e32 v128, v128, v129
	s_cbranch_execz .LBB30_117
	s_branch .LBB30_118
.LBB30_116:
                                        ; implicit-def: $vgpr128
.LBB30_117:
	ds_read_b32 v128, v127
.LBB30_118:
	s_and_saveexec_b64 s[6:7], s[0:1]
	s_cbranch_execz .LBB30_128
; %bb.119:
	v_subrev_u32_e32 v131, 23, v0
	v_mov_b32_e32 v129, 22
	v_subrev_u32_e32 v130, 22, v0
	v_cmp_lt_u32_e32 vcc, 6, v131
	s_and_saveexec_b64 s[0:1], vcc
	s_cbranch_execz .LBB30_123
; %bb.120:
	v_and_b32_e32 v129, -8, v130
	v_sub_u32_e32 v131, 0, v129
	s_mov_b64 s[8:9], 29
	s_movk_i32 s12, 0xd8
	s_mov_b64 s[10:11], 0
.LBB30_121:                             ; =>This Inner Loop Header: Depth=1
	s_add_i32 s13, s8, -7
	v_mov_b32_e32 v129, s12
	s_add_i32 s14, s8, -6
	s_set_gpr_idx_on s13, gpr_idx(SRC0)
	v_mov_b32_e32 v140, v33
	s_set_gpr_idx_off
	ds_read2_b64 v[132:135], v129 offset1:1
	s_add_i32 s15, s8, -5
	s_set_gpr_idx_on s14, gpr_idx(SRC0)
	v_mov_b32_e32 v141, v33
	s_set_gpr_idx_off
	s_add_i32 s16, s8, -4
	s_set_gpr_idx_on s15, gpr_idx(SRC0)
	v_mov_b32_e32 v142, v33
	s_set_gpr_idx_off
	;; [unrolled: 4-line block ×4, first 2 shown]
	ds_read2_b64 v[136:139], v129 offset0:2 offset1:3
	s_add_i32 s19, s8, -1
	s_waitcnt lgkmcnt(1)
	v_fmac_f32_e32 v128, v140, v132
	s_set_gpr_idx_on s18, gpr_idx(SRC0)
	v_mov_b32_e32 v132, v33
	s_set_gpr_idx_off
	v_fmac_f32_e32 v128, v141, v133
	s_set_gpr_idx_on s19, gpr_idx(SRC0)
	v_mov_b32_e32 v133, v33
	s_set_gpr_idx_off
	;; [unrolled: 4-line block ×3, first 2 shown]
	v_fmac_f32_e32 v128, v143, v135
	s_add_u32 s8, s8, 8
	s_waitcnt lgkmcnt(0)
	v_fmac_f32_e32 v128, v144, v136
	v_add_u32_e32 v129, s8, v131
	v_fmac_f32_e32 v128, v132, v137
	s_addc_u32 s9, s9, 0
	s_add_i32 s12, s12, 32
	s_add_i32 s13, s8, -7
	v_cmp_eq_u32_e32 vcc, 29, v129
	v_fmac_f32_e32 v128, v133, v138
	v_mov_b32_e32 v129, s13
	s_or_b64 s[10:11], vcc, s[10:11]
	v_fmac_f32_e32 v128, v134, v139
	s_andn2_b64 exec, exec, s[10:11]
	s_cbranch_execnz .LBB30_121
; %bb.122:
	s_or_b64 exec, exec, s[10:11]
.LBB30_123:
	s_or_b64 exec, exec, s[0:1]
	v_and_b32_e32 v64, 7, v130
	v_cmp_ne_u32_e32 vcc, 0, v64
	s_and_saveexec_b64 s[8:9], vcc
	s_cbranch_execz .LBB30_127
; %bb.124:
	v_mov_b32_e32 v130, 0x80
	v_lshl_add_u32 v130, v129, 2, v130
	v_mov_b32_e32 v131, 0
	s_mov_b64 s[10:11], 0
.LBB30_125:                             ; =>This Inner Loop Header: Depth=1
	v_cmp_eq_u32_e32 vcc, 1, v129
	v_cndmask_b32_e32 v132, v33, v34, vcc
	v_add_u32_e32 v64, -1, v64
	v_cmp_eq_u32_e32 vcc, 2, v129
	v_cndmask_b32_e32 v132, v132, v35, vcc
	v_cmp_eq_u32_e32 vcc, 0, v64
	v_cmp_eq_u32_e64 s[0:1], 3, v129
	v_cndmask_b32_e64 v132, v132, v36, s[0:1]
	s_or_b64 s[10:11], vcc, s[10:11]
	v_cmp_eq_u32_e32 vcc, 4, v129
	v_cndmask_b32_e32 v132, v132, v37, vcc
	v_cmp_eq_u32_e32 vcc, 5, v129
	v_cndmask_b32_e32 v132, v132, v38, vcc
	;; [unrolled: 2-line block ×22, first 2 shown]
	v_cmp_eq_u32_e32 vcc, 26, v129
	ds_read_b32 v133, v130
	v_cndmask_b32_e32 v132, v132, v59, vcc
	v_cmp_eq_u32_e32 vcc, 27, v129
	v_cndmask_b32_e32 v132, v132, v60, vcc
	v_cmp_eq_u32_e32 vcc, 28, v129
	;; [unrolled: 2-line block ×4, first 2 shown]
	v_add_co_u32_e64 v129, s[0:1], 1, v129
	v_cndmask_b32_e32 v132, v132, v63, vcc
	v_add_u32_e32 v130, 4, v130
	v_addc_co_u32_e64 v131, s[0:1], 0, v131, s[0:1]
	s_waitcnt lgkmcnt(0)
	v_fmac_f32_e32 v128, v132, v133
	s_andn2_b64 exec, exec, s[10:11]
	s_cbranch_execnz .LBB30_125
; %bb.126:
	s_or_b64 exec, exec, s[10:11]
.LBB30_127:
	s_or_b64 exec, exec, s[8:9]
.LBB30_128:
	s_or_b64 exec, exec, s[6:7]
	v_mov_b32_e32 v54, 0
	ds_read_b32 v54, v54 offset:84
	s_waitcnt lgkmcnt(0)
	v_mul_f32_e32 v54, v128, v54
.LBB30_129:
	s_or_b64 exec, exec, s[4:5]
	v_cmp_lt_u32_e64 s[0:1], 20, v0
	ds_write_b32 v127, v53
	s_waitcnt lgkmcnt(0)
	; wave barrier
	s_and_saveexec_b64 s[4:5], s[0:1]
	s_cbranch_execz .LBB30_145
; %bb.130:
	s_andn2_b64 vcc, exec, s[66:67]
	s_cbranch_vccnz .LBB30_132
; %bb.131:
	v_cmp_eq_u32_e32 vcc, 1, v0
	v_cndmask_b32_e32 v128, v33, v34, vcc
	v_cmp_eq_u32_e32 vcc, 2, v0
	v_cndmask_b32_e32 v128, v128, v35, vcc
	;; [unrolled: 2-line block ×26, first 2 shown]
	v_cmp_eq_u32_e32 vcc, 27, v0
	ds_read_b32 v129, v127
	v_cndmask_b32_e32 v128, v128, v60, vcc
	v_cmp_eq_u32_e32 vcc, 28, v0
	v_cndmask_b32_e32 v128, v128, v61, vcc
	v_cmp_eq_u32_e32 vcc, 29, v0
	;; [unrolled: 2-line block ×3, first 2 shown]
	v_cndmask_b32_e32 v128, v128, v63, vcc
	s_waitcnt lgkmcnt(0)
	v_mul_f32_e32 v128, v128, v129
	s_cbranch_execz .LBB30_133
	s_branch .LBB30_134
.LBB30_132:
                                        ; implicit-def: $vgpr128
.LBB30_133:
	ds_read_b32 v128, v127
.LBB30_134:
	s_and_saveexec_b64 s[6:7], s[2:3]
	s_cbranch_execz .LBB30_144
; %bb.135:
	v_subrev_u32_e32 v131, 22, v0
	v_mov_b32_e32 v129, 21
	v_subrev_u32_e32 v130, 21, v0
	v_cmp_lt_u32_e32 vcc, 6, v131
	s_and_saveexec_b64 s[2:3], vcc
	s_cbranch_execz .LBB30_139
; %bb.136:
	v_and_b32_e32 v129, -8, v130
	v_sub_u32_e32 v131, 0, v129
	s_mov_b64 s[8:9], 28
	s_movk_i32 s12, 0xd4
	s_mov_b64 s[10:11], 0
.LBB30_137:                             ; =>This Inner Loop Header: Depth=1
	s_add_i32 s13, s8, -7
	v_mov_b32_e32 v129, s12
	s_add_i32 s14, s8, -6
	s_set_gpr_idx_on s13, gpr_idx(SRC0)
	v_mov_b32_e32 v138, v33
	s_set_gpr_idx_off
	ds_read2_b32 v[132:133], v129 offset1:1
	s_add_i32 s15, s8, -5
	s_set_gpr_idx_on s14, gpr_idx(SRC0)
	v_mov_b32_e32 v139, v33
	s_set_gpr_idx_off
	s_add_i32 s16, s8, -4
	s_set_gpr_idx_on s15, gpr_idx(SRC0)
	v_mov_b32_e32 v140, v33
	s_set_gpr_idx_off
	ds_read2_b32 v[134:135], v129 offset0:2 offset1:3
	s_add_i32 s17, s8, -3
	s_set_gpr_idx_on s16, gpr_idx(SRC0)
	v_mov_b32_e32 v141, v33
	s_set_gpr_idx_off
	s_add_i32 s18, s8, -2
	s_set_gpr_idx_on s17, gpr_idx(SRC0)
	v_mov_b32_e32 v142, v33
	s_set_gpr_idx_off
	ds_read2_b32 v[136:137], v129 offset0:4 offset1:5
	s_add_i32 s19, s8, -1
	s_waitcnt lgkmcnt(2)
	v_fmac_f32_e32 v128, v138, v132
	s_set_gpr_idx_on s18, gpr_idx(SRC0)
	v_mov_b32_e32 v138, v33
	s_set_gpr_idx_off
	v_fmac_f32_e32 v128, v139, v133
	s_set_gpr_idx_on s19, gpr_idx(SRC0)
	v_mov_b32_e32 v139, v33
	s_set_gpr_idx_off
	ds_read2_b32 v[132:133], v129 offset0:6 offset1:7
	s_waitcnt lgkmcnt(2)
	v_fmac_f32_e32 v128, v140, v134
	s_set_gpr_idx_on s8, gpr_idx(SRC0)
	v_mov_b32_e32 v134, v33
	s_set_gpr_idx_off
	v_fmac_f32_e32 v128, v141, v135
	s_add_u32 s8, s8, 8
	s_waitcnt lgkmcnt(1)
	v_fmac_f32_e32 v128, v142, v136
	v_add_u32_e32 v129, s8, v131
	v_fmac_f32_e32 v128, v138, v137
	s_addc_u32 s9, s9, 0
	s_add_i32 s12, s12, 32
	s_add_i32 s13, s8, -7
	v_cmp_eq_u32_e32 vcc, 28, v129
	s_waitcnt lgkmcnt(0)
	v_fmac_f32_e32 v128, v139, v132
	v_mov_b32_e32 v129, s13
	s_or_b64 s[10:11], vcc, s[10:11]
	v_fmac_f32_e32 v128, v134, v133
	s_andn2_b64 exec, exec, s[10:11]
	s_cbranch_execnz .LBB30_137
; %bb.138:
	s_or_b64 exec, exec, s[10:11]
.LBB30_139:
	s_or_b64 exec, exec, s[2:3]
	v_and_b32_e32 v64, 7, v130
	v_cmp_ne_u32_e32 vcc, 0, v64
	s_and_saveexec_b64 s[8:9], vcc
	s_cbranch_execz .LBB30_143
; %bb.140:
	v_mov_b32_e32 v130, 0x80
	v_lshl_add_u32 v130, v129, 2, v130
	v_mov_b32_e32 v131, 0
	s_mov_b64 s[10:11], 0
.LBB30_141:                             ; =>This Inner Loop Header: Depth=1
	v_cmp_eq_u32_e32 vcc, 1, v129
	v_cndmask_b32_e32 v132, v33, v34, vcc
	v_add_u32_e32 v64, -1, v64
	v_cmp_eq_u32_e32 vcc, 2, v129
	v_cndmask_b32_e32 v132, v132, v35, vcc
	v_cmp_eq_u32_e32 vcc, 0, v64
	v_cmp_eq_u32_e64 s[2:3], 3, v129
	v_cndmask_b32_e64 v132, v132, v36, s[2:3]
	s_or_b64 s[10:11], vcc, s[10:11]
	v_cmp_eq_u32_e32 vcc, 4, v129
	v_cndmask_b32_e32 v132, v132, v37, vcc
	v_cmp_eq_u32_e32 vcc, 5, v129
	v_cndmask_b32_e32 v132, v132, v38, vcc
	;; [unrolled: 2-line block ×22, first 2 shown]
	v_cmp_eq_u32_e32 vcc, 26, v129
	ds_read_b32 v133, v130
	v_cndmask_b32_e32 v132, v132, v59, vcc
	v_cmp_eq_u32_e32 vcc, 27, v129
	v_cndmask_b32_e32 v132, v132, v60, vcc
	v_cmp_eq_u32_e32 vcc, 28, v129
	;; [unrolled: 2-line block ×4, first 2 shown]
	v_add_co_u32_e64 v129, s[2:3], 1, v129
	v_cndmask_b32_e32 v132, v132, v63, vcc
	v_add_u32_e32 v130, 4, v130
	v_addc_co_u32_e64 v131, s[2:3], 0, v131, s[2:3]
	s_waitcnt lgkmcnt(0)
	v_fmac_f32_e32 v128, v132, v133
	s_andn2_b64 exec, exec, s[10:11]
	s_cbranch_execnz .LBB30_141
; %bb.142:
	s_or_b64 exec, exec, s[10:11]
.LBB30_143:
	s_or_b64 exec, exec, s[8:9]
.LBB30_144:
	s_or_b64 exec, exec, s[6:7]
	v_mov_b32_e32 v53, 0
	ds_read_b32 v53, v53 offset:80
	s_waitcnt lgkmcnt(0)
	v_mul_f32_e32 v53, v128, v53
.LBB30_145:
	s_or_b64 exec, exec, s[4:5]
	v_cmp_lt_u32_e64 s[2:3], 19, v0
	ds_write_b32 v127, v52
	s_waitcnt lgkmcnt(0)
	; wave barrier
	s_and_saveexec_b64 s[4:5], s[2:3]
	s_cbranch_execz .LBB30_161
; %bb.146:
	s_andn2_b64 vcc, exec, s[66:67]
	s_cbranch_vccnz .LBB30_148
; %bb.147:
	v_cmp_eq_u32_e32 vcc, 1, v0
	v_cndmask_b32_e32 v128, v33, v34, vcc
	v_cmp_eq_u32_e32 vcc, 2, v0
	v_cndmask_b32_e32 v128, v128, v35, vcc
	;; [unrolled: 2-line block ×26, first 2 shown]
	v_cmp_eq_u32_e32 vcc, 27, v0
	ds_read_b32 v129, v127
	v_cndmask_b32_e32 v128, v128, v60, vcc
	v_cmp_eq_u32_e32 vcc, 28, v0
	v_cndmask_b32_e32 v128, v128, v61, vcc
	v_cmp_eq_u32_e32 vcc, 29, v0
	;; [unrolled: 2-line block ×3, first 2 shown]
	v_cndmask_b32_e32 v128, v128, v63, vcc
	s_waitcnt lgkmcnt(0)
	v_mul_f32_e32 v128, v128, v129
	s_cbranch_execz .LBB30_149
	s_branch .LBB30_150
.LBB30_148:
                                        ; implicit-def: $vgpr128
.LBB30_149:
	ds_read_b32 v128, v127
.LBB30_150:
	s_and_saveexec_b64 s[6:7], s[0:1]
	s_cbranch_execz .LBB30_160
; %bb.151:
	v_subrev_u32_e32 v131, 21, v0
	v_mov_b32_e32 v129, 20
	v_subrev_u32_e32 v130, 20, v0
	v_cmp_lt_u32_e32 vcc, 6, v131
	s_and_saveexec_b64 s[0:1], vcc
	s_cbranch_execz .LBB30_155
; %bb.152:
	v_and_b32_e32 v129, -8, v130
	v_sub_u32_e32 v131, 0, v129
	s_mov_b64 s[8:9], 27
	s_movk_i32 s12, 0xd0
	s_mov_b64 s[10:11], 0
.LBB30_153:                             ; =>This Inner Loop Header: Depth=1
	s_add_i32 s13, s8, -7
	v_mov_b32_e32 v129, s12
	s_add_i32 s14, s8, -6
	s_set_gpr_idx_on s13, gpr_idx(SRC0)
	v_mov_b32_e32 v140, v33
	s_set_gpr_idx_off
	s_add_i32 s15, s8, -5
	ds_read_b128 v[132:135], v129
	ds_read_b128 v[136:139], v129 offset:16
	s_set_gpr_idx_on s14, gpr_idx(SRC0)
	v_mov_b32_e32 v129, v33
	s_set_gpr_idx_off
	s_add_i32 s16, s8, -4
	s_set_gpr_idx_on s15, gpr_idx(SRC0)
	v_mov_b32_e32 v141, v33
	s_set_gpr_idx_off
	s_add_i32 s17, s8, -3
	;; [unrolled: 4-line block ×4, first 2 shown]
	s_waitcnt lgkmcnt(1)
	v_fmac_f32_e32 v128, v140, v132
	s_set_gpr_idx_on s18, gpr_idx(SRC0)
	v_mov_b32_e32 v132, v33
	s_set_gpr_idx_off
	v_fmac_f32_e32 v128, v129, v133
	s_set_gpr_idx_on s19, gpr_idx(SRC0)
	v_mov_b32_e32 v133, v33
	s_set_gpr_idx_off
	;; [unrolled: 4-line block ×3, first 2 shown]
	v_fmac_f32_e32 v128, v142, v135
	s_add_u32 s8, s8, 8
	s_waitcnt lgkmcnt(0)
	v_fmac_f32_e32 v128, v143, v136
	v_add_u32_e32 v129, s8, v131
	v_fmac_f32_e32 v128, v132, v137
	s_addc_u32 s9, s9, 0
	s_add_i32 s12, s12, 32
	s_add_i32 s13, s8, -7
	v_cmp_eq_u32_e32 vcc, 27, v129
	v_fmac_f32_e32 v128, v133, v138
	v_mov_b32_e32 v129, s13
	s_or_b64 s[10:11], vcc, s[10:11]
	v_fmac_f32_e32 v128, v134, v139
	s_andn2_b64 exec, exec, s[10:11]
	s_cbranch_execnz .LBB30_153
; %bb.154:
	s_or_b64 exec, exec, s[10:11]
.LBB30_155:
	s_or_b64 exec, exec, s[0:1]
	v_and_b32_e32 v64, 7, v130
	v_cmp_ne_u32_e32 vcc, 0, v64
	s_and_saveexec_b64 s[8:9], vcc
	s_cbranch_execz .LBB30_159
; %bb.156:
	v_mov_b32_e32 v130, 0x80
	v_lshl_add_u32 v130, v129, 2, v130
	v_mov_b32_e32 v131, 0
	s_mov_b64 s[10:11], 0
.LBB30_157:                             ; =>This Inner Loop Header: Depth=1
	v_cmp_eq_u32_e32 vcc, 1, v129
	v_cndmask_b32_e32 v132, v33, v34, vcc
	v_add_u32_e32 v64, -1, v64
	v_cmp_eq_u32_e32 vcc, 2, v129
	v_cndmask_b32_e32 v132, v132, v35, vcc
	v_cmp_eq_u32_e32 vcc, 0, v64
	v_cmp_eq_u32_e64 s[0:1], 3, v129
	v_cndmask_b32_e64 v132, v132, v36, s[0:1]
	s_or_b64 s[10:11], vcc, s[10:11]
	v_cmp_eq_u32_e32 vcc, 4, v129
	v_cndmask_b32_e32 v132, v132, v37, vcc
	v_cmp_eq_u32_e32 vcc, 5, v129
	v_cndmask_b32_e32 v132, v132, v38, vcc
	;; [unrolled: 2-line block ×22, first 2 shown]
	v_cmp_eq_u32_e32 vcc, 26, v129
	ds_read_b32 v133, v130
	v_cndmask_b32_e32 v132, v132, v59, vcc
	v_cmp_eq_u32_e32 vcc, 27, v129
	v_cndmask_b32_e32 v132, v132, v60, vcc
	v_cmp_eq_u32_e32 vcc, 28, v129
	;; [unrolled: 2-line block ×4, first 2 shown]
	v_add_co_u32_e64 v129, s[0:1], 1, v129
	v_cndmask_b32_e32 v132, v132, v63, vcc
	v_add_u32_e32 v130, 4, v130
	v_addc_co_u32_e64 v131, s[0:1], 0, v131, s[0:1]
	s_waitcnt lgkmcnt(0)
	v_fmac_f32_e32 v128, v132, v133
	s_andn2_b64 exec, exec, s[10:11]
	s_cbranch_execnz .LBB30_157
; %bb.158:
	s_or_b64 exec, exec, s[10:11]
.LBB30_159:
	s_or_b64 exec, exec, s[8:9]
.LBB30_160:
	s_or_b64 exec, exec, s[6:7]
	v_mov_b32_e32 v52, 0
	ds_read_b32 v52, v52 offset:76
	s_waitcnt lgkmcnt(0)
	v_mul_f32_e32 v52, v128, v52
.LBB30_161:
	s_or_b64 exec, exec, s[4:5]
	v_cmp_lt_u32_e64 s[0:1], 18, v0
	ds_write_b32 v127, v51
	s_waitcnt lgkmcnt(0)
	; wave barrier
	s_and_saveexec_b64 s[4:5], s[0:1]
	s_cbranch_execz .LBB30_177
; %bb.162:
	s_andn2_b64 vcc, exec, s[66:67]
	s_cbranch_vccnz .LBB30_164
; %bb.163:
	v_cmp_eq_u32_e32 vcc, 1, v0
	v_cndmask_b32_e32 v128, v33, v34, vcc
	v_cmp_eq_u32_e32 vcc, 2, v0
	v_cndmask_b32_e32 v128, v128, v35, vcc
	v_cmp_eq_u32_e32 vcc, 3, v0
	v_cndmask_b32_e32 v128, v128, v36, vcc
	v_cmp_eq_u32_e32 vcc, 4, v0
	v_cndmask_b32_e32 v128, v128, v37, vcc
	v_cmp_eq_u32_e32 vcc, 5, v0
	v_cndmask_b32_e32 v128, v128, v38, vcc
	v_cmp_eq_u32_e32 vcc, 6, v0
	v_cndmask_b32_e32 v128, v128, v39, vcc
	v_cmp_eq_u32_e32 vcc, 7, v0
	v_cndmask_b32_e32 v128, v128, v40, vcc
	v_cmp_eq_u32_e32 vcc, 8, v0
	v_cndmask_b32_e32 v128, v128, v41, vcc
	v_cmp_eq_u32_e32 vcc, 9, v0
	v_cndmask_b32_e32 v128, v128, v42, vcc
	v_cmp_eq_u32_e32 vcc, 10, v0
	v_cndmask_b32_e32 v128, v128, v43, vcc
	v_cmp_eq_u32_e32 vcc, 11, v0
	v_cndmask_b32_e32 v128, v128, v44, vcc
	v_cmp_eq_u32_e32 vcc, 12, v0
	v_cndmask_b32_e32 v128, v128, v45, vcc
	v_cmp_eq_u32_e32 vcc, 13, v0
	v_cndmask_b32_e32 v128, v128, v46, vcc
	v_cmp_eq_u32_e32 vcc, 14, v0
	v_cndmask_b32_e32 v128, v128, v47, vcc
	v_cmp_eq_u32_e32 vcc, 15, v0
	v_cndmask_b32_e32 v128, v128, v48, vcc
	v_cmp_eq_u32_e32 vcc, 16, v0
	v_cndmask_b32_e32 v128, v128, v49, vcc
	v_cmp_eq_u32_e32 vcc, 17, v0
	v_cndmask_b32_e32 v128, v128, v50, vcc
	v_cmp_eq_u32_e32 vcc, 18, v0
	v_cndmask_b32_e32 v128, v128, v51, vcc
	v_cmp_eq_u32_e32 vcc, 19, v0
	v_cndmask_b32_e32 v128, v128, v52, vcc
	v_cmp_eq_u32_e32 vcc, 20, v0
	v_cndmask_b32_e32 v128, v128, v53, vcc
	v_cmp_eq_u32_e32 vcc, 21, v0
	v_cndmask_b32_e32 v128, v128, v54, vcc
	v_cmp_eq_u32_e32 vcc, 22, v0
	v_cndmask_b32_e32 v128, v128, v55, vcc
	v_cmp_eq_u32_e32 vcc, 23, v0
	v_cndmask_b32_e32 v128, v128, v56, vcc
	v_cmp_eq_u32_e32 vcc, 24, v0
	v_cndmask_b32_e32 v128, v128, v57, vcc
	v_cmp_eq_u32_e32 vcc, 25, v0
	v_cndmask_b32_e32 v128, v128, v58, vcc
	v_cmp_eq_u32_e32 vcc, 26, v0
	v_cndmask_b32_e32 v128, v128, v59, vcc
	v_cmp_eq_u32_e32 vcc, 27, v0
	ds_read_b32 v129, v127
	v_cndmask_b32_e32 v128, v128, v60, vcc
	v_cmp_eq_u32_e32 vcc, 28, v0
	v_cndmask_b32_e32 v128, v128, v61, vcc
	v_cmp_eq_u32_e32 vcc, 29, v0
	;; [unrolled: 2-line block ×3, first 2 shown]
	v_cndmask_b32_e32 v128, v128, v63, vcc
	s_waitcnt lgkmcnt(0)
	v_mul_f32_e32 v128, v128, v129
	s_cbranch_execz .LBB30_165
	s_branch .LBB30_166
.LBB30_164:
                                        ; implicit-def: $vgpr128
.LBB30_165:
	ds_read_b32 v128, v127
.LBB30_166:
	s_and_saveexec_b64 s[6:7], s[2:3]
	s_cbranch_execz .LBB30_176
; %bb.167:
	v_subrev_u32_e32 v131, 20, v0
	v_mov_b32_e32 v129, 19
	v_subrev_u32_e32 v130, 19, v0
	v_cmp_lt_u32_e32 vcc, 6, v131
	s_and_saveexec_b64 s[2:3], vcc
	s_cbranch_execz .LBB30_171
; %bb.168:
	v_and_b32_e32 v129, -8, v130
	v_sub_u32_e32 v131, 0, v129
	s_mov_b64 s[8:9], 26
	s_movk_i32 s12, 0xcc
	s_mov_b64 s[10:11], 0
.LBB30_169:                             ; =>This Inner Loop Header: Depth=1
	s_add_i32 s13, s8, -7
	v_mov_b32_e32 v129, s12
	s_add_i32 s14, s8, -6
	s_set_gpr_idx_on s13, gpr_idx(SRC0)
	v_mov_b32_e32 v138, v33
	s_set_gpr_idx_off
	ds_read2_b32 v[132:133], v129 offset1:1
	s_add_i32 s15, s8, -5
	s_set_gpr_idx_on s14, gpr_idx(SRC0)
	v_mov_b32_e32 v139, v33
	s_set_gpr_idx_off
	s_add_i32 s16, s8, -4
	s_set_gpr_idx_on s15, gpr_idx(SRC0)
	v_mov_b32_e32 v140, v33
	s_set_gpr_idx_off
	ds_read2_b32 v[134:135], v129 offset0:2 offset1:3
	s_add_i32 s17, s8, -3
	s_set_gpr_idx_on s16, gpr_idx(SRC0)
	v_mov_b32_e32 v141, v33
	s_set_gpr_idx_off
	s_add_i32 s18, s8, -2
	s_set_gpr_idx_on s17, gpr_idx(SRC0)
	v_mov_b32_e32 v142, v33
	s_set_gpr_idx_off
	ds_read2_b32 v[136:137], v129 offset0:4 offset1:5
	s_add_i32 s19, s8, -1
	s_waitcnt lgkmcnt(2)
	v_fmac_f32_e32 v128, v138, v132
	s_set_gpr_idx_on s18, gpr_idx(SRC0)
	v_mov_b32_e32 v138, v33
	s_set_gpr_idx_off
	v_fmac_f32_e32 v128, v139, v133
	s_set_gpr_idx_on s19, gpr_idx(SRC0)
	v_mov_b32_e32 v139, v33
	s_set_gpr_idx_off
	ds_read2_b32 v[132:133], v129 offset0:6 offset1:7
	s_waitcnt lgkmcnt(2)
	v_fmac_f32_e32 v128, v140, v134
	s_set_gpr_idx_on s8, gpr_idx(SRC0)
	v_mov_b32_e32 v134, v33
	s_set_gpr_idx_off
	v_fmac_f32_e32 v128, v141, v135
	s_add_u32 s8, s8, 8
	s_waitcnt lgkmcnt(1)
	v_fmac_f32_e32 v128, v142, v136
	v_add_u32_e32 v129, s8, v131
	v_fmac_f32_e32 v128, v138, v137
	s_addc_u32 s9, s9, 0
	s_add_i32 s12, s12, 32
	s_add_i32 s13, s8, -7
	v_cmp_eq_u32_e32 vcc, 26, v129
	s_waitcnt lgkmcnt(0)
	v_fmac_f32_e32 v128, v139, v132
	v_mov_b32_e32 v129, s13
	s_or_b64 s[10:11], vcc, s[10:11]
	v_fmac_f32_e32 v128, v134, v133
	s_andn2_b64 exec, exec, s[10:11]
	s_cbranch_execnz .LBB30_169
; %bb.170:
	s_or_b64 exec, exec, s[10:11]
.LBB30_171:
	s_or_b64 exec, exec, s[2:3]
	v_and_b32_e32 v64, 7, v130
	v_cmp_ne_u32_e32 vcc, 0, v64
	s_and_saveexec_b64 s[8:9], vcc
	s_cbranch_execz .LBB30_175
; %bb.172:
	v_mov_b32_e32 v130, 0x80
	v_lshl_add_u32 v130, v129, 2, v130
	v_mov_b32_e32 v131, 0
	s_mov_b64 s[10:11], 0
.LBB30_173:                             ; =>This Inner Loop Header: Depth=1
	v_cmp_eq_u32_e32 vcc, 1, v129
	v_cndmask_b32_e32 v132, v33, v34, vcc
	v_add_u32_e32 v64, -1, v64
	v_cmp_eq_u32_e32 vcc, 2, v129
	v_cndmask_b32_e32 v132, v132, v35, vcc
	v_cmp_eq_u32_e32 vcc, 0, v64
	v_cmp_eq_u32_e64 s[2:3], 3, v129
	v_cndmask_b32_e64 v132, v132, v36, s[2:3]
	s_or_b64 s[10:11], vcc, s[10:11]
	v_cmp_eq_u32_e32 vcc, 4, v129
	v_cndmask_b32_e32 v132, v132, v37, vcc
	v_cmp_eq_u32_e32 vcc, 5, v129
	v_cndmask_b32_e32 v132, v132, v38, vcc
	;; [unrolled: 2-line block ×22, first 2 shown]
	v_cmp_eq_u32_e32 vcc, 26, v129
	ds_read_b32 v133, v130
	v_cndmask_b32_e32 v132, v132, v59, vcc
	v_cmp_eq_u32_e32 vcc, 27, v129
	v_cndmask_b32_e32 v132, v132, v60, vcc
	v_cmp_eq_u32_e32 vcc, 28, v129
	;; [unrolled: 2-line block ×4, first 2 shown]
	v_add_co_u32_e64 v129, s[2:3], 1, v129
	v_cndmask_b32_e32 v132, v132, v63, vcc
	v_add_u32_e32 v130, 4, v130
	v_addc_co_u32_e64 v131, s[2:3], 0, v131, s[2:3]
	s_waitcnt lgkmcnt(0)
	v_fmac_f32_e32 v128, v132, v133
	s_andn2_b64 exec, exec, s[10:11]
	s_cbranch_execnz .LBB30_173
; %bb.174:
	s_or_b64 exec, exec, s[10:11]
.LBB30_175:
	s_or_b64 exec, exec, s[8:9]
.LBB30_176:
	s_or_b64 exec, exec, s[6:7]
	v_mov_b32_e32 v51, 0
	ds_read_b32 v51, v51 offset:72
	s_waitcnt lgkmcnt(0)
	v_mul_f32_e32 v51, v128, v51
.LBB30_177:
	s_or_b64 exec, exec, s[4:5]
	v_cmp_lt_u32_e64 s[2:3], 17, v0
	ds_write_b32 v127, v50
	s_waitcnt lgkmcnt(0)
	; wave barrier
	s_and_saveexec_b64 s[4:5], s[2:3]
	s_cbranch_execz .LBB30_193
; %bb.178:
	s_andn2_b64 vcc, exec, s[66:67]
	s_cbranch_vccnz .LBB30_180
; %bb.179:
	v_cmp_eq_u32_e32 vcc, 1, v0
	v_cndmask_b32_e32 v128, v33, v34, vcc
	v_cmp_eq_u32_e32 vcc, 2, v0
	v_cndmask_b32_e32 v128, v128, v35, vcc
	;; [unrolled: 2-line block ×26, first 2 shown]
	v_cmp_eq_u32_e32 vcc, 27, v0
	ds_read_b32 v129, v127
	v_cndmask_b32_e32 v128, v128, v60, vcc
	v_cmp_eq_u32_e32 vcc, 28, v0
	v_cndmask_b32_e32 v128, v128, v61, vcc
	v_cmp_eq_u32_e32 vcc, 29, v0
	;; [unrolled: 2-line block ×3, first 2 shown]
	v_cndmask_b32_e32 v128, v128, v63, vcc
	s_waitcnt lgkmcnt(0)
	v_mul_f32_e32 v128, v128, v129
	s_cbranch_execz .LBB30_181
	s_branch .LBB30_182
.LBB30_180:
                                        ; implicit-def: $vgpr128
.LBB30_181:
	ds_read_b32 v128, v127
.LBB30_182:
	s_and_saveexec_b64 s[6:7], s[0:1]
	s_cbranch_execz .LBB30_192
; %bb.183:
	v_subrev_u32_e32 v131, 19, v0
	v_mov_b32_e32 v129, 18
	v_subrev_u32_e32 v130, 18, v0
	v_cmp_lt_u32_e32 vcc, 6, v131
	s_and_saveexec_b64 s[0:1], vcc
	s_cbranch_execz .LBB30_187
; %bb.184:
	v_and_b32_e32 v129, -8, v130
	v_sub_u32_e32 v131, 0, v129
	s_mov_b64 s[8:9], 25
	s_movk_i32 s12, 0xc8
	s_mov_b64 s[10:11], 0
.LBB30_185:                             ; =>This Inner Loop Header: Depth=1
	s_add_i32 s13, s8, -7
	v_mov_b32_e32 v129, s12
	s_add_i32 s14, s8, -6
	s_set_gpr_idx_on s13, gpr_idx(SRC0)
	v_mov_b32_e32 v140, v33
	s_set_gpr_idx_off
	ds_read2_b64 v[132:135], v129 offset1:1
	s_add_i32 s15, s8, -5
	s_set_gpr_idx_on s14, gpr_idx(SRC0)
	v_mov_b32_e32 v141, v33
	s_set_gpr_idx_off
	s_add_i32 s16, s8, -4
	s_set_gpr_idx_on s15, gpr_idx(SRC0)
	v_mov_b32_e32 v142, v33
	s_set_gpr_idx_off
	;; [unrolled: 4-line block ×4, first 2 shown]
	ds_read2_b64 v[136:139], v129 offset0:2 offset1:3
	s_add_i32 s19, s8, -1
	s_waitcnt lgkmcnt(1)
	v_fmac_f32_e32 v128, v140, v132
	s_set_gpr_idx_on s18, gpr_idx(SRC0)
	v_mov_b32_e32 v132, v33
	s_set_gpr_idx_off
	v_fmac_f32_e32 v128, v141, v133
	s_set_gpr_idx_on s19, gpr_idx(SRC0)
	v_mov_b32_e32 v133, v33
	s_set_gpr_idx_off
	;; [unrolled: 4-line block ×3, first 2 shown]
	v_fmac_f32_e32 v128, v143, v135
	s_add_u32 s8, s8, 8
	s_waitcnt lgkmcnt(0)
	v_fmac_f32_e32 v128, v144, v136
	v_add_u32_e32 v129, s8, v131
	v_fmac_f32_e32 v128, v132, v137
	s_addc_u32 s9, s9, 0
	s_add_i32 s12, s12, 32
	s_add_i32 s13, s8, -7
	v_cmp_eq_u32_e32 vcc, 25, v129
	v_fmac_f32_e32 v128, v133, v138
	v_mov_b32_e32 v129, s13
	s_or_b64 s[10:11], vcc, s[10:11]
	v_fmac_f32_e32 v128, v134, v139
	s_andn2_b64 exec, exec, s[10:11]
	s_cbranch_execnz .LBB30_185
; %bb.186:
	s_or_b64 exec, exec, s[10:11]
.LBB30_187:
	s_or_b64 exec, exec, s[0:1]
	v_and_b32_e32 v64, 7, v130
	v_cmp_ne_u32_e32 vcc, 0, v64
	s_and_saveexec_b64 s[8:9], vcc
	s_cbranch_execz .LBB30_191
; %bb.188:
	v_mov_b32_e32 v130, 0x80
	v_lshl_add_u32 v130, v129, 2, v130
	v_mov_b32_e32 v131, 0
	s_mov_b64 s[10:11], 0
.LBB30_189:                             ; =>This Inner Loop Header: Depth=1
	v_cmp_eq_u32_e32 vcc, 1, v129
	v_cndmask_b32_e32 v132, v33, v34, vcc
	v_add_u32_e32 v64, -1, v64
	v_cmp_eq_u32_e32 vcc, 2, v129
	v_cndmask_b32_e32 v132, v132, v35, vcc
	v_cmp_eq_u32_e32 vcc, 0, v64
	v_cmp_eq_u32_e64 s[0:1], 3, v129
	v_cndmask_b32_e64 v132, v132, v36, s[0:1]
	s_or_b64 s[10:11], vcc, s[10:11]
	v_cmp_eq_u32_e32 vcc, 4, v129
	v_cndmask_b32_e32 v132, v132, v37, vcc
	v_cmp_eq_u32_e32 vcc, 5, v129
	v_cndmask_b32_e32 v132, v132, v38, vcc
	v_cmp_eq_u32_e32 vcc, 6, v129
	v_cndmask_b32_e32 v132, v132, v39, vcc
	v_cmp_eq_u32_e32 vcc, 7, v129
	v_cndmask_b32_e32 v132, v132, v40, vcc
	v_cmp_eq_u32_e32 vcc, 8, v129
	v_cndmask_b32_e32 v132, v132, v41, vcc
	v_cmp_eq_u32_e32 vcc, 9, v129
	v_cndmask_b32_e32 v132, v132, v42, vcc
	v_cmp_eq_u32_e32 vcc, 10, v129
	v_cndmask_b32_e32 v132, v132, v43, vcc
	v_cmp_eq_u32_e32 vcc, 11, v129
	v_cndmask_b32_e32 v132, v132, v44, vcc
	v_cmp_eq_u32_e32 vcc, 12, v129
	v_cndmask_b32_e32 v132, v132, v45, vcc
	v_cmp_eq_u32_e32 vcc, 13, v129
	v_cndmask_b32_e32 v132, v132, v46, vcc
	v_cmp_eq_u32_e32 vcc, 14, v129
	v_cndmask_b32_e32 v132, v132, v47, vcc
	v_cmp_eq_u32_e32 vcc, 15, v129
	v_cndmask_b32_e32 v132, v132, v48, vcc
	v_cmp_eq_u32_e32 vcc, 16, v129
	v_cndmask_b32_e32 v132, v132, v49, vcc
	v_cmp_eq_u32_e32 vcc, 17, v129
	v_cndmask_b32_e32 v132, v132, v50, vcc
	v_cmp_eq_u32_e32 vcc, 18, v129
	v_cndmask_b32_e32 v132, v132, v51, vcc
	v_cmp_eq_u32_e32 vcc, 19, v129
	v_cndmask_b32_e32 v132, v132, v52, vcc
	v_cmp_eq_u32_e32 vcc, 20, v129
	v_cndmask_b32_e32 v132, v132, v53, vcc
	v_cmp_eq_u32_e32 vcc, 21, v129
	v_cndmask_b32_e32 v132, v132, v54, vcc
	v_cmp_eq_u32_e32 vcc, 22, v129
	v_cndmask_b32_e32 v132, v132, v55, vcc
	v_cmp_eq_u32_e32 vcc, 23, v129
	v_cndmask_b32_e32 v132, v132, v56, vcc
	v_cmp_eq_u32_e32 vcc, 24, v129
	v_cndmask_b32_e32 v132, v132, v57, vcc
	v_cmp_eq_u32_e32 vcc, 25, v129
	v_cndmask_b32_e32 v132, v132, v58, vcc
	v_cmp_eq_u32_e32 vcc, 26, v129
	ds_read_b32 v133, v130
	v_cndmask_b32_e32 v132, v132, v59, vcc
	v_cmp_eq_u32_e32 vcc, 27, v129
	v_cndmask_b32_e32 v132, v132, v60, vcc
	v_cmp_eq_u32_e32 vcc, 28, v129
	;; [unrolled: 2-line block ×4, first 2 shown]
	v_add_co_u32_e64 v129, s[0:1], 1, v129
	v_cndmask_b32_e32 v132, v132, v63, vcc
	v_add_u32_e32 v130, 4, v130
	v_addc_co_u32_e64 v131, s[0:1], 0, v131, s[0:1]
	s_waitcnt lgkmcnt(0)
	v_fmac_f32_e32 v128, v132, v133
	s_andn2_b64 exec, exec, s[10:11]
	s_cbranch_execnz .LBB30_189
; %bb.190:
	s_or_b64 exec, exec, s[10:11]
.LBB30_191:
	s_or_b64 exec, exec, s[8:9]
.LBB30_192:
	s_or_b64 exec, exec, s[6:7]
	v_mov_b32_e32 v50, 0
	ds_read_b32 v50, v50 offset:68
	s_waitcnt lgkmcnt(0)
	v_mul_f32_e32 v50, v128, v50
.LBB30_193:
	s_or_b64 exec, exec, s[4:5]
	v_cmp_lt_u32_e64 s[0:1], 16, v0
	ds_write_b32 v127, v49
	s_waitcnt lgkmcnt(0)
	; wave barrier
	s_and_saveexec_b64 s[4:5], s[0:1]
	s_cbranch_execz .LBB30_209
; %bb.194:
	s_andn2_b64 vcc, exec, s[66:67]
	s_cbranch_vccnz .LBB30_196
; %bb.195:
	v_cmp_eq_u32_e32 vcc, 1, v0
	v_cndmask_b32_e32 v128, v33, v34, vcc
	v_cmp_eq_u32_e32 vcc, 2, v0
	v_cndmask_b32_e32 v128, v128, v35, vcc
	;; [unrolled: 2-line block ×26, first 2 shown]
	v_cmp_eq_u32_e32 vcc, 27, v0
	ds_read_b32 v129, v127
	v_cndmask_b32_e32 v128, v128, v60, vcc
	v_cmp_eq_u32_e32 vcc, 28, v0
	v_cndmask_b32_e32 v128, v128, v61, vcc
	v_cmp_eq_u32_e32 vcc, 29, v0
	;; [unrolled: 2-line block ×3, first 2 shown]
	v_cndmask_b32_e32 v128, v128, v63, vcc
	s_waitcnt lgkmcnt(0)
	v_mul_f32_e32 v128, v128, v129
	s_cbranch_execz .LBB30_197
	s_branch .LBB30_198
.LBB30_196:
                                        ; implicit-def: $vgpr128
.LBB30_197:
	ds_read_b32 v128, v127
.LBB30_198:
	s_and_saveexec_b64 s[6:7], s[2:3]
	s_cbranch_execz .LBB30_208
; %bb.199:
	v_subrev_u32_e32 v131, 18, v0
	v_mov_b32_e32 v129, 17
	v_subrev_u32_e32 v130, 17, v0
	v_cmp_lt_u32_e32 vcc, 6, v131
	s_and_saveexec_b64 s[2:3], vcc
	s_cbranch_execz .LBB30_203
; %bb.200:
	v_and_b32_e32 v129, -8, v130
	v_sub_u32_e32 v131, 0, v129
	s_mov_b64 s[8:9], 24
	s_movk_i32 s12, 0xc4
	s_mov_b64 s[10:11], 0
.LBB30_201:                             ; =>This Inner Loop Header: Depth=1
	s_add_i32 s13, s8, -7
	v_mov_b32_e32 v129, s12
	s_add_i32 s14, s8, -6
	s_set_gpr_idx_on s13, gpr_idx(SRC0)
	v_mov_b32_e32 v138, v33
	s_set_gpr_idx_off
	ds_read2_b32 v[132:133], v129 offset1:1
	s_add_i32 s15, s8, -5
	s_set_gpr_idx_on s14, gpr_idx(SRC0)
	v_mov_b32_e32 v139, v33
	s_set_gpr_idx_off
	s_add_i32 s16, s8, -4
	s_set_gpr_idx_on s15, gpr_idx(SRC0)
	v_mov_b32_e32 v140, v33
	s_set_gpr_idx_off
	ds_read2_b32 v[134:135], v129 offset0:2 offset1:3
	s_add_i32 s17, s8, -3
	s_set_gpr_idx_on s16, gpr_idx(SRC0)
	v_mov_b32_e32 v141, v33
	s_set_gpr_idx_off
	s_add_i32 s18, s8, -2
	s_set_gpr_idx_on s17, gpr_idx(SRC0)
	v_mov_b32_e32 v142, v33
	s_set_gpr_idx_off
	ds_read2_b32 v[136:137], v129 offset0:4 offset1:5
	s_add_i32 s19, s8, -1
	s_waitcnt lgkmcnt(2)
	v_fmac_f32_e32 v128, v138, v132
	s_set_gpr_idx_on s18, gpr_idx(SRC0)
	v_mov_b32_e32 v138, v33
	s_set_gpr_idx_off
	v_fmac_f32_e32 v128, v139, v133
	s_set_gpr_idx_on s19, gpr_idx(SRC0)
	v_mov_b32_e32 v139, v33
	s_set_gpr_idx_off
	ds_read2_b32 v[132:133], v129 offset0:6 offset1:7
	s_waitcnt lgkmcnt(2)
	v_fmac_f32_e32 v128, v140, v134
	s_set_gpr_idx_on s8, gpr_idx(SRC0)
	v_mov_b32_e32 v134, v33
	s_set_gpr_idx_off
	v_fmac_f32_e32 v128, v141, v135
	s_add_u32 s8, s8, 8
	s_waitcnt lgkmcnt(1)
	v_fmac_f32_e32 v128, v142, v136
	v_add_u32_e32 v129, s8, v131
	v_fmac_f32_e32 v128, v138, v137
	s_addc_u32 s9, s9, 0
	s_add_i32 s12, s12, 32
	s_add_i32 s13, s8, -7
	v_cmp_eq_u32_e32 vcc, 24, v129
	s_waitcnt lgkmcnt(0)
	v_fmac_f32_e32 v128, v139, v132
	v_mov_b32_e32 v129, s13
	s_or_b64 s[10:11], vcc, s[10:11]
	v_fmac_f32_e32 v128, v134, v133
	s_andn2_b64 exec, exec, s[10:11]
	s_cbranch_execnz .LBB30_201
; %bb.202:
	s_or_b64 exec, exec, s[10:11]
.LBB30_203:
	s_or_b64 exec, exec, s[2:3]
	v_and_b32_e32 v64, 7, v130
	v_cmp_ne_u32_e32 vcc, 0, v64
	s_and_saveexec_b64 s[8:9], vcc
	s_cbranch_execz .LBB30_207
; %bb.204:
	v_mov_b32_e32 v130, 0x80
	v_lshl_add_u32 v130, v129, 2, v130
	v_mov_b32_e32 v131, 0
	s_mov_b64 s[10:11], 0
.LBB30_205:                             ; =>This Inner Loop Header: Depth=1
	v_cmp_eq_u32_e32 vcc, 1, v129
	v_cndmask_b32_e32 v132, v33, v34, vcc
	v_add_u32_e32 v64, -1, v64
	v_cmp_eq_u32_e32 vcc, 2, v129
	v_cndmask_b32_e32 v132, v132, v35, vcc
	v_cmp_eq_u32_e32 vcc, 0, v64
	v_cmp_eq_u32_e64 s[2:3], 3, v129
	v_cndmask_b32_e64 v132, v132, v36, s[2:3]
	s_or_b64 s[10:11], vcc, s[10:11]
	v_cmp_eq_u32_e32 vcc, 4, v129
	v_cndmask_b32_e32 v132, v132, v37, vcc
	v_cmp_eq_u32_e32 vcc, 5, v129
	v_cndmask_b32_e32 v132, v132, v38, vcc
	;; [unrolled: 2-line block ×22, first 2 shown]
	v_cmp_eq_u32_e32 vcc, 26, v129
	ds_read_b32 v133, v130
	v_cndmask_b32_e32 v132, v132, v59, vcc
	v_cmp_eq_u32_e32 vcc, 27, v129
	v_cndmask_b32_e32 v132, v132, v60, vcc
	v_cmp_eq_u32_e32 vcc, 28, v129
	;; [unrolled: 2-line block ×4, first 2 shown]
	v_add_co_u32_e64 v129, s[2:3], 1, v129
	v_cndmask_b32_e32 v132, v132, v63, vcc
	v_add_u32_e32 v130, 4, v130
	v_addc_co_u32_e64 v131, s[2:3], 0, v131, s[2:3]
	s_waitcnt lgkmcnt(0)
	v_fmac_f32_e32 v128, v132, v133
	s_andn2_b64 exec, exec, s[10:11]
	s_cbranch_execnz .LBB30_205
; %bb.206:
	s_or_b64 exec, exec, s[10:11]
.LBB30_207:
	s_or_b64 exec, exec, s[8:9]
.LBB30_208:
	s_or_b64 exec, exec, s[6:7]
	v_mov_b32_e32 v49, 0
	ds_read_b32 v49, v49 offset:64
	s_waitcnt lgkmcnt(0)
	v_mul_f32_e32 v49, v128, v49
.LBB30_209:
	s_or_b64 exec, exec, s[4:5]
	v_cmp_lt_u32_e64 s[2:3], 15, v0
	ds_write_b32 v127, v48
	s_waitcnt lgkmcnt(0)
	; wave barrier
	s_and_saveexec_b64 s[4:5], s[2:3]
	s_cbranch_execz .LBB30_225
; %bb.210:
	s_andn2_b64 vcc, exec, s[66:67]
	s_cbranch_vccnz .LBB30_212
; %bb.211:
	v_cmp_eq_u32_e32 vcc, 1, v0
	v_cndmask_b32_e32 v128, v33, v34, vcc
	v_cmp_eq_u32_e32 vcc, 2, v0
	v_cndmask_b32_e32 v128, v128, v35, vcc
	v_cmp_eq_u32_e32 vcc, 3, v0
	v_cndmask_b32_e32 v128, v128, v36, vcc
	v_cmp_eq_u32_e32 vcc, 4, v0
	v_cndmask_b32_e32 v128, v128, v37, vcc
	v_cmp_eq_u32_e32 vcc, 5, v0
	v_cndmask_b32_e32 v128, v128, v38, vcc
	v_cmp_eq_u32_e32 vcc, 6, v0
	v_cndmask_b32_e32 v128, v128, v39, vcc
	v_cmp_eq_u32_e32 vcc, 7, v0
	v_cndmask_b32_e32 v128, v128, v40, vcc
	v_cmp_eq_u32_e32 vcc, 8, v0
	v_cndmask_b32_e32 v128, v128, v41, vcc
	v_cmp_eq_u32_e32 vcc, 9, v0
	v_cndmask_b32_e32 v128, v128, v42, vcc
	v_cmp_eq_u32_e32 vcc, 10, v0
	v_cndmask_b32_e32 v128, v128, v43, vcc
	v_cmp_eq_u32_e32 vcc, 11, v0
	v_cndmask_b32_e32 v128, v128, v44, vcc
	v_cmp_eq_u32_e32 vcc, 12, v0
	v_cndmask_b32_e32 v128, v128, v45, vcc
	v_cmp_eq_u32_e32 vcc, 13, v0
	v_cndmask_b32_e32 v128, v128, v46, vcc
	v_cmp_eq_u32_e32 vcc, 14, v0
	v_cndmask_b32_e32 v128, v128, v47, vcc
	v_cmp_eq_u32_e32 vcc, 15, v0
	v_cndmask_b32_e32 v128, v128, v48, vcc
	v_cmp_eq_u32_e32 vcc, 16, v0
	v_cndmask_b32_e32 v128, v128, v49, vcc
	v_cmp_eq_u32_e32 vcc, 17, v0
	v_cndmask_b32_e32 v128, v128, v50, vcc
	v_cmp_eq_u32_e32 vcc, 18, v0
	v_cndmask_b32_e32 v128, v128, v51, vcc
	v_cmp_eq_u32_e32 vcc, 19, v0
	v_cndmask_b32_e32 v128, v128, v52, vcc
	v_cmp_eq_u32_e32 vcc, 20, v0
	v_cndmask_b32_e32 v128, v128, v53, vcc
	v_cmp_eq_u32_e32 vcc, 21, v0
	v_cndmask_b32_e32 v128, v128, v54, vcc
	v_cmp_eq_u32_e32 vcc, 22, v0
	v_cndmask_b32_e32 v128, v128, v55, vcc
	v_cmp_eq_u32_e32 vcc, 23, v0
	v_cndmask_b32_e32 v128, v128, v56, vcc
	v_cmp_eq_u32_e32 vcc, 24, v0
	v_cndmask_b32_e32 v128, v128, v57, vcc
	v_cmp_eq_u32_e32 vcc, 25, v0
	v_cndmask_b32_e32 v128, v128, v58, vcc
	v_cmp_eq_u32_e32 vcc, 26, v0
	v_cndmask_b32_e32 v128, v128, v59, vcc
	v_cmp_eq_u32_e32 vcc, 27, v0
	ds_read_b32 v129, v127
	v_cndmask_b32_e32 v128, v128, v60, vcc
	v_cmp_eq_u32_e32 vcc, 28, v0
	v_cndmask_b32_e32 v128, v128, v61, vcc
	v_cmp_eq_u32_e32 vcc, 29, v0
	;; [unrolled: 2-line block ×3, first 2 shown]
	v_cndmask_b32_e32 v128, v128, v63, vcc
	s_waitcnt lgkmcnt(0)
	v_mul_f32_e32 v128, v128, v129
	s_cbranch_execz .LBB30_213
	s_branch .LBB30_214
.LBB30_212:
                                        ; implicit-def: $vgpr128
.LBB30_213:
	ds_read_b32 v128, v127
.LBB30_214:
	s_and_saveexec_b64 s[6:7], s[0:1]
	s_cbranch_execz .LBB30_224
; %bb.215:
	v_subrev_u32_e32 v129, 17, v0
	v_cmp_lt_u32_e32 vcc, 6, v129
	v_mov_b32_e32 v129, 16
	s_and_saveexec_b64 s[0:1], vcc
	s_cbranch_execz .LBB30_219
; %bb.216:
	v_and_b32_e32 v129, 24, v0
	v_sub_u32_e32 v130, 0, v129
	s_mov_b64 s[8:9], 23
	s_movk_i32 s12, 0xc0
	s_mov_b64 s[10:11], 0
.LBB30_217:                             ; =>This Inner Loop Header: Depth=1
	s_add_i32 s13, s8, -7
	v_mov_b32_e32 v129, s12
	s_add_i32 s14, s8, -6
	s_set_gpr_idx_on s13, gpr_idx(SRC0)
	v_mov_b32_e32 v139, v33
	s_set_gpr_idx_off
	s_add_i32 s15, s8, -5
	ds_read_b128 v[131:134], v129
	ds_read_b128 v[135:138], v129 offset:16
	s_set_gpr_idx_on s14, gpr_idx(SRC0)
	v_mov_b32_e32 v129, v33
	s_set_gpr_idx_off
	s_add_i32 s16, s8, -4
	s_set_gpr_idx_on s15, gpr_idx(SRC0)
	v_mov_b32_e32 v140, v33
	s_set_gpr_idx_off
	s_add_i32 s17, s8, -3
	;; [unrolled: 4-line block ×4, first 2 shown]
	s_waitcnt lgkmcnt(1)
	v_fmac_f32_e32 v128, v139, v131
	s_set_gpr_idx_on s18, gpr_idx(SRC0)
	v_mov_b32_e32 v131, v33
	s_set_gpr_idx_off
	v_fmac_f32_e32 v128, v129, v132
	s_set_gpr_idx_on s19, gpr_idx(SRC0)
	v_mov_b32_e32 v132, v33
	s_set_gpr_idx_off
	;; [unrolled: 4-line block ×3, first 2 shown]
	v_fmac_f32_e32 v128, v141, v134
	s_add_u32 s8, s8, 8
	s_waitcnt lgkmcnt(0)
	v_fmac_f32_e32 v128, v142, v135
	v_add_u32_e32 v129, s8, v130
	v_fmac_f32_e32 v128, v131, v136
	s_addc_u32 s9, s9, 0
	s_add_i32 s12, s12, 32
	s_add_i32 s13, s8, -7
	v_cmp_eq_u32_e32 vcc, 7, v129
	v_fmac_f32_e32 v128, v132, v137
	v_mov_b32_e32 v129, s13
	s_or_b64 s[10:11], vcc, s[10:11]
	v_fmac_f32_e32 v128, v133, v138
	s_andn2_b64 exec, exec, s[10:11]
	s_cbranch_execnz .LBB30_217
; %bb.218:
	s_or_b64 exec, exec, s[10:11]
.LBB30_219:
	s_or_b64 exec, exec, s[0:1]
	v_and_b32_e32 v64, 7, v0
	v_cmp_ne_u32_e32 vcc, 0, v64
	s_and_saveexec_b64 s[8:9], vcc
	s_cbranch_execz .LBB30_223
; %bb.220:
	v_mov_b32_e32 v130, 0x80
	v_lshl_add_u32 v130, v129, 2, v130
	v_mov_b32_e32 v131, 0
	s_mov_b64 s[10:11], 0
.LBB30_221:                             ; =>This Inner Loop Header: Depth=1
	v_cmp_eq_u32_e32 vcc, 1, v129
	v_cndmask_b32_e32 v132, v33, v34, vcc
	v_add_u32_e32 v64, -1, v64
	v_cmp_eq_u32_e32 vcc, 2, v129
	v_cndmask_b32_e32 v132, v132, v35, vcc
	v_cmp_eq_u32_e32 vcc, 0, v64
	v_cmp_eq_u32_e64 s[0:1], 3, v129
	v_cndmask_b32_e64 v132, v132, v36, s[0:1]
	s_or_b64 s[10:11], vcc, s[10:11]
	v_cmp_eq_u32_e32 vcc, 4, v129
	v_cndmask_b32_e32 v132, v132, v37, vcc
	v_cmp_eq_u32_e32 vcc, 5, v129
	v_cndmask_b32_e32 v132, v132, v38, vcc
	;; [unrolled: 2-line block ×22, first 2 shown]
	v_cmp_eq_u32_e32 vcc, 26, v129
	ds_read_b32 v133, v130
	v_cndmask_b32_e32 v132, v132, v59, vcc
	v_cmp_eq_u32_e32 vcc, 27, v129
	v_cndmask_b32_e32 v132, v132, v60, vcc
	v_cmp_eq_u32_e32 vcc, 28, v129
	;; [unrolled: 2-line block ×4, first 2 shown]
	v_add_co_u32_e64 v129, s[0:1], 1, v129
	v_cndmask_b32_e32 v132, v132, v63, vcc
	v_add_u32_e32 v130, 4, v130
	v_addc_co_u32_e64 v131, s[0:1], 0, v131, s[0:1]
	s_waitcnt lgkmcnt(0)
	v_fmac_f32_e32 v128, v132, v133
	s_andn2_b64 exec, exec, s[10:11]
	s_cbranch_execnz .LBB30_221
; %bb.222:
	s_or_b64 exec, exec, s[10:11]
.LBB30_223:
	s_or_b64 exec, exec, s[8:9]
.LBB30_224:
	s_or_b64 exec, exec, s[6:7]
	v_mov_b32_e32 v48, 0
	ds_read_b32 v48, v48 offset:60
	s_waitcnt lgkmcnt(0)
	v_mul_f32_e32 v48, v128, v48
.LBB30_225:
	s_or_b64 exec, exec, s[4:5]
	v_cmp_lt_u32_e64 s[0:1], 14, v0
	ds_write_b32 v127, v47
	s_waitcnt lgkmcnt(0)
	; wave barrier
	s_and_saveexec_b64 s[4:5], s[0:1]
	s_cbranch_execz .LBB30_241
; %bb.226:
	s_andn2_b64 vcc, exec, s[66:67]
	s_cbranch_vccnz .LBB30_228
; %bb.227:
	v_cmp_eq_u32_e32 vcc, 1, v0
	v_cndmask_b32_e32 v128, v33, v34, vcc
	v_cmp_eq_u32_e32 vcc, 2, v0
	v_cndmask_b32_e32 v128, v128, v35, vcc
	v_cmp_eq_u32_e32 vcc, 3, v0
	v_cndmask_b32_e32 v128, v128, v36, vcc
	v_cmp_eq_u32_e32 vcc, 4, v0
	v_cndmask_b32_e32 v128, v128, v37, vcc
	v_cmp_eq_u32_e32 vcc, 5, v0
	v_cndmask_b32_e32 v128, v128, v38, vcc
	v_cmp_eq_u32_e32 vcc, 6, v0
	v_cndmask_b32_e32 v128, v128, v39, vcc
	v_cmp_eq_u32_e32 vcc, 7, v0
	v_cndmask_b32_e32 v128, v128, v40, vcc
	v_cmp_eq_u32_e32 vcc, 8, v0
	v_cndmask_b32_e32 v128, v128, v41, vcc
	v_cmp_eq_u32_e32 vcc, 9, v0
	v_cndmask_b32_e32 v128, v128, v42, vcc
	v_cmp_eq_u32_e32 vcc, 10, v0
	v_cndmask_b32_e32 v128, v128, v43, vcc
	v_cmp_eq_u32_e32 vcc, 11, v0
	v_cndmask_b32_e32 v128, v128, v44, vcc
	v_cmp_eq_u32_e32 vcc, 12, v0
	v_cndmask_b32_e32 v128, v128, v45, vcc
	v_cmp_eq_u32_e32 vcc, 13, v0
	v_cndmask_b32_e32 v128, v128, v46, vcc
	v_cmp_eq_u32_e32 vcc, 14, v0
	v_cndmask_b32_e32 v128, v128, v47, vcc
	v_cmp_eq_u32_e32 vcc, 15, v0
	v_cndmask_b32_e32 v128, v128, v48, vcc
	v_cmp_eq_u32_e32 vcc, 16, v0
	v_cndmask_b32_e32 v128, v128, v49, vcc
	v_cmp_eq_u32_e32 vcc, 17, v0
	v_cndmask_b32_e32 v128, v128, v50, vcc
	v_cmp_eq_u32_e32 vcc, 18, v0
	v_cndmask_b32_e32 v128, v128, v51, vcc
	v_cmp_eq_u32_e32 vcc, 19, v0
	v_cndmask_b32_e32 v128, v128, v52, vcc
	v_cmp_eq_u32_e32 vcc, 20, v0
	v_cndmask_b32_e32 v128, v128, v53, vcc
	v_cmp_eq_u32_e32 vcc, 21, v0
	v_cndmask_b32_e32 v128, v128, v54, vcc
	v_cmp_eq_u32_e32 vcc, 22, v0
	v_cndmask_b32_e32 v128, v128, v55, vcc
	v_cmp_eq_u32_e32 vcc, 23, v0
	v_cndmask_b32_e32 v128, v128, v56, vcc
	v_cmp_eq_u32_e32 vcc, 24, v0
	v_cndmask_b32_e32 v128, v128, v57, vcc
	v_cmp_eq_u32_e32 vcc, 25, v0
	v_cndmask_b32_e32 v128, v128, v58, vcc
	v_cmp_eq_u32_e32 vcc, 26, v0
	v_cndmask_b32_e32 v128, v128, v59, vcc
	v_cmp_eq_u32_e32 vcc, 27, v0
	ds_read_b32 v129, v127
	v_cndmask_b32_e32 v128, v128, v60, vcc
	v_cmp_eq_u32_e32 vcc, 28, v0
	v_cndmask_b32_e32 v128, v128, v61, vcc
	v_cmp_eq_u32_e32 vcc, 29, v0
	v_cndmask_b32_e32 v128, v128, v62, vcc
	v_cmp_eq_u32_e32 vcc, 30, v0
	v_cndmask_b32_e32 v128, v128, v63, vcc
	s_waitcnt lgkmcnt(0)
	v_mul_f32_e32 v128, v128, v129
	s_cbranch_execz .LBB30_229
	s_branch .LBB30_230
.LBB30_228:
                                        ; implicit-def: $vgpr128
.LBB30_229:
	ds_read_b32 v128, v127
.LBB30_230:
	s_and_saveexec_b64 s[6:7], s[2:3]
	s_cbranch_execz .LBB30_240
; %bb.231:
	v_add_u32_e32 v129, -16, v0
	v_add_u32_e32 v130, -15, v0
	v_cmp_lt_u32_e32 vcc, 6, v129
	v_mov_b32_e32 v129, 15
	s_and_saveexec_b64 s[2:3], vcc
	s_cbranch_execz .LBB30_235
; %bb.232:
	v_and_b32_e32 v129, -8, v130
	v_sub_u32_e32 v131, 0, v129
	s_mov_b64 s[8:9], 22
	s_movk_i32 s12, 0xbc
	s_mov_b64 s[10:11], 0
.LBB30_233:                             ; =>This Inner Loop Header: Depth=1
	s_add_i32 s13, s8, -7
	v_mov_b32_e32 v129, s12
	s_add_i32 s14, s8, -6
	s_set_gpr_idx_on s13, gpr_idx(SRC0)
	v_mov_b32_e32 v138, v33
	s_set_gpr_idx_off
	ds_read2_b32 v[132:133], v129 offset1:1
	s_add_i32 s15, s8, -5
	s_set_gpr_idx_on s14, gpr_idx(SRC0)
	v_mov_b32_e32 v139, v33
	s_set_gpr_idx_off
	s_add_i32 s16, s8, -4
	s_set_gpr_idx_on s15, gpr_idx(SRC0)
	v_mov_b32_e32 v140, v33
	s_set_gpr_idx_off
	ds_read2_b32 v[134:135], v129 offset0:2 offset1:3
	s_add_i32 s17, s8, -3
	s_set_gpr_idx_on s16, gpr_idx(SRC0)
	v_mov_b32_e32 v141, v33
	s_set_gpr_idx_off
	s_add_i32 s18, s8, -2
	s_set_gpr_idx_on s17, gpr_idx(SRC0)
	v_mov_b32_e32 v142, v33
	s_set_gpr_idx_off
	ds_read2_b32 v[136:137], v129 offset0:4 offset1:5
	s_add_i32 s19, s8, -1
	s_waitcnt lgkmcnt(2)
	v_fmac_f32_e32 v128, v138, v132
	s_set_gpr_idx_on s18, gpr_idx(SRC0)
	v_mov_b32_e32 v138, v33
	s_set_gpr_idx_off
	v_fmac_f32_e32 v128, v139, v133
	s_set_gpr_idx_on s19, gpr_idx(SRC0)
	v_mov_b32_e32 v139, v33
	s_set_gpr_idx_off
	ds_read2_b32 v[132:133], v129 offset0:6 offset1:7
	s_waitcnt lgkmcnt(2)
	v_fmac_f32_e32 v128, v140, v134
	s_set_gpr_idx_on s8, gpr_idx(SRC0)
	v_mov_b32_e32 v134, v33
	s_set_gpr_idx_off
	v_fmac_f32_e32 v128, v141, v135
	s_add_u32 s8, s8, 8
	s_waitcnt lgkmcnt(1)
	v_fmac_f32_e32 v128, v142, v136
	v_add_u32_e32 v129, s8, v131
	v_fmac_f32_e32 v128, v138, v137
	s_addc_u32 s9, s9, 0
	s_add_i32 s12, s12, 32
	s_add_i32 s13, s8, -7
	v_cmp_eq_u32_e32 vcc, 22, v129
	s_waitcnt lgkmcnt(0)
	v_fmac_f32_e32 v128, v139, v132
	v_mov_b32_e32 v129, s13
	s_or_b64 s[10:11], vcc, s[10:11]
	v_fmac_f32_e32 v128, v134, v133
	s_andn2_b64 exec, exec, s[10:11]
	s_cbranch_execnz .LBB30_233
; %bb.234:
	s_or_b64 exec, exec, s[10:11]
.LBB30_235:
	s_or_b64 exec, exec, s[2:3]
	v_and_b32_e32 v64, 7, v130
	v_cmp_ne_u32_e32 vcc, 0, v64
	s_and_saveexec_b64 s[8:9], vcc
	s_cbranch_execz .LBB30_239
; %bb.236:
	v_mov_b32_e32 v130, 0x80
	v_lshl_add_u32 v130, v129, 2, v130
	v_mov_b32_e32 v131, 0
	s_mov_b64 s[10:11], 0
.LBB30_237:                             ; =>This Inner Loop Header: Depth=1
	v_cmp_eq_u32_e32 vcc, 1, v129
	v_cndmask_b32_e32 v132, v33, v34, vcc
	v_add_u32_e32 v64, -1, v64
	v_cmp_eq_u32_e32 vcc, 2, v129
	v_cndmask_b32_e32 v132, v132, v35, vcc
	v_cmp_eq_u32_e32 vcc, 0, v64
	v_cmp_eq_u32_e64 s[2:3], 3, v129
	v_cndmask_b32_e64 v132, v132, v36, s[2:3]
	s_or_b64 s[10:11], vcc, s[10:11]
	v_cmp_eq_u32_e32 vcc, 4, v129
	v_cndmask_b32_e32 v132, v132, v37, vcc
	v_cmp_eq_u32_e32 vcc, 5, v129
	v_cndmask_b32_e32 v132, v132, v38, vcc
	;; [unrolled: 2-line block ×22, first 2 shown]
	v_cmp_eq_u32_e32 vcc, 26, v129
	ds_read_b32 v133, v130
	v_cndmask_b32_e32 v132, v132, v59, vcc
	v_cmp_eq_u32_e32 vcc, 27, v129
	v_cndmask_b32_e32 v132, v132, v60, vcc
	v_cmp_eq_u32_e32 vcc, 28, v129
	;; [unrolled: 2-line block ×4, first 2 shown]
	v_add_co_u32_e64 v129, s[2:3], 1, v129
	v_cndmask_b32_e32 v132, v132, v63, vcc
	v_add_u32_e32 v130, 4, v130
	v_addc_co_u32_e64 v131, s[2:3], 0, v131, s[2:3]
	s_waitcnt lgkmcnt(0)
	v_fmac_f32_e32 v128, v132, v133
	s_andn2_b64 exec, exec, s[10:11]
	s_cbranch_execnz .LBB30_237
; %bb.238:
	s_or_b64 exec, exec, s[10:11]
.LBB30_239:
	s_or_b64 exec, exec, s[8:9]
.LBB30_240:
	s_or_b64 exec, exec, s[6:7]
	v_mov_b32_e32 v47, 0
	ds_read_b32 v47, v47 offset:56
	s_waitcnt lgkmcnt(0)
	v_mul_f32_e32 v47, v128, v47
.LBB30_241:
	s_or_b64 exec, exec, s[4:5]
	v_cmp_lt_u32_e64 s[2:3], 13, v0
	ds_write_b32 v127, v46
	s_waitcnt lgkmcnt(0)
	; wave barrier
	s_and_saveexec_b64 s[4:5], s[2:3]
	s_cbranch_execz .LBB30_257
; %bb.242:
	s_andn2_b64 vcc, exec, s[66:67]
	s_cbranch_vccnz .LBB30_244
; %bb.243:
	v_cmp_eq_u32_e32 vcc, 1, v0
	v_cndmask_b32_e32 v128, v33, v34, vcc
	v_cmp_eq_u32_e32 vcc, 2, v0
	v_cndmask_b32_e32 v128, v128, v35, vcc
	;; [unrolled: 2-line block ×26, first 2 shown]
	v_cmp_eq_u32_e32 vcc, 27, v0
	ds_read_b32 v129, v127
	v_cndmask_b32_e32 v128, v128, v60, vcc
	v_cmp_eq_u32_e32 vcc, 28, v0
	v_cndmask_b32_e32 v128, v128, v61, vcc
	v_cmp_eq_u32_e32 vcc, 29, v0
	;; [unrolled: 2-line block ×3, first 2 shown]
	v_cndmask_b32_e32 v128, v128, v63, vcc
	s_waitcnt lgkmcnt(0)
	v_mul_f32_e32 v128, v128, v129
	s_cbranch_execz .LBB30_245
	s_branch .LBB30_246
.LBB30_244:
                                        ; implicit-def: $vgpr128
.LBB30_245:
	ds_read_b32 v128, v127
.LBB30_246:
	s_and_saveexec_b64 s[6:7], s[0:1]
	s_cbranch_execz .LBB30_256
; %bb.247:
	v_add_u32_e32 v129, -15, v0
	v_add_u32_e32 v130, -14, v0
	v_cmp_lt_u32_e32 vcc, 6, v129
	v_mov_b32_e32 v129, 14
	s_and_saveexec_b64 s[0:1], vcc
	s_cbranch_execz .LBB30_251
; %bb.248:
	v_and_b32_e32 v129, -8, v130
	v_sub_u32_e32 v131, 0, v129
	s_mov_b64 s[8:9], 21
	s_movk_i32 s12, 0xb8
	s_mov_b64 s[10:11], 0
.LBB30_249:                             ; =>This Inner Loop Header: Depth=1
	s_add_i32 s13, s8, -7
	v_mov_b32_e32 v129, s12
	s_add_i32 s14, s8, -6
	s_set_gpr_idx_on s13, gpr_idx(SRC0)
	v_mov_b32_e32 v140, v33
	s_set_gpr_idx_off
	ds_read2_b64 v[132:135], v129 offset1:1
	s_add_i32 s15, s8, -5
	s_set_gpr_idx_on s14, gpr_idx(SRC0)
	v_mov_b32_e32 v141, v33
	s_set_gpr_idx_off
	s_add_i32 s16, s8, -4
	s_set_gpr_idx_on s15, gpr_idx(SRC0)
	v_mov_b32_e32 v142, v33
	s_set_gpr_idx_off
	;; [unrolled: 4-line block ×4, first 2 shown]
	ds_read2_b64 v[136:139], v129 offset0:2 offset1:3
	s_add_i32 s19, s8, -1
	s_waitcnt lgkmcnt(1)
	v_fmac_f32_e32 v128, v140, v132
	s_set_gpr_idx_on s18, gpr_idx(SRC0)
	v_mov_b32_e32 v132, v33
	s_set_gpr_idx_off
	v_fmac_f32_e32 v128, v141, v133
	s_set_gpr_idx_on s19, gpr_idx(SRC0)
	v_mov_b32_e32 v133, v33
	s_set_gpr_idx_off
	;; [unrolled: 4-line block ×3, first 2 shown]
	v_fmac_f32_e32 v128, v143, v135
	s_add_u32 s8, s8, 8
	s_waitcnt lgkmcnt(0)
	v_fmac_f32_e32 v128, v144, v136
	v_add_u32_e32 v129, s8, v131
	v_fmac_f32_e32 v128, v132, v137
	s_addc_u32 s9, s9, 0
	s_add_i32 s12, s12, 32
	s_add_i32 s13, s8, -7
	v_cmp_eq_u32_e32 vcc, 21, v129
	v_fmac_f32_e32 v128, v133, v138
	v_mov_b32_e32 v129, s13
	s_or_b64 s[10:11], vcc, s[10:11]
	v_fmac_f32_e32 v128, v134, v139
	s_andn2_b64 exec, exec, s[10:11]
	s_cbranch_execnz .LBB30_249
; %bb.250:
	s_or_b64 exec, exec, s[10:11]
.LBB30_251:
	s_or_b64 exec, exec, s[0:1]
	v_and_b32_e32 v64, 7, v130
	v_cmp_ne_u32_e32 vcc, 0, v64
	s_and_saveexec_b64 s[8:9], vcc
	s_cbranch_execz .LBB30_255
; %bb.252:
	v_mov_b32_e32 v130, 0x80
	v_lshl_add_u32 v130, v129, 2, v130
	v_mov_b32_e32 v131, 0
	s_mov_b64 s[10:11], 0
.LBB30_253:                             ; =>This Inner Loop Header: Depth=1
	v_cmp_eq_u32_e32 vcc, 1, v129
	v_cndmask_b32_e32 v132, v33, v34, vcc
	v_add_u32_e32 v64, -1, v64
	v_cmp_eq_u32_e32 vcc, 2, v129
	v_cndmask_b32_e32 v132, v132, v35, vcc
	v_cmp_eq_u32_e32 vcc, 0, v64
	v_cmp_eq_u32_e64 s[0:1], 3, v129
	v_cndmask_b32_e64 v132, v132, v36, s[0:1]
	s_or_b64 s[10:11], vcc, s[10:11]
	v_cmp_eq_u32_e32 vcc, 4, v129
	v_cndmask_b32_e32 v132, v132, v37, vcc
	v_cmp_eq_u32_e32 vcc, 5, v129
	v_cndmask_b32_e32 v132, v132, v38, vcc
	;; [unrolled: 2-line block ×22, first 2 shown]
	v_cmp_eq_u32_e32 vcc, 26, v129
	ds_read_b32 v133, v130
	v_cndmask_b32_e32 v132, v132, v59, vcc
	v_cmp_eq_u32_e32 vcc, 27, v129
	v_cndmask_b32_e32 v132, v132, v60, vcc
	v_cmp_eq_u32_e32 vcc, 28, v129
	;; [unrolled: 2-line block ×4, first 2 shown]
	v_add_co_u32_e64 v129, s[0:1], 1, v129
	v_cndmask_b32_e32 v132, v132, v63, vcc
	v_add_u32_e32 v130, 4, v130
	v_addc_co_u32_e64 v131, s[0:1], 0, v131, s[0:1]
	s_waitcnt lgkmcnt(0)
	v_fmac_f32_e32 v128, v132, v133
	s_andn2_b64 exec, exec, s[10:11]
	s_cbranch_execnz .LBB30_253
; %bb.254:
	s_or_b64 exec, exec, s[10:11]
.LBB30_255:
	s_or_b64 exec, exec, s[8:9]
.LBB30_256:
	s_or_b64 exec, exec, s[6:7]
	v_mov_b32_e32 v46, 0
	ds_read_b32 v46, v46 offset:52
	s_waitcnt lgkmcnt(0)
	v_mul_f32_e32 v46, v128, v46
.LBB30_257:
	s_or_b64 exec, exec, s[4:5]
	v_cmp_lt_u32_e64 s[0:1], 12, v0
	ds_write_b32 v127, v45
	s_waitcnt lgkmcnt(0)
	; wave barrier
	s_and_saveexec_b64 s[4:5], s[0:1]
	s_cbranch_execz .LBB30_273
; %bb.258:
	s_andn2_b64 vcc, exec, s[66:67]
	s_cbranch_vccnz .LBB30_260
; %bb.259:
	v_cmp_eq_u32_e32 vcc, 1, v0
	v_cndmask_b32_e32 v128, v33, v34, vcc
	v_cmp_eq_u32_e32 vcc, 2, v0
	v_cndmask_b32_e32 v128, v128, v35, vcc
	;; [unrolled: 2-line block ×26, first 2 shown]
	v_cmp_eq_u32_e32 vcc, 27, v0
	ds_read_b32 v129, v127
	v_cndmask_b32_e32 v128, v128, v60, vcc
	v_cmp_eq_u32_e32 vcc, 28, v0
	v_cndmask_b32_e32 v128, v128, v61, vcc
	v_cmp_eq_u32_e32 vcc, 29, v0
	;; [unrolled: 2-line block ×3, first 2 shown]
	v_cndmask_b32_e32 v128, v128, v63, vcc
	s_waitcnt lgkmcnt(0)
	v_mul_f32_e32 v128, v128, v129
	s_cbranch_execz .LBB30_261
	s_branch .LBB30_262
.LBB30_260:
                                        ; implicit-def: $vgpr128
.LBB30_261:
	ds_read_b32 v128, v127
.LBB30_262:
	s_and_saveexec_b64 s[6:7], s[2:3]
	s_cbranch_execz .LBB30_272
; %bb.263:
	v_add_u32_e32 v129, -14, v0
	v_add_u32_e32 v130, -13, v0
	v_cmp_lt_u32_e32 vcc, 6, v129
	v_mov_b32_e32 v129, 13
	s_and_saveexec_b64 s[2:3], vcc
	s_cbranch_execz .LBB30_267
; %bb.264:
	v_and_b32_e32 v129, -8, v130
	v_sub_u32_e32 v131, 0, v129
	s_mov_b64 s[8:9], 20
	s_movk_i32 s12, 0xb4
	s_mov_b64 s[10:11], 0
.LBB30_265:                             ; =>This Inner Loop Header: Depth=1
	s_add_i32 s13, s8, -7
	v_mov_b32_e32 v129, s12
	s_add_i32 s14, s8, -6
	s_set_gpr_idx_on s13, gpr_idx(SRC0)
	v_mov_b32_e32 v138, v33
	s_set_gpr_idx_off
	ds_read2_b32 v[132:133], v129 offset1:1
	s_add_i32 s15, s8, -5
	s_set_gpr_idx_on s14, gpr_idx(SRC0)
	v_mov_b32_e32 v139, v33
	s_set_gpr_idx_off
	s_add_i32 s16, s8, -4
	s_set_gpr_idx_on s15, gpr_idx(SRC0)
	v_mov_b32_e32 v140, v33
	s_set_gpr_idx_off
	ds_read2_b32 v[134:135], v129 offset0:2 offset1:3
	s_add_i32 s17, s8, -3
	s_set_gpr_idx_on s16, gpr_idx(SRC0)
	v_mov_b32_e32 v141, v33
	s_set_gpr_idx_off
	s_add_i32 s18, s8, -2
	s_set_gpr_idx_on s17, gpr_idx(SRC0)
	v_mov_b32_e32 v142, v33
	s_set_gpr_idx_off
	ds_read2_b32 v[136:137], v129 offset0:4 offset1:5
	s_add_i32 s19, s8, -1
	s_waitcnt lgkmcnt(2)
	v_fmac_f32_e32 v128, v138, v132
	s_set_gpr_idx_on s18, gpr_idx(SRC0)
	v_mov_b32_e32 v138, v33
	s_set_gpr_idx_off
	v_fmac_f32_e32 v128, v139, v133
	s_set_gpr_idx_on s19, gpr_idx(SRC0)
	v_mov_b32_e32 v139, v33
	s_set_gpr_idx_off
	ds_read2_b32 v[132:133], v129 offset0:6 offset1:7
	s_waitcnt lgkmcnt(2)
	v_fmac_f32_e32 v128, v140, v134
	s_set_gpr_idx_on s8, gpr_idx(SRC0)
	v_mov_b32_e32 v134, v33
	s_set_gpr_idx_off
	v_fmac_f32_e32 v128, v141, v135
	s_add_u32 s8, s8, 8
	s_waitcnt lgkmcnt(1)
	v_fmac_f32_e32 v128, v142, v136
	v_add_u32_e32 v129, s8, v131
	v_fmac_f32_e32 v128, v138, v137
	s_addc_u32 s9, s9, 0
	s_add_i32 s12, s12, 32
	s_add_i32 s13, s8, -7
	v_cmp_eq_u32_e32 vcc, 20, v129
	s_waitcnt lgkmcnt(0)
	v_fmac_f32_e32 v128, v139, v132
	v_mov_b32_e32 v129, s13
	s_or_b64 s[10:11], vcc, s[10:11]
	v_fmac_f32_e32 v128, v134, v133
	s_andn2_b64 exec, exec, s[10:11]
	s_cbranch_execnz .LBB30_265
; %bb.266:
	s_or_b64 exec, exec, s[10:11]
.LBB30_267:
	s_or_b64 exec, exec, s[2:3]
	v_and_b32_e32 v64, 7, v130
	v_cmp_ne_u32_e32 vcc, 0, v64
	s_and_saveexec_b64 s[8:9], vcc
	s_cbranch_execz .LBB30_271
; %bb.268:
	v_mov_b32_e32 v130, 0x80
	v_lshl_add_u32 v130, v129, 2, v130
	v_mov_b32_e32 v131, 0
	s_mov_b64 s[10:11], 0
.LBB30_269:                             ; =>This Inner Loop Header: Depth=1
	v_cmp_eq_u32_e32 vcc, 1, v129
	v_cndmask_b32_e32 v132, v33, v34, vcc
	v_add_u32_e32 v64, -1, v64
	v_cmp_eq_u32_e32 vcc, 2, v129
	v_cndmask_b32_e32 v132, v132, v35, vcc
	v_cmp_eq_u32_e32 vcc, 0, v64
	v_cmp_eq_u32_e64 s[2:3], 3, v129
	v_cndmask_b32_e64 v132, v132, v36, s[2:3]
	s_or_b64 s[10:11], vcc, s[10:11]
	v_cmp_eq_u32_e32 vcc, 4, v129
	v_cndmask_b32_e32 v132, v132, v37, vcc
	v_cmp_eq_u32_e32 vcc, 5, v129
	v_cndmask_b32_e32 v132, v132, v38, vcc
	;; [unrolled: 2-line block ×22, first 2 shown]
	v_cmp_eq_u32_e32 vcc, 26, v129
	ds_read_b32 v133, v130
	v_cndmask_b32_e32 v132, v132, v59, vcc
	v_cmp_eq_u32_e32 vcc, 27, v129
	v_cndmask_b32_e32 v132, v132, v60, vcc
	v_cmp_eq_u32_e32 vcc, 28, v129
	;; [unrolled: 2-line block ×4, first 2 shown]
	v_add_co_u32_e64 v129, s[2:3], 1, v129
	v_cndmask_b32_e32 v132, v132, v63, vcc
	v_add_u32_e32 v130, 4, v130
	v_addc_co_u32_e64 v131, s[2:3], 0, v131, s[2:3]
	s_waitcnt lgkmcnt(0)
	v_fmac_f32_e32 v128, v132, v133
	s_andn2_b64 exec, exec, s[10:11]
	s_cbranch_execnz .LBB30_269
; %bb.270:
	s_or_b64 exec, exec, s[10:11]
.LBB30_271:
	s_or_b64 exec, exec, s[8:9]
.LBB30_272:
	s_or_b64 exec, exec, s[6:7]
	v_mov_b32_e32 v45, 0
	ds_read_b32 v45, v45 offset:48
	s_waitcnt lgkmcnt(0)
	v_mul_f32_e32 v45, v128, v45
.LBB30_273:
	s_or_b64 exec, exec, s[4:5]
	v_cmp_lt_u32_e64 s[2:3], 11, v0
	ds_write_b32 v127, v44
	s_waitcnt lgkmcnt(0)
	; wave barrier
	s_and_saveexec_b64 s[4:5], s[2:3]
	s_cbranch_execz .LBB30_289
; %bb.274:
	s_andn2_b64 vcc, exec, s[66:67]
	s_cbranch_vccnz .LBB30_276
; %bb.275:
	v_cmp_eq_u32_e32 vcc, 1, v0
	v_cndmask_b32_e32 v128, v33, v34, vcc
	v_cmp_eq_u32_e32 vcc, 2, v0
	v_cndmask_b32_e32 v128, v128, v35, vcc
	;; [unrolled: 2-line block ×26, first 2 shown]
	v_cmp_eq_u32_e32 vcc, 27, v0
	ds_read_b32 v129, v127
	v_cndmask_b32_e32 v128, v128, v60, vcc
	v_cmp_eq_u32_e32 vcc, 28, v0
	v_cndmask_b32_e32 v128, v128, v61, vcc
	v_cmp_eq_u32_e32 vcc, 29, v0
	;; [unrolled: 2-line block ×3, first 2 shown]
	v_cndmask_b32_e32 v128, v128, v63, vcc
	s_waitcnt lgkmcnt(0)
	v_mul_f32_e32 v128, v128, v129
	s_cbranch_execz .LBB30_277
	s_branch .LBB30_278
.LBB30_276:
                                        ; implicit-def: $vgpr128
.LBB30_277:
	ds_read_b32 v128, v127
.LBB30_278:
	s_and_saveexec_b64 s[6:7], s[0:1]
	s_cbranch_execz .LBB30_288
; %bb.279:
	v_add_u32_e32 v129, -13, v0
	v_add_u32_e32 v130, -12, v0
	v_cmp_lt_u32_e32 vcc, 6, v129
	v_mov_b32_e32 v129, 12
	s_and_saveexec_b64 s[0:1], vcc
	s_cbranch_execz .LBB30_283
; %bb.280:
	v_and_b32_e32 v129, -8, v130
	v_sub_u32_e32 v131, 0, v129
	s_mov_b64 s[8:9], 19
	s_movk_i32 s12, 0xb0
	s_mov_b64 s[10:11], 0
.LBB30_281:                             ; =>This Inner Loop Header: Depth=1
	s_add_i32 s13, s8, -7
	v_mov_b32_e32 v129, s12
	s_add_i32 s14, s8, -6
	s_set_gpr_idx_on s13, gpr_idx(SRC0)
	v_mov_b32_e32 v140, v33
	s_set_gpr_idx_off
	s_add_i32 s15, s8, -5
	ds_read_b128 v[132:135], v129
	ds_read_b128 v[136:139], v129 offset:16
	s_set_gpr_idx_on s14, gpr_idx(SRC0)
	v_mov_b32_e32 v129, v33
	s_set_gpr_idx_off
	s_add_i32 s16, s8, -4
	s_set_gpr_idx_on s15, gpr_idx(SRC0)
	v_mov_b32_e32 v141, v33
	s_set_gpr_idx_off
	s_add_i32 s17, s8, -3
	;; [unrolled: 4-line block ×4, first 2 shown]
	s_waitcnt lgkmcnt(1)
	v_fmac_f32_e32 v128, v140, v132
	s_set_gpr_idx_on s18, gpr_idx(SRC0)
	v_mov_b32_e32 v132, v33
	s_set_gpr_idx_off
	v_fmac_f32_e32 v128, v129, v133
	s_set_gpr_idx_on s19, gpr_idx(SRC0)
	v_mov_b32_e32 v133, v33
	s_set_gpr_idx_off
	;; [unrolled: 4-line block ×3, first 2 shown]
	v_fmac_f32_e32 v128, v142, v135
	s_add_u32 s8, s8, 8
	s_waitcnt lgkmcnt(0)
	v_fmac_f32_e32 v128, v143, v136
	v_add_u32_e32 v129, s8, v131
	v_fmac_f32_e32 v128, v132, v137
	s_addc_u32 s9, s9, 0
	s_add_i32 s12, s12, 32
	s_add_i32 s13, s8, -7
	v_cmp_eq_u32_e32 vcc, 19, v129
	v_fmac_f32_e32 v128, v133, v138
	v_mov_b32_e32 v129, s13
	s_or_b64 s[10:11], vcc, s[10:11]
	v_fmac_f32_e32 v128, v134, v139
	s_andn2_b64 exec, exec, s[10:11]
	s_cbranch_execnz .LBB30_281
; %bb.282:
	s_or_b64 exec, exec, s[10:11]
.LBB30_283:
	s_or_b64 exec, exec, s[0:1]
	v_and_b32_e32 v64, 7, v130
	v_cmp_ne_u32_e32 vcc, 0, v64
	s_and_saveexec_b64 s[8:9], vcc
	s_cbranch_execz .LBB30_287
; %bb.284:
	v_mov_b32_e32 v130, 0x80
	v_lshl_add_u32 v130, v129, 2, v130
	v_mov_b32_e32 v131, 0
	s_mov_b64 s[10:11], 0
.LBB30_285:                             ; =>This Inner Loop Header: Depth=1
	v_cmp_eq_u32_e32 vcc, 1, v129
	v_cndmask_b32_e32 v132, v33, v34, vcc
	v_add_u32_e32 v64, -1, v64
	v_cmp_eq_u32_e32 vcc, 2, v129
	v_cndmask_b32_e32 v132, v132, v35, vcc
	v_cmp_eq_u32_e32 vcc, 0, v64
	v_cmp_eq_u32_e64 s[0:1], 3, v129
	v_cndmask_b32_e64 v132, v132, v36, s[0:1]
	s_or_b64 s[10:11], vcc, s[10:11]
	v_cmp_eq_u32_e32 vcc, 4, v129
	v_cndmask_b32_e32 v132, v132, v37, vcc
	v_cmp_eq_u32_e32 vcc, 5, v129
	v_cndmask_b32_e32 v132, v132, v38, vcc
	;; [unrolled: 2-line block ×22, first 2 shown]
	v_cmp_eq_u32_e32 vcc, 26, v129
	ds_read_b32 v133, v130
	v_cndmask_b32_e32 v132, v132, v59, vcc
	v_cmp_eq_u32_e32 vcc, 27, v129
	v_cndmask_b32_e32 v132, v132, v60, vcc
	v_cmp_eq_u32_e32 vcc, 28, v129
	;; [unrolled: 2-line block ×4, first 2 shown]
	v_add_co_u32_e64 v129, s[0:1], 1, v129
	v_cndmask_b32_e32 v132, v132, v63, vcc
	v_add_u32_e32 v130, 4, v130
	v_addc_co_u32_e64 v131, s[0:1], 0, v131, s[0:1]
	s_waitcnt lgkmcnt(0)
	v_fmac_f32_e32 v128, v132, v133
	s_andn2_b64 exec, exec, s[10:11]
	s_cbranch_execnz .LBB30_285
; %bb.286:
	s_or_b64 exec, exec, s[10:11]
.LBB30_287:
	s_or_b64 exec, exec, s[8:9]
.LBB30_288:
	s_or_b64 exec, exec, s[6:7]
	v_mov_b32_e32 v44, 0
	ds_read_b32 v44, v44 offset:44
	s_waitcnt lgkmcnt(0)
	v_mul_f32_e32 v44, v128, v44
.LBB30_289:
	s_or_b64 exec, exec, s[4:5]
	v_cmp_lt_u32_e64 s[0:1], 10, v0
	ds_write_b32 v127, v43
	s_waitcnt lgkmcnt(0)
	; wave barrier
	s_and_saveexec_b64 s[4:5], s[0:1]
	s_cbranch_execz .LBB30_305
; %bb.290:
	s_andn2_b64 vcc, exec, s[66:67]
	s_cbranch_vccnz .LBB30_292
; %bb.291:
	v_cmp_eq_u32_e32 vcc, 1, v0
	v_cndmask_b32_e32 v128, v33, v34, vcc
	v_cmp_eq_u32_e32 vcc, 2, v0
	v_cndmask_b32_e32 v128, v128, v35, vcc
	;; [unrolled: 2-line block ×26, first 2 shown]
	v_cmp_eq_u32_e32 vcc, 27, v0
	ds_read_b32 v129, v127
	v_cndmask_b32_e32 v128, v128, v60, vcc
	v_cmp_eq_u32_e32 vcc, 28, v0
	v_cndmask_b32_e32 v128, v128, v61, vcc
	v_cmp_eq_u32_e32 vcc, 29, v0
	;; [unrolled: 2-line block ×3, first 2 shown]
	v_cndmask_b32_e32 v128, v128, v63, vcc
	s_waitcnt lgkmcnt(0)
	v_mul_f32_e32 v128, v128, v129
	s_cbranch_execz .LBB30_293
	s_branch .LBB30_294
.LBB30_292:
                                        ; implicit-def: $vgpr128
.LBB30_293:
	ds_read_b32 v128, v127
.LBB30_294:
	s_and_saveexec_b64 s[6:7], s[2:3]
	s_cbranch_execz .LBB30_304
; %bb.295:
	v_add_u32_e32 v129, -12, v0
	v_add_u32_e32 v130, -11, v0
	v_cmp_lt_u32_e32 vcc, 6, v129
	v_mov_b32_e32 v129, 11
	s_and_saveexec_b64 s[2:3], vcc
	s_cbranch_execz .LBB30_299
; %bb.296:
	v_and_b32_e32 v129, -8, v130
	v_sub_u32_e32 v131, 0, v129
	s_mov_b64 s[8:9], 18
	s_movk_i32 s12, 0xac
	s_mov_b64 s[10:11], 0
.LBB30_297:                             ; =>This Inner Loop Header: Depth=1
	s_add_i32 s13, s8, -7
	v_mov_b32_e32 v129, s12
	s_add_i32 s14, s8, -6
	s_set_gpr_idx_on s13, gpr_idx(SRC0)
	v_mov_b32_e32 v138, v33
	s_set_gpr_idx_off
	ds_read2_b32 v[132:133], v129 offset1:1
	s_add_i32 s15, s8, -5
	s_set_gpr_idx_on s14, gpr_idx(SRC0)
	v_mov_b32_e32 v139, v33
	s_set_gpr_idx_off
	s_add_i32 s16, s8, -4
	s_set_gpr_idx_on s15, gpr_idx(SRC0)
	v_mov_b32_e32 v140, v33
	s_set_gpr_idx_off
	ds_read2_b32 v[134:135], v129 offset0:2 offset1:3
	s_add_i32 s17, s8, -3
	s_set_gpr_idx_on s16, gpr_idx(SRC0)
	v_mov_b32_e32 v141, v33
	s_set_gpr_idx_off
	s_add_i32 s18, s8, -2
	s_set_gpr_idx_on s17, gpr_idx(SRC0)
	v_mov_b32_e32 v142, v33
	s_set_gpr_idx_off
	ds_read2_b32 v[136:137], v129 offset0:4 offset1:5
	s_add_i32 s19, s8, -1
	s_waitcnt lgkmcnt(2)
	v_fmac_f32_e32 v128, v138, v132
	s_set_gpr_idx_on s18, gpr_idx(SRC0)
	v_mov_b32_e32 v138, v33
	s_set_gpr_idx_off
	v_fmac_f32_e32 v128, v139, v133
	s_set_gpr_idx_on s19, gpr_idx(SRC0)
	v_mov_b32_e32 v139, v33
	s_set_gpr_idx_off
	ds_read2_b32 v[132:133], v129 offset0:6 offset1:7
	s_waitcnt lgkmcnt(2)
	v_fmac_f32_e32 v128, v140, v134
	s_set_gpr_idx_on s8, gpr_idx(SRC0)
	v_mov_b32_e32 v134, v33
	s_set_gpr_idx_off
	v_fmac_f32_e32 v128, v141, v135
	s_add_u32 s8, s8, 8
	s_waitcnt lgkmcnt(1)
	v_fmac_f32_e32 v128, v142, v136
	v_add_u32_e32 v129, s8, v131
	v_fmac_f32_e32 v128, v138, v137
	s_addc_u32 s9, s9, 0
	s_add_i32 s12, s12, 32
	s_add_i32 s13, s8, -7
	v_cmp_eq_u32_e32 vcc, 18, v129
	s_waitcnt lgkmcnt(0)
	v_fmac_f32_e32 v128, v139, v132
	v_mov_b32_e32 v129, s13
	s_or_b64 s[10:11], vcc, s[10:11]
	v_fmac_f32_e32 v128, v134, v133
	s_andn2_b64 exec, exec, s[10:11]
	s_cbranch_execnz .LBB30_297
; %bb.298:
	s_or_b64 exec, exec, s[10:11]
.LBB30_299:
	s_or_b64 exec, exec, s[2:3]
	v_and_b32_e32 v64, 7, v130
	v_cmp_ne_u32_e32 vcc, 0, v64
	s_and_saveexec_b64 s[8:9], vcc
	s_cbranch_execz .LBB30_303
; %bb.300:
	v_mov_b32_e32 v130, 0x80
	v_lshl_add_u32 v130, v129, 2, v130
	v_mov_b32_e32 v131, 0
	s_mov_b64 s[10:11], 0
.LBB30_301:                             ; =>This Inner Loop Header: Depth=1
	v_cmp_eq_u32_e32 vcc, 1, v129
	v_cndmask_b32_e32 v132, v33, v34, vcc
	v_add_u32_e32 v64, -1, v64
	v_cmp_eq_u32_e32 vcc, 2, v129
	v_cndmask_b32_e32 v132, v132, v35, vcc
	v_cmp_eq_u32_e32 vcc, 0, v64
	v_cmp_eq_u32_e64 s[2:3], 3, v129
	v_cndmask_b32_e64 v132, v132, v36, s[2:3]
	s_or_b64 s[10:11], vcc, s[10:11]
	v_cmp_eq_u32_e32 vcc, 4, v129
	v_cndmask_b32_e32 v132, v132, v37, vcc
	v_cmp_eq_u32_e32 vcc, 5, v129
	v_cndmask_b32_e32 v132, v132, v38, vcc
	;; [unrolled: 2-line block ×22, first 2 shown]
	v_cmp_eq_u32_e32 vcc, 26, v129
	ds_read_b32 v133, v130
	v_cndmask_b32_e32 v132, v132, v59, vcc
	v_cmp_eq_u32_e32 vcc, 27, v129
	v_cndmask_b32_e32 v132, v132, v60, vcc
	v_cmp_eq_u32_e32 vcc, 28, v129
	;; [unrolled: 2-line block ×4, first 2 shown]
	v_add_co_u32_e64 v129, s[2:3], 1, v129
	v_cndmask_b32_e32 v132, v132, v63, vcc
	v_add_u32_e32 v130, 4, v130
	v_addc_co_u32_e64 v131, s[2:3], 0, v131, s[2:3]
	s_waitcnt lgkmcnt(0)
	v_fmac_f32_e32 v128, v132, v133
	s_andn2_b64 exec, exec, s[10:11]
	s_cbranch_execnz .LBB30_301
; %bb.302:
	s_or_b64 exec, exec, s[10:11]
.LBB30_303:
	s_or_b64 exec, exec, s[8:9]
.LBB30_304:
	s_or_b64 exec, exec, s[6:7]
	v_mov_b32_e32 v43, 0
	ds_read_b32 v43, v43 offset:40
	s_waitcnt lgkmcnt(0)
	v_mul_f32_e32 v43, v128, v43
.LBB30_305:
	s_or_b64 exec, exec, s[4:5]
	v_cmp_lt_u32_e64 s[2:3], 9, v0
	ds_write_b32 v127, v42
	s_waitcnt lgkmcnt(0)
	; wave barrier
	s_and_saveexec_b64 s[4:5], s[2:3]
	s_cbranch_execz .LBB30_321
; %bb.306:
	s_andn2_b64 vcc, exec, s[66:67]
	s_cbranch_vccnz .LBB30_308
; %bb.307:
	v_cmp_eq_u32_e32 vcc, 1, v0
	v_cndmask_b32_e32 v128, v33, v34, vcc
	v_cmp_eq_u32_e32 vcc, 2, v0
	v_cndmask_b32_e32 v128, v128, v35, vcc
	;; [unrolled: 2-line block ×26, first 2 shown]
	v_cmp_eq_u32_e32 vcc, 27, v0
	ds_read_b32 v129, v127
	v_cndmask_b32_e32 v128, v128, v60, vcc
	v_cmp_eq_u32_e32 vcc, 28, v0
	v_cndmask_b32_e32 v128, v128, v61, vcc
	v_cmp_eq_u32_e32 vcc, 29, v0
	;; [unrolled: 2-line block ×3, first 2 shown]
	v_cndmask_b32_e32 v128, v128, v63, vcc
	s_waitcnt lgkmcnt(0)
	v_mul_f32_e32 v128, v128, v129
	s_cbranch_execz .LBB30_309
	s_branch .LBB30_310
.LBB30_308:
                                        ; implicit-def: $vgpr128
.LBB30_309:
	ds_read_b32 v128, v127
.LBB30_310:
	s_and_saveexec_b64 s[6:7], s[0:1]
	s_cbranch_execz .LBB30_320
; %bb.311:
	v_add_u32_e32 v129, -11, v0
	v_add_u32_e32 v130, -10, v0
	v_cmp_lt_u32_e32 vcc, 6, v129
	v_mov_b32_e32 v129, 10
	s_and_saveexec_b64 s[0:1], vcc
	s_cbranch_execz .LBB30_315
; %bb.312:
	v_and_b32_e32 v129, -8, v130
	v_sub_u32_e32 v131, 0, v129
	s_mov_b64 s[8:9], 17
	s_movk_i32 s12, 0xa8
	s_mov_b64 s[10:11], 0
.LBB30_313:                             ; =>This Inner Loop Header: Depth=1
	s_add_i32 s13, s8, -7
	v_mov_b32_e32 v129, s12
	s_add_i32 s14, s8, -6
	s_set_gpr_idx_on s13, gpr_idx(SRC0)
	v_mov_b32_e32 v140, v33
	s_set_gpr_idx_off
	ds_read2_b64 v[132:135], v129 offset1:1
	s_add_i32 s15, s8, -5
	s_set_gpr_idx_on s14, gpr_idx(SRC0)
	v_mov_b32_e32 v141, v33
	s_set_gpr_idx_off
	s_add_i32 s16, s8, -4
	s_set_gpr_idx_on s15, gpr_idx(SRC0)
	v_mov_b32_e32 v142, v33
	s_set_gpr_idx_off
	;; [unrolled: 4-line block ×4, first 2 shown]
	ds_read2_b64 v[136:139], v129 offset0:2 offset1:3
	s_add_i32 s19, s8, -1
	s_waitcnt lgkmcnt(1)
	v_fmac_f32_e32 v128, v140, v132
	s_set_gpr_idx_on s18, gpr_idx(SRC0)
	v_mov_b32_e32 v132, v33
	s_set_gpr_idx_off
	v_fmac_f32_e32 v128, v141, v133
	s_set_gpr_idx_on s19, gpr_idx(SRC0)
	v_mov_b32_e32 v133, v33
	s_set_gpr_idx_off
	;; [unrolled: 4-line block ×3, first 2 shown]
	v_fmac_f32_e32 v128, v143, v135
	s_add_u32 s8, s8, 8
	s_waitcnt lgkmcnt(0)
	v_fmac_f32_e32 v128, v144, v136
	v_add_u32_e32 v129, s8, v131
	v_fmac_f32_e32 v128, v132, v137
	s_addc_u32 s9, s9, 0
	s_add_i32 s12, s12, 32
	s_add_i32 s13, s8, -7
	v_cmp_eq_u32_e32 vcc, 17, v129
	v_fmac_f32_e32 v128, v133, v138
	v_mov_b32_e32 v129, s13
	s_or_b64 s[10:11], vcc, s[10:11]
	v_fmac_f32_e32 v128, v134, v139
	s_andn2_b64 exec, exec, s[10:11]
	s_cbranch_execnz .LBB30_313
; %bb.314:
	s_or_b64 exec, exec, s[10:11]
.LBB30_315:
	s_or_b64 exec, exec, s[0:1]
	v_and_b32_e32 v64, 7, v130
	v_cmp_ne_u32_e32 vcc, 0, v64
	s_and_saveexec_b64 s[8:9], vcc
	s_cbranch_execz .LBB30_319
; %bb.316:
	v_mov_b32_e32 v130, 0x80
	v_lshl_add_u32 v130, v129, 2, v130
	v_mov_b32_e32 v131, 0
	s_mov_b64 s[10:11], 0
.LBB30_317:                             ; =>This Inner Loop Header: Depth=1
	v_cmp_eq_u32_e32 vcc, 1, v129
	v_cndmask_b32_e32 v132, v33, v34, vcc
	v_add_u32_e32 v64, -1, v64
	v_cmp_eq_u32_e32 vcc, 2, v129
	v_cndmask_b32_e32 v132, v132, v35, vcc
	v_cmp_eq_u32_e32 vcc, 0, v64
	v_cmp_eq_u32_e64 s[0:1], 3, v129
	v_cndmask_b32_e64 v132, v132, v36, s[0:1]
	s_or_b64 s[10:11], vcc, s[10:11]
	v_cmp_eq_u32_e32 vcc, 4, v129
	v_cndmask_b32_e32 v132, v132, v37, vcc
	v_cmp_eq_u32_e32 vcc, 5, v129
	v_cndmask_b32_e32 v132, v132, v38, vcc
	;; [unrolled: 2-line block ×22, first 2 shown]
	v_cmp_eq_u32_e32 vcc, 26, v129
	ds_read_b32 v133, v130
	v_cndmask_b32_e32 v132, v132, v59, vcc
	v_cmp_eq_u32_e32 vcc, 27, v129
	v_cndmask_b32_e32 v132, v132, v60, vcc
	v_cmp_eq_u32_e32 vcc, 28, v129
	;; [unrolled: 2-line block ×4, first 2 shown]
	v_add_co_u32_e64 v129, s[0:1], 1, v129
	v_cndmask_b32_e32 v132, v132, v63, vcc
	v_add_u32_e32 v130, 4, v130
	v_addc_co_u32_e64 v131, s[0:1], 0, v131, s[0:1]
	s_waitcnt lgkmcnt(0)
	v_fmac_f32_e32 v128, v132, v133
	s_andn2_b64 exec, exec, s[10:11]
	s_cbranch_execnz .LBB30_317
; %bb.318:
	s_or_b64 exec, exec, s[10:11]
.LBB30_319:
	s_or_b64 exec, exec, s[8:9]
.LBB30_320:
	s_or_b64 exec, exec, s[6:7]
	v_mov_b32_e32 v42, 0
	ds_read_b32 v42, v42 offset:36
	s_waitcnt lgkmcnt(0)
	v_mul_f32_e32 v42, v128, v42
.LBB30_321:
	s_or_b64 exec, exec, s[4:5]
	v_cmp_lt_u32_e64 s[0:1], 8, v0
	ds_write_b32 v127, v41
	s_waitcnt lgkmcnt(0)
	; wave barrier
	s_and_saveexec_b64 s[4:5], s[0:1]
	s_cbranch_execz .LBB30_337
; %bb.322:
	s_andn2_b64 vcc, exec, s[66:67]
	s_cbranch_vccnz .LBB30_324
; %bb.323:
	v_cmp_eq_u32_e32 vcc, 1, v0
	v_cndmask_b32_e32 v128, v33, v34, vcc
	v_cmp_eq_u32_e32 vcc, 2, v0
	v_cndmask_b32_e32 v128, v128, v35, vcc
	;; [unrolled: 2-line block ×26, first 2 shown]
	v_cmp_eq_u32_e32 vcc, 27, v0
	ds_read_b32 v129, v127
	v_cndmask_b32_e32 v128, v128, v60, vcc
	v_cmp_eq_u32_e32 vcc, 28, v0
	v_cndmask_b32_e32 v128, v128, v61, vcc
	v_cmp_eq_u32_e32 vcc, 29, v0
	;; [unrolled: 2-line block ×3, first 2 shown]
	v_cndmask_b32_e32 v128, v128, v63, vcc
	s_waitcnt lgkmcnt(0)
	v_mul_f32_e32 v128, v128, v129
	s_cbranch_execz .LBB30_325
	s_branch .LBB30_326
.LBB30_324:
                                        ; implicit-def: $vgpr128
.LBB30_325:
	ds_read_b32 v128, v127
.LBB30_326:
	s_and_saveexec_b64 s[6:7], s[2:3]
	s_cbranch_execz .LBB30_336
; %bb.327:
	v_add_u32_e32 v129, -10, v0
	v_add_u32_e32 v130, -9, v0
	v_cmp_lt_u32_e32 vcc, 6, v129
	v_mov_b32_e32 v129, 9
	s_and_saveexec_b64 s[2:3], vcc
	s_cbranch_execz .LBB30_331
; %bb.328:
	v_and_b32_e32 v129, -8, v130
	v_sub_u32_e32 v131, 0, v129
	s_mov_b64 s[8:9], 16
	s_movk_i32 s12, 0xa4
	s_mov_b64 s[10:11], 0
.LBB30_329:                             ; =>This Inner Loop Header: Depth=1
	s_add_i32 s13, s8, -7
	v_mov_b32_e32 v129, s12
	s_add_i32 s14, s8, -6
	s_set_gpr_idx_on s13, gpr_idx(SRC0)
	v_mov_b32_e32 v138, v33
	s_set_gpr_idx_off
	ds_read2_b32 v[132:133], v129 offset1:1
	s_add_i32 s15, s8, -5
	s_set_gpr_idx_on s14, gpr_idx(SRC0)
	v_mov_b32_e32 v139, v33
	s_set_gpr_idx_off
	s_add_i32 s16, s8, -4
	s_set_gpr_idx_on s15, gpr_idx(SRC0)
	v_mov_b32_e32 v140, v33
	s_set_gpr_idx_off
	ds_read2_b32 v[134:135], v129 offset0:2 offset1:3
	s_add_i32 s17, s8, -3
	s_set_gpr_idx_on s16, gpr_idx(SRC0)
	v_mov_b32_e32 v141, v33
	s_set_gpr_idx_off
	s_add_i32 s18, s8, -2
	s_set_gpr_idx_on s17, gpr_idx(SRC0)
	v_mov_b32_e32 v142, v33
	s_set_gpr_idx_off
	ds_read2_b32 v[136:137], v129 offset0:4 offset1:5
	s_add_i32 s19, s8, -1
	s_waitcnt lgkmcnt(2)
	v_fmac_f32_e32 v128, v138, v132
	s_set_gpr_idx_on s18, gpr_idx(SRC0)
	v_mov_b32_e32 v138, v33
	s_set_gpr_idx_off
	v_fmac_f32_e32 v128, v139, v133
	s_set_gpr_idx_on s19, gpr_idx(SRC0)
	v_mov_b32_e32 v139, v33
	s_set_gpr_idx_off
	ds_read2_b32 v[132:133], v129 offset0:6 offset1:7
	s_waitcnt lgkmcnt(2)
	v_fmac_f32_e32 v128, v140, v134
	s_set_gpr_idx_on s8, gpr_idx(SRC0)
	v_mov_b32_e32 v134, v33
	s_set_gpr_idx_off
	v_fmac_f32_e32 v128, v141, v135
	s_add_u32 s8, s8, 8
	s_waitcnt lgkmcnt(1)
	v_fmac_f32_e32 v128, v142, v136
	v_add_u32_e32 v129, s8, v131
	v_fmac_f32_e32 v128, v138, v137
	s_addc_u32 s9, s9, 0
	s_add_i32 s12, s12, 32
	s_add_i32 s13, s8, -7
	v_cmp_eq_u32_e32 vcc, 16, v129
	s_waitcnt lgkmcnt(0)
	v_fmac_f32_e32 v128, v139, v132
	v_mov_b32_e32 v129, s13
	s_or_b64 s[10:11], vcc, s[10:11]
	v_fmac_f32_e32 v128, v134, v133
	s_andn2_b64 exec, exec, s[10:11]
	s_cbranch_execnz .LBB30_329
; %bb.330:
	s_or_b64 exec, exec, s[10:11]
.LBB30_331:
	s_or_b64 exec, exec, s[2:3]
	v_and_b32_e32 v64, 7, v130
	v_cmp_ne_u32_e32 vcc, 0, v64
	s_and_saveexec_b64 s[8:9], vcc
	s_cbranch_execz .LBB30_335
; %bb.332:
	v_mov_b32_e32 v130, 0x80
	v_lshl_add_u32 v130, v129, 2, v130
	v_mov_b32_e32 v131, 0
	s_mov_b64 s[10:11], 0
.LBB30_333:                             ; =>This Inner Loop Header: Depth=1
	v_cmp_eq_u32_e32 vcc, 1, v129
	v_cndmask_b32_e32 v132, v33, v34, vcc
	v_add_u32_e32 v64, -1, v64
	v_cmp_eq_u32_e32 vcc, 2, v129
	v_cndmask_b32_e32 v132, v132, v35, vcc
	v_cmp_eq_u32_e32 vcc, 0, v64
	v_cmp_eq_u32_e64 s[2:3], 3, v129
	v_cndmask_b32_e64 v132, v132, v36, s[2:3]
	s_or_b64 s[10:11], vcc, s[10:11]
	v_cmp_eq_u32_e32 vcc, 4, v129
	v_cndmask_b32_e32 v132, v132, v37, vcc
	v_cmp_eq_u32_e32 vcc, 5, v129
	v_cndmask_b32_e32 v132, v132, v38, vcc
	;; [unrolled: 2-line block ×22, first 2 shown]
	v_cmp_eq_u32_e32 vcc, 26, v129
	ds_read_b32 v133, v130
	v_cndmask_b32_e32 v132, v132, v59, vcc
	v_cmp_eq_u32_e32 vcc, 27, v129
	v_cndmask_b32_e32 v132, v132, v60, vcc
	v_cmp_eq_u32_e32 vcc, 28, v129
	;; [unrolled: 2-line block ×4, first 2 shown]
	v_add_co_u32_e64 v129, s[2:3], 1, v129
	v_cndmask_b32_e32 v132, v132, v63, vcc
	v_add_u32_e32 v130, 4, v130
	v_addc_co_u32_e64 v131, s[2:3], 0, v131, s[2:3]
	s_waitcnt lgkmcnt(0)
	v_fmac_f32_e32 v128, v132, v133
	s_andn2_b64 exec, exec, s[10:11]
	s_cbranch_execnz .LBB30_333
; %bb.334:
	s_or_b64 exec, exec, s[10:11]
.LBB30_335:
	s_or_b64 exec, exec, s[8:9]
.LBB30_336:
	s_or_b64 exec, exec, s[6:7]
	v_mov_b32_e32 v41, 0
	ds_read_b32 v41, v41 offset:32
	s_waitcnt lgkmcnt(0)
	v_mul_f32_e32 v41, v128, v41
.LBB30_337:
	s_or_b64 exec, exec, s[4:5]
	v_cmp_lt_u32_e64 s[2:3], 7, v0
	ds_write_b32 v127, v40
	s_waitcnt lgkmcnt(0)
	; wave barrier
	s_and_saveexec_b64 s[4:5], s[2:3]
	s_cbranch_execz .LBB30_353
; %bb.338:
	s_andn2_b64 vcc, exec, s[66:67]
	s_cbranch_vccnz .LBB30_340
; %bb.339:
	v_cmp_eq_u32_e32 vcc, 1, v0
	v_cndmask_b32_e32 v128, v33, v34, vcc
	v_cmp_eq_u32_e32 vcc, 2, v0
	v_cndmask_b32_e32 v128, v128, v35, vcc
	;; [unrolled: 2-line block ×26, first 2 shown]
	v_cmp_eq_u32_e32 vcc, 27, v0
	ds_read_b32 v129, v127
	v_cndmask_b32_e32 v128, v128, v60, vcc
	v_cmp_eq_u32_e32 vcc, 28, v0
	v_cndmask_b32_e32 v128, v128, v61, vcc
	v_cmp_eq_u32_e32 vcc, 29, v0
	;; [unrolled: 2-line block ×3, first 2 shown]
	v_cndmask_b32_e32 v128, v128, v63, vcc
	s_waitcnt lgkmcnt(0)
	v_mul_f32_e32 v128, v128, v129
	s_cbranch_execz .LBB30_341
	s_branch .LBB30_342
.LBB30_340:
                                        ; implicit-def: $vgpr128
.LBB30_341:
	ds_read_b32 v128, v127
.LBB30_342:
	s_and_saveexec_b64 s[6:7], s[0:1]
	s_cbranch_execz .LBB30_352
; %bb.343:
	v_add_u32_e32 v129, -9, v0
	v_cmp_lt_u32_e32 vcc, 6, v129
	v_mov_b32_e32 v129, 8
	s_and_saveexec_b64 s[0:1], vcc
	s_cbranch_execz .LBB30_347
; %bb.344:
	v_and_b32_e32 v129, 24, v0
	v_sub_u32_e32 v130, 0, v129
	s_mov_b64 s[8:9], 15
	s_movk_i32 s12, 0xa0
	s_mov_b64 s[10:11], 0
.LBB30_345:                             ; =>This Inner Loop Header: Depth=1
	s_add_i32 s13, s8, -7
	v_mov_b32_e32 v129, s12
	s_add_i32 s14, s8, -6
	s_set_gpr_idx_on s13, gpr_idx(SRC0)
	v_mov_b32_e32 v139, v33
	s_set_gpr_idx_off
	s_add_i32 s15, s8, -5
	ds_read_b128 v[131:134], v129
	ds_read_b128 v[135:138], v129 offset:16
	s_set_gpr_idx_on s14, gpr_idx(SRC0)
	v_mov_b32_e32 v129, v33
	s_set_gpr_idx_off
	s_add_i32 s16, s8, -4
	s_set_gpr_idx_on s15, gpr_idx(SRC0)
	v_mov_b32_e32 v140, v33
	s_set_gpr_idx_off
	s_add_i32 s17, s8, -3
	s_set_gpr_idx_on s16, gpr_idx(SRC0)
	v_mov_b32_e32 v141, v33
	s_set_gpr_idx_off
	s_add_i32 s18, s8, -2
	s_set_gpr_idx_on s17, gpr_idx(SRC0)
	v_mov_b32_e32 v142, v33
	s_set_gpr_idx_off
	s_add_i32 s19, s8, -1
	s_waitcnt lgkmcnt(1)
	v_fmac_f32_e32 v128, v139, v131
	s_set_gpr_idx_on s18, gpr_idx(SRC0)
	v_mov_b32_e32 v131, v33
	s_set_gpr_idx_off
	v_fmac_f32_e32 v128, v129, v132
	s_set_gpr_idx_on s19, gpr_idx(SRC0)
	v_mov_b32_e32 v132, v33
	s_set_gpr_idx_off
	;; [unrolled: 4-line block ×3, first 2 shown]
	v_fmac_f32_e32 v128, v141, v134
	s_add_u32 s8, s8, 8
	s_waitcnt lgkmcnt(0)
	v_fmac_f32_e32 v128, v142, v135
	v_add_u32_e32 v129, s8, v130
	v_fmac_f32_e32 v128, v131, v136
	s_addc_u32 s9, s9, 0
	s_add_i32 s12, s12, 32
	s_add_i32 s13, s8, -7
	v_cmp_eq_u32_e32 vcc, 7, v129
	v_fmac_f32_e32 v128, v132, v137
	v_mov_b32_e32 v129, s13
	s_or_b64 s[10:11], vcc, s[10:11]
	v_fmac_f32_e32 v128, v133, v138
	s_andn2_b64 exec, exec, s[10:11]
	s_cbranch_execnz .LBB30_345
; %bb.346:
	s_or_b64 exec, exec, s[10:11]
.LBB30_347:
	s_or_b64 exec, exec, s[0:1]
	v_and_b32_e32 v64, 7, v0
	v_cmp_ne_u32_e32 vcc, 0, v64
	s_and_saveexec_b64 s[8:9], vcc
	s_cbranch_execz .LBB30_351
; %bb.348:
	v_mov_b32_e32 v130, 0x80
	v_lshl_add_u32 v130, v129, 2, v130
	v_mov_b32_e32 v131, 0
	s_mov_b64 s[10:11], 0
.LBB30_349:                             ; =>This Inner Loop Header: Depth=1
	v_cmp_eq_u32_e32 vcc, 1, v129
	v_cndmask_b32_e32 v132, v33, v34, vcc
	v_add_u32_e32 v64, -1, v64
	v_cmp_eq_u32_e32 vcc, 2, v129
	v_cndmask_b32_e32 v132, v132, v35, vcc
	v_cmp_eq_u32_e32 vcc, 0, v64
	v_cmp_eq_u32_e64 s[0:1], 3, v129
	v_cndmask_b32_e64 v132, v132, v36, s[0:1]
	s_or_b64 s[10:11], vcc, s[10:11]
	v_cmp_eq_u32_e32 vcc, 4, v129
	v_cndmask_b32_e32 v132, v132, v37, vcc
	v_cmp_eq_u32_e32 vcc, 5, v129
	v_cndmask_b32_e32 v132, v132, v38, vcc
	;; [unrolled: 2-line block ×22, first 2 shown]
	v_cmp_eq_u32_e32 vcc, 26, v129
	ds_read_b32 v133, v130
	v_cndmask_b32_e32 v132, v132, v59, vcc
	v_cmp_eq_u32_e32 vcc, 27, v129
	v_cndmask_b32_e32 v132, v132, v60, vcc
	v_cmp_eq_u32_e32 vcc, 28, v129
	v_cndmask_b32_e32 v132, v132, v61, vcc
	v_cmp_eq_u32_e32 vcc, 29, v129
	v_cndmask_b32_e32 v132, v132, v62, vcc
	v_cmp_eq_u32_e32 vcc, 30, v129
	v_add_co_u32_e64 v129, s[0:1], 1, v129
	v_cndmask_b32_e32 v132, v132, v63, vcc
	v_add_u32_e32 v130, 4, v130
	v_addc_co_u32_e64 v131, s[0:1], 0, v131, s[0:1]
	s_waitcnt lgkmcnt(0)
	v_fmac_f32_e32 v128, v132, v133
	s_andn2_b64 exec, exec, s[10:11]
	s_cbranch_execnz .LBB30_349
; %bb.350:
	s_or_b64 exec, exec, s[10:11]
.LBB30_351:
	s_or_b64 exec, exec, s[8:9]
.LBB30_352:
	s_or_b64 exec, exec, s[6:7]
	v_mov_b32_e32 v40, 0
	ds_read_b32 v40, v40 offset:28
	s_waitcnt lgkmcnt(0)
	v_mul_f32_e32 v40, v128, v40
.LBB30_353:
	s_or_b64 exec, exec, s[4:5]
	v_cmp_lt_u32_e64 s[0:1], 6, v0
	ds_write_b32 v127, v39
	s_waitcnt lgkmcnt(0)
	; wave barrier
	s_and_saveexec_b64 s[4:5], s[0:1]
	s_cbranch_execz .LBB30_369
; %bb.354:
	s_andn2_b64 vcc, exec, s[66:67]
	s_cbranch_vccnz .LBB30_356
; %bb.355:
	v_cmp_eq_u32_e32 vcc, 1, v0
	v_cndmask_b32_e32 v128, v33, v34, vcc
	v_cmp_eq_u32_e32 vcc, 2, v0
	v_cndmask_b32_e32 v128, v128, v35, vcc
	v_cmp_eq_u32_e32 vcc, 3, v0
	v_cndmask_b32_e32 v128, v128, v36, vcc
	v_cmp_eq_u32_e32 vcc, 4, v0
	v_cndmask_b32_e32 v128, v128, v37, vcc
	v_cmp_eq_u32_e32 vcc, 5, v0
	v_cndmask_b32_e32 v128, v128, v38, vcc
	v_cmp_eq_u32_e32 vcc, 6, v0
	v_cndmask_b32_e32 v128, v128, v39, vcc
	v_cmp_eq_u32_e32 vcc, 7, v0
	v_cndmask_b32_e32 v128, v128, v40, vcc
	v_cmp_eq_u32_e32 vcc, 8, v0
	v_cndmask_b32_e32 v128, v128, v41, vcc
	v_cmp_eq_u32_e32 vcc, 9, v0
	v_cndmask_b32_e32 v128, v128, v42, vcc
	v_cmp_eq_u32_e32 vcc, 10, v0
	v_cndmask_b32_e32 v128, v128, v43, vcc
	v_cmp_eq_u32_e32 vcc, 11, v0
	v_cndmask_b32_e32 v128, v128, v44, vcc
	v_cmp_eq_u32_e32 vcc, 12, v0
	v_cndmask_b32_e32 v128, v128, v45, vcc
	v_cmp_eq_u32_e32 vcc, 13, v0
	v_cndmask_b32_e32 v128, v128, v46, vcc
	v_cmp_eq_u32_e32 vcc, 14, v0
	v_cndmask_b32_e32 v128, v128, v47, vcc
	v_cmp_eq_u32_e32 vcc, 15, v0
	v_cndmask_b32_e32 v128, v128, v48, vcc
	v_cmp_eq_u32_e32 vcc, 16, v0
	v_cndmask_b32_e32 v128, v128, v49, vcc
	v_cmp_eq_u32_e32 vcc, 17, v0
	v_cndmask_b32_e32 v128, v128, v50, vcc
	v_cmp_eq_u32_e32 vcc, 18, v0
	v_cndmask_b32_e32 v128, v128, v51, vcc
	v_cmp_eq_u32_e32 vcc, 19, v0
	v_cndmask_b32_e32 v128, v128, v52, vcc
	v_cmp_eq_u32_e32 vcc, 20, v0
	v_cndmask_b32_e32 v128, v128, v53, vcc
	v_cmp_eq_u32_e32 vcc, 21, v0
	v_cndmask_b32_e32 v128, v128, v54, vcc
	v_cmp_eq_u32_e32 vcc, 22, v0
	v_cndmask_b32_e32 v128, v128, v55, vcc
	v_cmp_eq_u32_e32 vcc, 23, v0
	v_cndmask_b32_e32 v128, v128, v56, vcc
	v_cmp_eq_u32_e32 vcc, 24, v0
	v_cndmask_b32_e32 v128, v128, v57, vcc
	v_cmp_eq_u32_e32 vcc, 25, v0
	v_cndmask_b32_e32 v128, v128, v58, vcc
	v_cmp_eq_u32_e32 vcc, 26, v0
	v_cndmask_b32_e32 v128, v128, v59, vcc
	v_cmp_eq_u32_e32 vcc, 27, v0
	ds_read_b32 v129, v127
	v_cndmask_b32_e32 v128, v128, v60, vcc
	v_cmp_eq_u32_e32 vcc, 28, v0
	v_cndmask_b32_e32 v128, v128, v61, vcc
	v_cmp_eq_u32_e32 vcc, 29, v0
	;; [unrolled: 2-line block ×3, first 2 shown]
	v_cndmask_b32_e32 v128, v128, v63, vcc
	s_waitcnt lgkmcnt(0)
	v_mul_f32_e32 v128, v128, v129
	s_cbranch_execz .LBB30_357
	s_branch .LBB30_358
.LBB30_356:
                                        ; implicit-def: $vgpr128
.LBB30_357:
	ds_read_b32 v128, v127
.LBB30_358:
	s_and_saveexec_b64 s[6:7], s[2:3]
	s_cbranch_execz .LBB30_368
; %bb.359:
	v_add_u32_e32 v129, -8, v0
	v_add_u32_e32 v130, -7, v0
	v_cmp_lt_u32_e32 vcc, 6, v129
	v_mov_b32_e32 v129, 7
	s_and_saveexec_b64 s[2:3], vcc
	s_cbranch_execz .LBB30_363
; %bb.360:
	v_and_b32_e32 v129, -8, v130
	v_sub_u32_e32 v131, 0, v129
	s_mov_b64 s[8:9], 14
	s_movk_i32 s12, 0x9c
	s_mov_b64 s[10:11], 0
.LBB30_361:                             ; =>This Inner Loop Header: Depth=1
	s_add_i32 s13, s8, -7
	v_mov_b32_e32 v129, s12
	s_add_i32 s14, s8, -6
	s_set_gpr_idx_on s13, gpr_idx(SRC0)
	v_mov_b32_e32 v138, v33
	s_set_gpr_idx_off
	ds_read2_b32 v[132:133], v129 offset1:1
	s_add_i32 s15, s8, -5
	s_set_gpr_idx_on s14, gpr_idx(SRC0)
	v_mov_b32_e32 v139, v33
	s_set_gpr_idx_off
	s_add_i32 s16, s8, -4
	s_set_gpr_idx_on s15, gpr_idx(SRC0)
	v_mov_b32_e32 v140, v33
	s_set_gpr_idx_off
	ds_read2_b32 v[134:135], v129 offset0:2 offset1:3
	s_add_i32 s17, s8, -3
	s_set_gpr_idx_on s16, gpr_idx(SRC0)
	v_mov_b32_e32 v141, v33
	s_set_gpr_idx_off
	s_add_i32 s18, s8, -2
	s_set_gpr_idx_on s17, gpr_idx(SRC0)
	v_mov_b32_e32 v142, v33
	s_set_gpr_idx_off
	ds_read2_b32 v[136:137], v129 offset0:4 offset1:5
	s_add_i32 s19, s8, -1
	s_waitcnt lgkmcnt(2)
	v_fmac_f32_e32 v128, v138, v132
	s_set_gpr_idx_on s18, gpr_idx(SRC0)
	v_mov_b32_e32 v138, v33
	s_set_gpr_idx_off
	v_fmac_f32_e32 v128, v139, v133
	s_set_gpr_idx_on s19, gpr_idx(SRC0)
	v_mov_b32_e32 v139, v33
	s_set_gpr_idx_off
	ds_read2_b32 v[132:133], v129 offset0:6 offset1:7
	s_waitcnt lgkmcnt(2)
	v_fmac_f32_e32 v128, v140, v134
	s_set_gpr_idx_on s8, gpr_idx(SRC0)
	v_mov_b32_e32 v134, v33
	s_set_gpr_idx_off
	v_fmac_f32_e32 v128, v141, v135
	s_add_u32 s8, s8, 8
	s_waitcnt lgkmcnt(1)
	v_fmac_f32_e32 v128, v142, v136
	v_add_u32_e32 v129, s8, v131
	v_fmac_f32_e32 v128, v138, v137
	s_addc_u32 s9, s9, 0
	s_add_i32 s12, s12, 32
	s_add_i32 s13, s8, -7
	v_cmp_eq_u32_e32 vcc, 14, v129
	s_waitcnt lgkmcnt(0)
	v_fmac_f32_e32 v128, v139, v132
	v_mov_b32_e32 v129, s13
	s_or_b64 s[10:11], vcc, s[10:11]
	v_fmac_f32_e32 v128, v134, v133
	s_andn2_b64 exec, exec, s[10:11]
	s_cbranch_execnz .LBB30_361
; %bb.362:
	s_or_b64 exec, exec, s[10:11]
.LBB30_363:
	s_or_b64 exec, exec, s[2:3]
	v_and_b32_e32 v64, 7, v130
	v_cmp_ne_u32_e32 vcc, 0, v64
	s_and_saveexec_b64 s[8:9], vcc
	s_cbranch_execz .LBB30_367
; %bb.364:
	v_mov_b32_e32 v130, 0x80
	v_lshl_add_u32 v130, v129, 2, v130
	v_mov_b32_e32 v131, 0
	s_mov_b64 s[10:11], 0
.LBB30_365:                             ; =>This Inner Loop Header: Depth=1
	v_cmp_eq_u32_e32 vcc, 1, v129
	v_cndmask_b32_e32 v132, v33, v34, vcc
	v_add_u32_e32 v64, -1, v64
	v_cmp_eq_u32_e32 vcc, 2, v129
	v_cndmask_b32_e32 v132, v132, v35, vcc
	v_cmp_eq_u32_e32 vcc, 0, v64
	v_cmp_eq_u32_e64 s[2:3], 3, v129
	v_cndmask_b32_e64 v132, v132, v36, s[2:3]
	s_or_b64 s[10:11], vcc, s[10:11]
	v_cmp_eq_u32_e32 vcc, 4, v129
	v_cndmask_b32_e32 v132, v132, v37, vcc
	v_cmp_eq_u32_e32 vcc, 5, v129
	v_cndmask_b32_e32 v132, v132, v38, vcc
	;; [unrolled: 2-line block ×22, first 2 shown]
	v_cmp_eq_u32_e32 vcc, 26, v129
	ds_read_b32 v133, v130
	v_cndmask_b32_e32 v132, v132, v59, vcc
	v_cmp_eq_u32_e32 vcc, 27, v129
	v_cndmask_b32_e32 v132, v132, v60, vcc
	v_cmp_eq_u32_e32 vcc, 28, v129
	;; [unrolled: 2-line block ×4, first 2 shown]
	v_add_co_u32_e64 v129, s[2:3], 1, v129
	v_cndmask_b32_e32 v132, v132, v63, vcc
	v_add_u32_e32 v130, 4, v130
	v_addc_co_u32_e64 v131, s[2:3], 0, v131, s[2:3]
	s_waitcnt lgkmcnt(0)
	v_fmac_f32_e32 v128, v132, v133
	s_andn2_b64 exec, exec, s[10:11]
	s_cbranch_execnz .LBB30_365
; %bb.366:
	s_or_b64 exec, exec, s[10:11]
.LBB30_367:
	s_or_b64 exec, exec, s[8:9]
.LBB30_368:
	s_or_b64 exec, exec, s[6:7]
	v_mov_b32_e32 v39, 0
	ds_read_b32 v39, v39 offset:24
	s_waitcnt lgkmcnt(0)
	v_mul_f32_e32 v39, v128, v39
.LBB30_369:
	s_or_b64 exec, exec, s[4:5]
	v_cmp_lt_u32_e64 s[2:3], 5, v0
	ds_write_b32 v127, v38
	s_waitcnt lgkmcnt(0)
	; wave barrier
	s_and_saveexec_b64 s[4:5], s[2:3]
	s_cbranch_execz .LBB30_385
; %bb.370:
	s_andn2_b64 vcc, exec, s[66:67]
	s_cbranch_vccnz .LBB30_372
; %bb.371:
	v_cmp_eq_u32_e32 vcc, 1, v0
	v_cndmask_b32_e32 v128, v33, v34, vcc
	v_cmp_eq_u32_e32 vcc, 2, v0
	v_cndmask_b32_e32 v128, v128, v35, vcc
	;; [unrolled: 2-line block ×26, first 2 shown]
	v_cmp_eq_u32_e32 vcc, 27, v0
	ds_read_b32 v129, v127
	v_cndmask_b32_e32 v128, v128, v60, vcc
	v_cmp_eq_u32_e32 vcc, 28, v0
	v_cndmask_b32_e32 v128, v128, v61, vcc
	v_cmp_eq_u32_e32 vcc, 29, v0
	;; [unrolled: 2-line block ×3, first 2 shown]
	v_cndmask_b32_e32 v128, v128, v63, vcc
	s_waitcnt lgkmcnt(0)
	v_mul_f32_e32 v128, v128, v129
	s_cbranch_execz .LBB30_373
	s_branch .LBB30_374
.LBB30_372:
                                        ; implicit-def: $vgpr128
.LBB30_373:
	ds_read_b32 v128, v127
.LBB30_374:
	s_and_saveexec_b64 s[6:7], s[0:1]
	s_cbranch_execz .LBB30_384
; %bb.375:
	v_add_u32_e32 v131, -7, v0
	v_add_u32_e32 v130, -6, v0
	v_mov_b32_e32 v129, 6
	v_cmp_lt_u32_e32 vcc, 6, v131
	s_and_saveexec_b64 s[0:1], vcc
	s_cbranch_execz .LBB30_379
; %bb.376:
	v_and_b32_e32 v129, -8, v130
	v_sub_u32_e32 v131, 0, v129
	s_mov_b64 s[8:9], 13
	s_movk_i32 s12, 0x98
	s_mov_b64 s[10:11], 0
.LBB30_377:                             ; =>This Inner Loop Header: Depth=1
	s_add_i32 s13, s8, -7
	v_mov_b32_e32 v129, s12
	s_add_i32 s14, s8, -6
	s_set_gpr_idx_on s13, gpr_idx(SRC0)
	v_mov_b32_e32 v140, v33
	s_set_gpr_idx_off
	ds_read2_b64 v[132:135], v129 offset1:1
	s_add_i32 s15, s8, -5
	s_set_gpr_idx_on s14, gpr_idx(SRC0)
	v_mov_b32_e32 v141, v33
	s_set_gpr_idx_off
	s_add_i32 s16, s8, -4
	s_set_gpr_idx_on s15, gpr_idx(SRC0)
	v_mov_b32_e32 v142, v33
	s_set_gpr_idx_off
	;; [unrolled: 4-line block ×4, first 2 shown]
	ds_read2_b64 v[136:139], v129 offset0:2 offset1:3
	s_add_i32 s19, s8, -1
	s_waitcnt lgkmcnt(1)
	v_fmac_f32_e32 v128, v140, v132
	s_set_gpr_idx_on s18, gpr_idx(SRC0)
	v_mov_b32_e32 v132, v33
	s_set_gpr_idx_off
	v_fmac_f32_e32 v128, v141, v133
	s_set_gpr_idx_on s19, gpr_idx(SRC0)
	v_mov_b32_e32 v133, v33
	s_set_gpr_idx_off
	;; [unrolled: 4-line block ×3, first 2 shown]
	v_fmac_f32_e32 v128, v143, v135
	s_add_u32 s8, s8, 8
	s_waitcnt lgkmcnt(0)
	v_fmac_f32_e32 v128, v144, v136
	v_add_u32_e32 v129, s8, v131
	v_fmac_f32_e32 v128, v132, v137
	s_addc_u32 s9, s9, 0
	s_add_i32 s12, s12, 32
	s_add_i32 s13, s8, -7
	v_cmp_eq_u32_e32 vcc, 13, v129
	v_fmac_f32_e32 v128, v133, v138
	v_mov_b32_e32 v129, s13
	s_or_b64 s[10:11], vcc, s[10:11]
	v_fmac_f32_e32 v128, v134, v139
	s_andn2_b64 exec, exec, s[10:11]
	s_cbranch_execnz .LBB30_377
; %bb.378:
	s_or_b64 exec, exec, s[10:11]
.LBB30_379:
	s_or_b64 exec, exec, s[0:1]
	v_and_b32_e32 v64, 7, v130
	v_cmp_ne_u32_e32 vcc, 0, v64
	s_and_saveexec_b64 s[8:9], vcc
	s_cbranch_execz .LBB30_383
; %bb.380:
	v_mov_b32_e32 v130, 0x80
	v_lshl_add_u32 v130, v129, 2, v130
	v_mov_b32_e32 v131, 0
	s_mov_b64 s[10:11], 0
.LBB30_381:                             ; =>This Inner Loop Header: Depth=1
	v_cmp_eq_u32_e32 vcc, 1, v129
	v_cndmask_b32_e32 v132, v33, v34, vcc
	v_add_u32_e32 v64, -1, v64
	v_cmp_eq_u32_e32 vcc, 2, v129
	v_cndmask_b32_e32 v132, v132, v35, vcc
	v_cmp_eq_u32_e32 vcc, 0, v64
	v_cmp_eq_u32_e64 s[0:1], 3, v129
	v_cndmask_b32_e64 v132, v132, v36, s[0:1]
	s_or_b64 s[10:11], vcc, s[10:11]
	v_cmp_eq_u32_e32 vcc, 4, v129
	v_cndmask_b32_e32 v132, v132, v37, vcc
	v_cmp_eq_u32_e32 vcc, 5, v129
	v_cndmask_b32_e32 v132, v132, v38, vcc
	;; [unrolled: 2-line block ×22, first 2 shown]
	v_cmp_eq_u32_e32 vcc, 26, v129
	ds_read_b32 v133, v130
	v_cndmask_b32_e32 v132, v132, v59, vcc
	v_cmp_eq_u32_e32 vcc, 27, v129
	v_cndmask_b32_e32 v132, v132, v60, vcc
	v_cmp_eq_u32_e32 vcc, 28, v129
	;; [unrolled: 2-line block ×4, first 2 shown]
	v_add_co_u32_e64 v129, s[0:1], 1, v129
	v_cndmask_b32_e32 v132, v132, v63, vcc
	v_add_u32_e32 v130, 4, v130
	v_addc_co_u32_e64 v131, s[0:1], 0, v131, s[0:1]
	s_waitcnt lgkmcnt(0)
	v_fmac_f32_e32 v128, v132, v133
	s_andn2_b64 exec, exec, s[10:11]
	s_cbranch_execnz .LBB30_381
; %bb.382:
	s_or_b64 exec, exec, s[10:11]
.LBB30_383:
	s_or_b64 exec, exec, s[8:9]
.LBB30_384:
	s_or_b64 exec, exec, s[6:7]
	v_mov_b32_e32 v38, 0
	ds_read_b32 v38, v38 offset:20
	s_waitcnt lgkmcnt(0)
	v_mul_f32_e32 v38, v128, v38
.LBB30_385:
	s_or_b64 exec, exec, s[4:5]
	v_cmp_lt_u32_e64 s[0:1], 4, v0
	ds_write_b32 v127, v37
	s_waitcnt lgkmcnt(0)
	; wave barrier
	s_and_saveexec_b64 s[4:5], s[0:1]
	s_cbranch_execz .LBB30_401
; %bb.386:
	s_andn2_b64 vcc, exec, s[66:67]
	s_cbranch_vccnz .LBB30_388
; %bb.387:
	v_cmp_eq_u32_e32 vcc, 1, v0
	v_cndmask_b32_e32 v128, v33, v34, vcc
	v_cmp_eq_u32_e32 vcc, 2, v0
	v_cndmask_b32_e32 v128, v128, v35, vcc
	;; [unrolled: 2-line block ×26, first 2 shown]
	v_cmp_eq_u32_e32 vcc, 27, v0
	ds_read_b32 v129, v127
	v_cndmask_b32_e32 v128, v128, v60, vcc
	v_cmp_eq_u32_e32 vcc, 28, v0
	v_cndmask_b32_e32 v128, v128, v61, vcc
	v_cmp_eq_u32_e32 vcc, 29, v0
	;; [unrolled: 2-line block ×3, first 2 shown]
	v_cndmask_b32_e32 v128, v128, v63, vcc
	s_waitcnt lgkmcnt(0)
	v_mul_f32_e32 v128, v128, v129
	s_cbranch_execz .LBB30_389
	s_branch .LBB30_390
.LBB30_388:
                                        ; implicit-def: $vgpr128
.LBB30_389:
	ds_read_b32 v128, v127
.LBB30_390:
	s_and_saveexec_b64 s[6:7], s[2:3]
	s_cbranch_execz .LBB30_400
; %bb.391:
	v_add_u32_e32 v129, -6, v0
	v_add_u32_e32 v130, -5, v0
	v_cmp_lt_u32_e32 vcc, 6, v129
	v_mov_b32_e32 v129, 5
	s_and_saveexec_b64 s[2:3], vcc
	s_cbranch_execz .LBB30_395
; %bb.392:
	v_and_b32_e32 v129, -8, v130
	v_sub_u32_e32 v131, 0, v129
	s_mov_b64 s[8:9], 12
	s_movk_i32 s12, 0x94
	s_mov_b64 s[10:11], 0
.LBB30_393:                             ; =>This Inner Loop Header: Depth=1
	s_add_i32 s13, s8, -7
	v_mov_b32_e32 v129, s12
	s_add_i32 s14, s8, -6
	s_set_gpr_idx_on s13, gpr_idx(SRC0)
	v_mov_b32_e32 v138, v33
	s_set_gpr_idx_off
	ds_read2_b32 v[132:133], v129 offset1:1
	s_add_i32 s15, s8, -5
	s_set_gpr_idx_on s14, gpr_idx(SRC0)
	v_mov_b32_e32 v139, v33
	s_set_gpr_idx_off
	s_add_i32 s16, s8, -4
	s_set_gpr_idx_on s15, gpr_idx(SRC0)
	v_mov_b32_e32 v140, v33
	s_set_gpr_idx_off
	ds_read2_b32 v[134:135], v129 offset0:2 offset1:3
	s_add_i32 s17, s8, -3
	s_set_gpr_idx_on s16, gpr_idx(SRC0)
	v_mov_b32_e32 v141, v33
	s_set_gpr_idx_off
	s_add_i32 s18, s8, -2
	s_set_gpr_idx_on s17, gpr_idx(SRC0)
	v_mov_b32_e32 v142, v33
	s_set_gpr_idx_off
	ds_read2_b32 v[136:137], v129 offset0:4 offset1:5
	s_add_i32 s19, s8, -1
	s_waitcnt lgkmcnt(2)
	v_fmac_f32_e32 v128, v138, v132
	s_set_gpr_idx_on s18, gpr_idx(SRC0)
	v_mov_b32_e32 v138, v33
	s_set_gpr_idx_off
	v_fmac_f32_e32 v128, v139, v133
	s_set_gpr_idx_on s19, gpr_idx(SRC0)
	v_mov_b32_e32 v139, v33
	s_set_gpr_idx_off
	ds_read2_b32 v[132:133], v129 offset0:6 offset1:7
	s_waitcnt lgkmcnt(2)
	v_fmac_f32_e32 v128, v140, v134
	s_set_gpr_idx_on s8, gpr_idx(SRC0)
	v_mov_b32_e32 v134, v33
	s_set_gpr_idx_off
	v_fmac_f32_e32 v128, v141, v135
	s_add_u32 s8, s8, 8
	s_waitcnt lgkmcnt(1)
	v_fmac_f32_e32 v128, v142, v136
	v_add_u32_e32 v129, s8, v131
	v_fmac_f32_e32 v128, v138, v137
	s_addc_u32 s9, s9, 0
	s_add_i32 s12, s12, 32
	s_add_i32 s13, s8, -7
	v_cmp_eq_u32_e32 vcc, 12, v129
	s_waitcnt lgkmcnt(0)
	v_fmac_f32_e32 v128, v139, v132
	v_mov_b32_e32 v129, s13
	s_or_b64 s[10:11], vcc, s[10:11]
	v_fmac_f32_e32 v128, v134, v133
	s_andn2_b64 exec, exec, s[10:11]
	s_cbranch_execnz .LBB30_393
; %bb.394:
	s_or_b64 exec, exec, s[10:11]
.LBB30_395:
	s_or_b64 exec, exec, s[2:3]
	v_and_b32_e32 v64, 7, v130
	v_cmp_ne_u32_e32 vcc, 0, v64
	s_and_saveexec_b64 s[8:9], vcc
	s_cbranch_execz .LBB30_399
; %bb.396:
	v_mov_b32_e32 v130, 0x80
	v_lshl_add_u32 v130, v129, 2, v130
	v_mov_b32_e32 v131, 0
	s_mov_b64 s[10:11], 0
.LBB30_397:                             ; =>This Inner Loop Header: Depth=1
	v_cmp_eq_u32_e32 vcc, 1, v129
	v_cndmask_b32_e32 v132, v33, v34, vcc
	v_add_u32_e32 v64, -1, v64
	v_cmp_eq_u32_e32 vcc, 2, v129
	v_cndmask_b32_e32 v132, v132, v35, vcc
	v_cmp_eq_u32_e32 vcc, 0, v64
	v_cmp_eq_u32_e64 s[2:3], 3, v129
	v_cndmask_b32_e64 v132, v132, v36, s[2:3]
	s_or_b64 s[10:11], vcc, s[10:11]
	v_cmp_eq_u32_e32 vcc, 4, v129
	v_cndmask_b32_e32 v132, v132, v37, vcc
	v_cmp_eq_u32_e32 vcc, 5, v129
	v_cndmask_b32_e32 v132, v132, v38, vcc
	;; [unrolled: 2-line block ×22, first 2 shown]
	v_cmp_eq_u32_e32 vcc, 26, v129
	ds_read_b32 v133, v130
	v_cndmask_b32_e32 v132, v132, v59, vcc
	v_cmp_eq_u32_e32 vcc, 27, v129
	v_cndmask_b32_e32 v132, v132, v60, vcc
	v_cmp_eq_u32_e32 vcc, 28, v129
	;; [unrolled: 2-line block ×4, first 2 shown]
	v_add_co_u32_e64 v129, s[2:3], 1, v129
	v_cndmask_b32_e32 v132, v132, v63, vcc
	v_add_u32_e32 v130, 4, v130
	v_addc_co_u32_e64 v131, s[2:3], 0, v131, s[2:3]
	s_waitcnt lgkmcnt(0)
	v_fmac_f32_e32 v128, v132, v133
	s_andn2_b64 exec, exec, s[10:11]
	s_cbranch_execnz .LBB30_397
; %bb.398:
	s_or_b64 exec, exec, s[10:11]
.LBB30_399:
	s_or_b64 exec, exec, s[8:9]
.LBB30_400:
	s_or_b64 exec, exec, s[6:7]
	v_mov_b32_e32 v37, 0
	ds_read_b32 v37, v37 offset:16
	s_waitcnt lgkmcnt(0)
	v_mul_f32_e32 v37, v128, v37
.LBB30_401:
	s_or_b64 exec, exec, s[4:5]
	v_cmp_lt_u32_e64 s[2:3], 3, v0
	ds_write_b32 v127, v36
	s_waitcnt lgkmcnt(0)
	; wave barrier
	s_and_saveexec_b64 s[4:5], s[2:3]
	s_cbranch_execz .LBB30_417
; %bb.402:
	s_andn2_b64 vcc, exec, s[66:67]
	s_cbranch_vccnz .LBB30_404
; %bb.403:
	v_cmp_eq_u32_e32 vcc, 1, v0
	v_cndmask_b32_e32 v128, v33, v34, vcc
	v_cmp_eq_u32_e32 vcc, 2, v0
	v_cndmask_b32_e32 v128, v128, v35, vcc
	;; [unrolled: 2-line block ×26, first 2 shown]
	v_cmp_eq_u32_e32 vcc, 27, v0
	ds_read_b32 v129, v127
	v_cndmask_b32_e32 v128, v128, v60, vcc
	v_cmp_eq_u32_e32 vcc, 28, v0
	v_cndmask_b32_e32 v128, v128, v61, vcc
	v_cmp_eq_u32_e32 vcc, 29, v0
	;; [unrolled: 2-line block ×3, first 2 shown]
	v_cndmask_b32_e32 v128, v128, v63, vcc
	s_waitcnt lgkmcnt(0)
	v_mul_f32_e32 v128, v128, v129
	s_cbranch_execz .LBB30_405
	s_branch .LBB30_406
.LBB30_404:
                                        ; implicit-def: $vgpr128
.LBB30_405:
	ds_read_b32 v128, v127
.LBB30_406:
	s_and_saveexec_b64 s[6:7], s[0:1]
	s_cbranch_execz .LBB30_416
; %bb.407:
	v_add_u32_e32 v129, -5, v0
	v_add_u32_e32 v130, -4, v0
	v_cmp_lt_u32_e32 vcc, 6, v129
	v_mov_b32_e32 v129, 4
	s_and_saveexec_b64 s[0:1], vcc
	s_cbranch_execz .LBB30_411
; %bb.408:
	v_and_b32_e32 v129, -8, v130
	v_sub_u32_e32 v131, 0, v129
	s_mov_b64 s[8:9], 5
	s_movk_i32 s12, 0x90
	s_mov_b64 s[10:11], 0
.LBB30_409:                             ; =>This Inner Loop Header: Depth=1
	s_add_i32 s13, s8, -1
	v_mov_b32_e32 v129, s12
	s_set_gpr_idx_on s13, gpr_idx(SRC0)
	v_mov_b32_e32 v140, v33
	s_set_gpr_idx_off
	s_add_i32 s14, s8, 1
	ds_read_b128 v[132:135], v129
	ds_read_b128 v[136:139], v129 offset:16
	s_set_gpr_idx_on s8, gpr_idx(SRC0)
	v_mov_b32_e32 v141, v33
	s_set_gpr_idx_off
	s_add_i32 s15, s8, 2
	s_set_gpr_idx_on s14, gpr_idx(SRC0)
	v_mov_b32_e32 v142, v33
	s_set_gpr_idx_off
	s_add_i32 s16, s8, 3
	;; [unrolled: 4-line block ×4, first 2 shown]
	s_waitcnt lgkmcnt(1)
	v_fmac_f32_e32 v128, v140, v132
	s_set_gpr_idx_on s17, gpr_idx(SRC0)
	v_mov_b32_e32 v132, v33
	s_set_gpr_idx_off
	s_add_i32 s19, s8, 6
	v_fmac_f32_e32 v128, v141, v133
	s_set_gpr_idx_on s18, gpr_idx(SRC0)
	v_mov_b32_e32 v133, v33
	s_set_gpr_idx_off
	v_fmac_f32_e32 v128, v142, v134
	s_set_gpr_idx_on s19, gpr_idx(SRC0)
	v_mov_b32_e32 v134, v33
	s_set_gpr_idx_off
	v_fmac_f32_e32 v128, v143, v135
	s_add_u32 s8, s8, 8
	s_waitcnt lgkmcnt(0)
	v_fmac_f32_e32 v128, v144, v136
	v_add_u32_e32 v129, s8, v131
	v_fmac_f32_e32 v128, v132, v137
	s_addc_u32 s9, s9, 0
	s_add_i32 s12, s12, 32
	s_add_i32 s13, s8, -1
	v_cmp_eq_u32_e32 vcc, 5, v129
	v_fmac_f32_e32 v128, v133, v138
	v_mov_b32_e32 v129, s13
	s_or_b64 s[10:11], vcc, s[10:11]
	v_fmac_f32_e32 v128, v134, v139
	s_andn2_b64 exec, exec, s[10:11]
	s_cbranch_execnz .LBB30_409
; %bb.410:
	s_or_b64 exec, exec, s[10:11]
.LBB30_411:
	s_or_b64 exec, exec, s[0:1]
	v_and_b32_e32 v64, 7, v130
	v_cmp_ne_u32_e32 vcc, 0, v64
	s_and_saveexec_b64 s[8:9], vcc
	s_cbranch_execz .LBB30_415
; %bb.412:
	v_mov_b32_e32 v130, 0x80
	v_lshl_add_u32 v130, v129, 2, v130
	v_mov_b32_e32 v131, 0
	s_mov_b64 s[10:11], 0
.LBB30_413:                             ; =>This Inner Loop Header: Depth=1
	v_cmp_eq_u32_e32 vcc, 1, v129
	v_cndmask_b32_e32 v132, v33, v34, vcc
	v_add_u32_e32 v64, -1, v64
	v_cmp_eq_u32_e32 vcc, 2, v129
	v_cndmask_b32_e32 v132, v132, v35, vcc
	v_cmp_eq_u32_e32 vcc, 0, v64
	v_cmp_eq_u32_e64 s[0:1], 3, v129
	v_cndmask_b32_e64 v132, v132, v36, s[0:1]
	s_or_b64 s[10:11], vcc, s[10:11]
	v_cmp_eq_u32_e32 vcc, 4, v129
	v_cndmask_b32_e32 v132, v132, v37, vcc
	v_cmp_eq_u32_e32 vcc, 5, v129
	v_cndmask_b32_e32 v132, v132, v38, vcc
	;; [unrolled: 2-line block ×22, first 2 shown]
	v_cmp_eq_u32_e32 vcc, 26, v129
	ds_read_b32 v133, v130
	v_cndmask_b32_e32 v132, v132, v59, vcc
	v_cmp_eq_u32_e32 vcc, 27, v129
	v_cndmask_b32_e32 v132, v132, v60, vcc
	v_cmp_eq_u32_e32 vcc, 28, v129
	;; [unrolled: 2-line block ×4, first 2 shown]
	v_add_co_u32_e64 v129, s[0:1], 1, v129
	v_cndmask_b32_e32 v132, v132, v63, vcc
	v_add_u32_e32 v130, 4, v130
	v_addc_co_u32_e64 v131, s[0:1], 0, v131, s[0:1]
	s_waitcnt lgkmcnt(0)
	v_fmac_f32_e32 v128, v132, v133
	s_andn2_b64 exec, exec, s[10:11]
	s_cbranch_execnz .LBB30_413
; %bb.414:
	s_or_b64 exec, exec, s[10:11]
.LBB30_415:
	s_or_b64 exec, exec, s[8:9]
.LBB30_416:
	s_or_b64 exec, exec, s[6:7]
	v_mov_b32_e32 v36, 0
	ds_read_b32 v36, v36 offset:12
	s_waitcnt lgkmcnt(0)
	v_mul_f32_e32 v36, v128, v36
.LBB30_417:
	s_or_b64 exec, exec, s[4:5]
	v_cmp_lt_u32_e64 s[0:1], 2, v0
	ds_write_b32 v127, v35
	s_waitcnt lgkmcnt(0)
	; wave barrier
	s_and_saveexec_b64 s[4:5], s[0:1]
	s_cbranch_execz .LBB30_433
; %bb.418:
	s_andn2_b64 vcc, exec, s[66:67]
	s_cbranch_vccnz .LBB30_420
; %bb.419:
	v_cmp_eq_u32_e32 vcc, 1, v0
	v_cndmask_b32_e32 v128, v33, v34, vcc
	v_cmp_eq_u32_e32 vcc, 2, v0
	v_cndmask_b32_e32 v128, v128, v35, vcc
	v_cmp_eq_u32_e32 vcc, 3, v0
	v_cndmask_b32_e32 v128, v128, v36, vcc
	v_cmp_eq_u32_e32 vcc, 4, v0
	v_cndmask_b32_e32 v128, v128, v37, vcc
	v_cmp_eq_u32_e32 vcc, 5, v0
	v_cndmask_b32_e32 v128, v128, v38, vcc
	v_cmp_eq_u32_e32 vcc, 6, v0
	v_cndmask_b32_e32 v128, v128, v39, vcc
	v_cmp_eq_u32_e32 vcc, 7, v0
	v_cndmask_b32_e32 v128, v128, v40, vcc
	v_cmp_eq_u32_e32 vcc, 8, v0
	v_cndmask_b32_e32 v128, v128, v41, vcc
	v_cmp_eq_u32_e32 vcc, 9, v0
	v_cndmask_b32_e32 v128, v128, v42, vcc
	v_cmp_eq_u32_e32 vcc, 10, v0
	v_cndmask_b32_e32 v128, v128, v43, vcc
	v_cmp_eq_u32_e32 vcc, 11, v0
	v_cndmask_b32_e32 v128, v128, v44, vcc
	v_cmp_eq_u32_e32 vcc, 12, v0
	v_cndmask_b32_e32 v128, v128, v45, vcc
	v_cmp_eq_u32_e32 vcc, 13, v0
	v_cndmask_b32_e32 v128, v128, v46, vcc
	v_cmp_eq_u32_e32 vcc, 14, v0
	v_cndmask_b32_e32 v128, v128, v47, vcc
	v_cmp_eq_u32_e32 vcc, 15, v0
	v_cndmask_b32_e32 v128, v128, v48, vcc
	v_cmp_eq_u32_e32 vcc, 16, v0
	v_cndmask_b32_e32 v128, v128, v49, vcc
	v_cmp_eq_u32_e32 vcc, 17, v0
	v_cndmask_b32_e32 v128, v128, v50, vcc
	v_cmp_eq_u32_e32 vcc, 18, v0
	v_cndmask_b32_e32 v128, v128, v51, vcc
	v_cmp_eq_u32_e32 vcc, 19, v0
	v_cndmask_b32_e32 v128, v128, v52, vcc
	v_cmp_eq_u32_e32 vcc, 20, v0
	v_cndmask_b32_e32 v128, v128, v53, vcc
	v_cmp_eq_u32_e32 vcc, 21, v0
	v_cndmask_b32_e32 v128, v128, v54, vcc
	v_cmp_eq_u32_e32 vcc, 22, v0
	v_cndmask_b32_e32 v128, v128, v55, vcc
	v_cmp_eq_u32_e32 vcc, 23, v0
	v_cndmask_b32_e32 v128, v128, v56, vcc
	v_cmp_eq_u32_e32 vcc, 24, v0
	v_cndmask_b32_e32 v128, v128, v57, vcc
	v_cmp_eq_u32_e32 vcc, 25, v0
	v_cndmask_b32_e32 v128, v128, v58, vcc
	v_cmp_eq_u32_e32 vcc, 26, v0
	v_cndmask_b32_e32 v128, v128, v59, vcc
	v_cmp_eq_u32_e32 vcc, 27, v0
	ds_read_b32 v129, v127
	v_cndmask_b32_e32 v128, v128, v60, vcc
	v_cmp_eq_u32_e32 vcc, 28, v0
	v_cndmask_b32_e32 v128, v128, v61, vcc
	v_cmp_eq_u32_e32 vcc, 29, v0
	;; [unrolled: 2-line block ×3, first 2 shown]
	v_cndmask_b32_e32 v128, v128, v63, vcc
	s_waitcnt lgkmcnt(0)
	v_mul_f32_e32 v128, v128, v129
	s_cbranch_execz .LBB30_421
	s_branch .LBB30_422
.LBB30_420:
                                        ; implicit-def: $vgpr128
.LBB30_421:
	ds_read_b32 v128, v127
.LBB30_422:
	s_and_saveexec_b64 s[6:7], s[2:3]
	s_cbranch_execz .LBB30_432
; %bb.423:
	v_add_u32_e32 v129, -4, v0
	v_add_u32_e32 v130, -3, v0
	v_cmp_lt_u32_e32 vcc, 6, v129
	v_mov_b32_e32 v129, 3
	s_and_saveexec_b64 s[2:3], vcc
	s_cbranch_execz .LBB30_427
; %bb.424:
	v_and_b32_e32 v129, -8, v130
	v_sub_u32_e32 v131, 0, v129
	s_mov_b64 s[8:9], 10
	s_movk_i32 s12, 0x8c
	s_mov_b64 s[10:11], 0
.LBB30_425:                             ; =>This Inner Loop Header: Depth=1
	s_add_i32 s13, s8, -7
	v_mov_b32_e32 v129, s12
	s_add_i32 s14, s8, -6
	s_set_gpr_idx_on s13, gpr_idx(SRC0)
	v_mov_b32_e32 v138, v33
	s_set_gpr_idx_off
	ds_read2_b32 v[132:133], v129 offset1:1
	s_add_i32 s15, s8, -5
	s_set_gpr_idx_on s14, gpr_idx(SRC0)
	v_mov_b32_e32 v139, v33
	s_set_gpr_idx_off
	s_add_i32 s16, s8, -4
	s_set_gpr_idx_on s15, gpr_idx(SRC0)
	v_mov_b32_e32 v140, v33
	s_set_gpr_idx_off
	ds_read2_b32 v[134:135], v129 offset0:2 offset1:3
	s_add_i32 s17, s8, -3
	s_set_gpr_idx_on s16, gpr_idx(SRC0)
	v_mov_b32_e32 v141, v33
	s_set_gpr_idx_off
	s_add_i32 s18, s8, -2
	s_set_gpr_idx_on s17, gpr_idx(SRC0)
	v_mov_b32_e32 v142, v33
	s_set_gpr_idx_off
	ds_read2_b32 v[136:137], v129 offset0:4 offset1:5
	s_add_i32 s19, s8, -1
	s_waitcnt lgkmcnt(2)
	v_fmac_f32_e32 v128, v138, v132
	s_set_gpr_idx_on s18, gpr_idx(SRC0)
	v_mov_b32_e32 v138, v33
	s_set_gpr_idx_off
	v_fmac_f32_e32 v128, v139, v133
	s_set_gpr_idx_on s19, gpr_idx(SRC0)
	v_mov_b32_e32 v139, v33
	s_set_gpr_idx_off
	ds_read2_b32 v[132:133], v129 offset0:6 offset1:7
	s_waitcnt lgkmcnt(2)
	v_fmac_f32_e32 v128, v140, v134
	s_set_gpr_idx_on s8, gpr_idx(SRC0)
	v_mov_b32_e32 v134, v33
	s_set_gpr_idx_off
	v_fmac_f32_e32 v128, v141, v135
	s_add_u32 s8, s8, 8
	s_waitcnt lgkmcnt(1)
	v_fmac_f32_e32 v128, v142, v136
	v_add_u32_e32 v129, s8, v131
	v_fmac_f32_e32 v128, v138, v137
	s_addc_u32 s9, s9, 0
	s_add_i32 s12, s12, 32
	s_add_i32 s13, s8, -7
	v_cmp_eq_u32_e32 vcc, 10, v129
	s_waitcnt lgkmcnt(0)
	v_fmac_f32_e32 v128, v139, v132
	v_mov_b32_e32 v129, s13
	s_or_b64 s[10:11], vcc, s[10:11]
	v_fmac_f32_e32 v128, v134, v133
	s_andn2_b64 exec, exec, s[10:11]
	s_cbranch_execnz .LBB30_425
; %bb.426:
	s_or_b64 exec, exec, s[10:11]
.LBB30_427:
	s_or_b64 exec, exec, s[2:3]
	v_and_b32_e32 v64, 7, v130
	v_cmp_ne_u32_e32 vcc, 0, v64
	s_and_saveexec_b64 s[8:9], vcc
	s_cbranch_execz .LBB30_431
; %bb.428:
	v_mov_b32_e32 v130, 0x80
	v_lshl_add_u32 v130, v129, 2, v130
	v_mov_b32_e32 v131, 0
	s_mov_b64 s[10:11], 0
.LBB30_429:                             ; =>This Inner Loop Header: Depth=1
	v_cmp_eq_u32_e32 vcc, 1, v129
	v_cndmask_b32_e32 v132, v33, v34, vcc
	v_add_u32_e32 v64, -1, v64
	v_cmp_eq_u32_e32 vcc, 2, v129
	v_cndmask_b32_e32 v132, v132, v35, vcc
	v_cmp_eq_u32_e32 vcc, 0, v64
	v_cmp_eq_u32_e64 s[2:3], 3, v129
	v_cndmask_b32_e64 v132, v132, v36, s[2:3]
	s_or_b64 s[10:11], vcc, s[10:11]
	v_cmp_eq_u32_e32 vcc, 4, v129
	v_cndmask_b32_e32 v132, v132, v37, vcc
	v_cmp_eq_u32_e32 vcc, 5, v129
	v_cndmask_b32_e32 v132, v132, v38, vcc
	;; [unrolled: 2-line block ×22, first 2 shown]
	v_cmp_eq_u32_e32 vcc, 26, v129
	ds_read_b32 v133, v130
	v_cndmask_b32_e32 v132, v132, v59, vcc
	v_cmp_eq_u32_e32 vcc, 27, v129
	v_cndmask_b32_e32 v132, v132, v60, vcc
	v_cmp_eq_u32_e32 vcc, 28, v129
	;; [unrolled: 2-line block ×4, first 2 shown]
	v_add_co_u32_e64 v129, s[2:3], 1, v129
	v_cndmask_b32_e32 v132, v132, v63, vcc
	v_add_u32_e32 v130, 4, v130
	v_addc_co_u32_e64 v131, s[2:3], 0, v131, s[2:3]
	s_waitcnt lgkmcnt(0)
	v_fmac_f32_e32 v128, v132, v133
	s_andn2_b64 exec, exec, s[10:11]
	s_cbranch_execnz .LBB30_429
; %bb.430:
	s_or_b64 exec, exec, s[10:11]
.LBB30_431:
	s_or_b64 exec, exec, s[8:9]
.LBB30_432:
	s_or_b64 exec, exec, s[6:7]
	v_mov_b32_e32 v35, 0
	ds_read_b32 v35, v35 offset:8
	s_waitcnt lgkmcnt(0)
	v_mul_f32_e32 v35, v128, v35
.LBB30_433:
	s_or_b64 exec, exec, s[4:5]
	v_cmp_lt_u32_e64 s[2:3], 1, v0
	ds_write_b32 v127, v34
	s_waitcnt lgkmcnt(0)
	; wave barrier
	s_and_saveexec_b64 s[4:5], s[2:3]
	s_cbranch_execz .LBB30_449
; %bb.434:
	s_andn2_b64 vcc, exec, s[66:67]
	s_cbranch_vccnz .LBB30_436
; %bb.435:
	v_cmp_eq_u32_e32 vcc, 1, v0
	v_cndmask_b32_e32 v128, v33, v34, vcc
	v_cmp_eq_u32_e32 vcc, 2, v0
	v_cndmask_b32_e32 v128, v128, v35, vcc
	;; [unrolled: 2-line block ×26, first 2 shown]
	v_cmp_eq_u32_e32 vcc, 27, v0
	ds_read_b32 v129, v127
	v_cndmask_b32_e32 v128, v128, v60, vcc
	v_cmp_eq_u32_e32 vcc, 28, v0
	v_cndmask_b32_e32 v128, v128, v61, vcc
	v_cmp_eq_u32_e32 vcc, 29, v0
	;; [unrolled: 2-line block ×3, first 2 shown]
	v_cndmask_b32_e32 v128, v128, v63, vcc
	s_waitcnt lgkmcnt(0)
	v_mul_f32_e32 v128, v128, v129
	s_cbranch_execz .LBB30_437
	s_branch .LBB30_438
.LBB30_436:
                                        ; implicit-def: $vgpr128
.LBB30_437:
	ds_read_b32 v128, v127
.LBB30_438:
	s_and_saveexec_b64 s[6:7], s[0:1]
	s_cbranch_execz .LBB30_448
; %bb.439:
	v_add_u32_e32 v129, -3, v0
	v_add_u32_e32 v130, -2, v0
	v_cmp_lt_u32_e32 vcc, 6, v129
	v_mov_b32_e32 v129, 2
	s_and_saveexec_b64 s[0:1], vcc
	s_cbranch_execz .LBB30_443
; %bb.440:
	v_and_b32_e32 v129, -8, v130
	v_sub_u32_e32 v131, 0, v129
	s_mov_b64 s[8:9], 9
	s_movk_i32 s12, 0x88
	s_mov_b64 s[10:11], 0
.LBB30_441:                             ; =>This Inner Loop Header: Depth=1
	s_add_i32 s13, s8, -7
	v_mov_b32_e32 v129, s12
	s_add_i32 s14, s8, -6
	s_set_gpr_idx_on s13, gpr_idx(SRC0)
	v_mov_b32_e32 v140, v33
	s_set_gpr_idx_off
	ds_read2_b64 v[132:135], v129 offset1:1
	s_add_i32 s15, s8, -5
	s_set_gpr_idx_on s14, gpr_idx(SRC0)
	v_mov_b32_e32 v141, v33
	s_set_gpr_idx_off
	s_add_i32 s16, s8, -4
	s_set_gpr_idx_on s15, gpr_idx(SRC0)
	v_mov_b32_e32 v142, v33
	s_set_gpr_idx_off
	;; [unrolled: 4-line block ×4, first 2 shown]
	ds_read2_b64 v[136:139], v129 offset0:2 offset1:3
	s_add_i32 s19, s8, -1
	s_waitcnt lgkmcnt(1)
	v_fmac_f32_e32 v128, v140, v132
	s_set_gpr_idx_on s18, gpr_idx(SRC0)
	v_mov_b32_e32 v132, v33
	s_set_gpr_idx_off
	v_fmac_f32_e32 v128, v141, v133
	s_set_gpr_idx_on s19, gpr_idx(SRC0)
	v_mov_b32_e32 v133, v33
	s_set_gpr_idx_off
	;; [unrolled: 4-line block ×3, first 2 shown]
	v_fmac_f32_e32 v128, v143, v135
	s_add_u32 s8, s8, 8
	s_waitcnt lgkmcnt(0)
	v_fmac_f32_e32 v128, v144, v136
	v_add_u32_e32 v129, s8, v131
	v_fmac_f32_e32 v128, v132, v137
	s_addc_u32 s9, s9, 0
	s_add_i32 s12, s12, 32
	s_add_i32 s13, s8, -7
	v_cmp_eq_u32_e32 vcc, 9, v129
	v_fmac_f32_e32 v128, v133, v138
	v_mov_b32_e32 v129, s13
	s_or_b64 s[10:11], vcc, s[10:11]
	v_fmac_f32_e32 v128, v134, v139
	s_andn2_b64 exec, exec, s[10:11]
	s_cbranch_execnz .LBB30_441
; %bb.442:
	s_or_b64 exec, exec, s[10:11]
.LBB30_443:
	s_or_b64 exec, exec, s[0:1]
	v_and_b32_e32 v64, 7, v130
	v_cmp_ne_u32_e32 vcc, 0, v64
	s_and_saveexec_b64 s[8:9], vcc
	s_cbranch_execz .LBB30_447
; %bb.444:
	v_mov_b32_e32 v130, 0x80
	v_lshl_add_u32 v130, v129, 2, v130
	v_mov_b32_e32 v131, 0
	s_mov_b64 s[10:11], 0
.LBB30_445:                             ; =>This Inner Loop Header: Depth=1
	v_cmp_eq_u32_e32 vcc, 1, v129
	v_cndmask_b32_e32 v132, v33, v34, vcc
	v_add_u32_e32 v64, -1, v64
	v_cmp_eq_u32_e32 vcc, 2, v129
	v_cndmask_b32_e32 v132, v132, v35, vcc
	v_cmp_eq_u32_e32 vcc, 0, v64
	v_cmp_eq_u32_e64 s[0:1], 3, v129
	v_cndmask_b32_e64 v132, v132, v36, s[0:1]
	s_or_b64 s[10:11], vcc, s[10:11]
	v_cmp_eq_u32_e32 vcc, 4, v129
	v_cndmask_b32_e32 v132, v132, v37, vcc
	v_cmp_eq_u32_e32 vcc, 5, v129
	v_cndmask_b32_e32 v132, v132, v38, vcc
	;; [unrolled: 2-line block ×22, first 2 shown]
	v_cmp_eq_u32_e32 vcc, 26, v129
	ds_read_b32 v133, v130
	v_cndmask_b32_e32 v132, v132, v59, vcc
	v_cmp_eq_u32_e32 vcc, 27, v129
	v_cndmask_b32_e32 v132, v132, v60, vcc
	v_cmp_eq_u32_e32 vcc, 28, v129
	;; [unrolled: 2-line block ×4, first 2 shown]
	v_add_co_u32_e64 v129, s[0:1], 1, v129
	v_cndmask_b32_e32 v132, v132, v63, vcc
	v_add_u32_e32 v130, 4, v130
	v_addc_co_u32_e64 v131, s[0:1], 0, v131, s[0:1]
	s_waitcnt lgkmcnt(0)
	v_fmac_f32_e32 v128, v132, v133
	s_andn2_b64 exec, exec, s[10:11]
	s_cbranch_execnz .LBB30_445
; %bb.446:
	s_or_b64 exec, exec, s[10:11]
.LBB30_447:
	s_or_b64 exec, exec, s[8:9]
.LBB30_448:
	s_or_b64 exec, exec, s[6:7]
	v_mov_b32_e32 v34, 0
	ds_read_b32 v34, v34 offset:4
	s_waitcnt lgkmcnt(0)
	v_mul_f32_e32 v34, v128, v34
.LBB30_449:
	s_or_b64 exec, exec, s[4:5]
	v_cmp_ne_u32_e32 vcc, 0, v0
	ds_write_b32 v127, v33
	s_waitcnt lgkmcnt(0)
	; wave barrier
	s_and_saveexec_b64 s[4:5], vcc
	s_cbranch_execz .LBB30_465
; %bb.450:
	s_andn2_b64 vcc, exec, s[66:67]
	s_cbranch_vccnz .LBB30_452
; %bb.451:
	v_cmp_eq_u32_e32 vcc, 1, v0
	v_cndmask_b32_e32 v128, v33, v34, vcc
	v_cmp_eq_u32_e32 vcc, 2, v0
	v_cndmask_b32_e32 v128, v128, v35, vcc
	;; [unrolled: 2-line block ×26, first 2 shown]
	v_cmp_eq_u32_e32 vcc, 27, v0
	ds_read_b32 v129, v127
	v_cndmask_b32_e32 v128, v128, v60, vcc
	v_cmp_eq_u32_e32 vcc, 28, v0
	v_cndmask_b32_e32 v128, v128, v61, vcc
	v_cmp_eq_u32_e32 vcc, 29, v0
	;; [unrolled: 2-line block ×3, first 2 shown]
	v_cndmask_b32_e32 v128, v128, v63, vcc
	s_waitcnt lgkmcnt(0)
	v_mul_f32_e32 v128, v128, v129
	s_cbranch_execz .LBB30_453
	s_branch .LBB30_454
.LBB30_452:
                                        ; implicit-def: $vgpr128
.LBB30_453:
	ds_read_b32 v128, v127
.LBB30_454:
	s_and_saveexec_b64 s[6:7], s[2:3]
	s_cbranch_execz .LBB30_464
; %bb.455:
	v_add_u32_e32 v129, -2, v0
	v_add_u32_e32 v130, -1, v0
	v_cmp_lt_u32_e32 vcc, 6, v129
	v_mov_b32_e32 v129, 1
	s_and_saveexec_b64 s[0:1], vcc
	s_cbranch_execz .LBB30_459
; %bb.456:
	v_and_b32_e32 v129, -8, v130
	v_sub_u32_e32 v131, 0, v129
	s_mov_b64 s[2:3], 8
	s_movk_i32 s10, 0x84
	s_mov_b64 s[8:9], 0
.LBB30_457:                             ; =>This Inner Loop Header: Depth=1
	s_add_i32 s11, s2, -7
	v_mov_b32_e32 v129, s10
	s_add_i32 s12, s2, -6
	s_set_gpr_idx_on s11, gpr_idx(SRC0)
	v_mov_b32_e32 v138, v33
	s_set_gpr_idx_off
	ds_read2_b32 v[132:133], v129 offset1:1
	s_add_i32 s13, s2, -5
	s_set_gpr_idx_on s12, gpr_idx(SRC0)
	v_mov_b32_e32 v139, v33
	s_set_gpr_idx_off
	s_add_i32 s14, s2, -4
	s_set_gpr_idx_on s13, gpr_idx(SRC0)
	v_mov_b32_e32 v140, v33
	s_set_gpr_idx_off
	ds_read2_b32 v[134:135], v129 offset0:2 offset1:3
	s_add_i32 s15, s2, -3
	s_set_gpr_idx_on s14, gpr_idx(SRC0)
	v_mov_b32_e32 v141, v33
	s_set_gpr_idx_off
	s_add_i32 s16, s2, -2
	s_set_gpr_idx_on s15, gpr_idx(SRC0)
	v_mov_b32_e32 v142, v33
	s_set_gpr_idx_off
	ds_read2_b32 v[136:137], v129 offset0:4 offset1:5
	s_add_i32 s17, s2, -1
	s_waitcnt lgkmcnt(2)
	v_fmac_f32_e32 v128, v138, v132
	s_set_gpr_idx_on s16, gpr_idx(SRC0)
	v_mov_b32_e32 v138, v33
	s_set_gpr_idx_off
	v_fmac_f32_e32 v128, v139, v133
	s_set_gpr_idx_on s17, gpr_idx(SRC0)
	v_mov_b32_e32 v139, v33
	s_set_gpr_idx_off
	ds_read2_b32 v[132:133], v129 offset0:6 offset1:7
	s_waitcnt lgkmcnt(2)
	v_fmac_f32_e32 v128, v140, v134
	s_set_gpr_idx_on s2, gpr_idx(SRC0)
	v_mov_b32_e32 v134, v33
	s_set_gpr_idx_off
	v_fmac_f32_e32 v128, v141, v135
	s_add_u32 s2, s2, 8
	s_waitcnt lgkmcnt(1)
	v_fmac_f32_e32 v128, v142, v136
	v_add_u32_e32 v129, s2, v131
	v_fmac_f32_e32 v128, v138, v137
	s_addc_u32 s3, s3, 0
	s_add_i32 s10, s10, 32
	s_add_i32 s11, s2, -7
	v_cmp_eq_u32_e32 vcc, 8, v129
	s_waitcnt lgkmcnt(0)
	v_fmac_f32_e32 v128, v139, v132
	v_mov_b32_e32 v129, s11
	s_or_b64 s[8:9], vcc, s[8:9]
	v_fmac_f32_e32 v128, v134, v133
	s_andn2_b64 exec, exec, s[8:9]
	s_cbranch_execnz .LBB30_457
; %bb.458:
	s_or_b64 exec, exec, s[8:9]
.LBB30_459:
	s_or_b64 exec, exec, s[0:1]
	v_and_b32_e32 v64, 7, v130
	v_cmp_ne_u32_e32 vcc, 0, v64
	s_and_saveexec_b64 s[2:3], vcc
	s_cbranch_execz .LBB30_463
; %bb.460:
	v_mov_b32_e32 v130, 0x80
	v_lshl_add_u32 v130, v129, 2, v130
	v_mov_b32_e32 v131, 0
	s_mov_b64 s[8:9], 0
.LBB30_461:                             ; =>This Inner Loop Header: Depth=1
	v_cmp_eq_u32_e32 vcc, 1, v129
	v_cndmask_b32_e32 v132, v33, v34, vcc
	v_add_u32_e32 v64, -1, v64
	v_cmp_eq_u32_e32 vcc, 2, v129
	v_cndmask_b32_e32 v132, v132, v35, vcc
	v_cmp_eq_u32_e32 vcc, 0, v64
	v_cmp_eq_u32_e64 s[0:1], 3, v129
	v_cndmask_b32_e64 v132, v132, v36, s[0:1]
	s_or_b64 s[8:9], vcc, s[8:9]
	v_cmp_eq_u32_e32 vcc, 4, v129
	v_cndmask_b32_e32 v132, v132, v37, vcc
	v_cmp_eq_u32_e32 vcc, 5, v129
	v_cndmask_b32_e32 v132, v132, v38, vcc
	;; [unrolled: 2-line block ×22, first 2 shown]
	v_cmp_eq_u32_e32 vcc, 26, v129
	ds_read_b32 v133, v130
	v_cndmask_b32_e32 v132, v132, v59, vcc
	v_cmp_eq_u32_e32 vcc, 27, v129
	v_cndmask_b32_e32 v132, v132, v60, vcc
	v_cmp_eq_u32_e32 vcc, 28, v129
	;; [unrolled: 2-line block ×4, first 2 shown]
	v_add_co_u32_e64 v129, s[0:1], 1, v129
	v_cndmask_b32_e32 v132, v132, v63, vcc
	v_add_u32_e32 v130, 4, v130
	v_addc_co_u32_e64 v131, s[0:1], 0, v131, s[0:1]
	s_waitcnt lgkmcnt(0)
	v_fmac_f32_e32 v128, v132, v133
	s_andn2_b64 exec, exec, s[8:9]
	s_cbranch_execnz .LBB30_461
; %bb.462:
	s_or_b64 exec, exec, s[8:9]
.LBB30_463:
	s_or_b64 exec, exec, s[2:3]
.LBB30_464:
	s_or_b64 exec, exec, s[6:7]
	v_mov_b32_e32 v33, 0
	ds_read_b32 v33, v33
	s_waitcnt lgkmcnt(0)
	v_mul_f32_e32 v33, v128, v33
.LBB30_465:
	s_or_b64 exec, exec, s[4:5]
	s_branch .LBB30_769
.LBB30_466:
	v_cmp_eq_u32_e64 s[2:3], 0, v0
	s_waitcnt vmcnt(30)
	ds_write_b32 v127, v3
	s_waitcnt lgkmcnt(0)
	; wave barrier
	s_and_saveexec_b64 s[0:1], s[2:3]
	s_cbranch_execz .LBB30_472
; %bb.467:
	s_and_b64 vcc, exec, s[66:67]
	s_cbranch_vccz .LBB30_469
; %bb.468:
	v_cmp_eq_u32_e32 vcc, 1, v0
	s_waitcnt vmcnt(6)
	v_cndmask_b32_e32 v3, v2, v3, vcc
	v_cmp_eq_u32_e32 vcc, 2, v0
	v_cndmask_b32_e32 v3, v3, v4, vcc
	v_cmp_eq_u32_e32 vcc, 3, v0
	;; [unrolled: 2-line block ×24, first 2 shown]
	s_waitcnt vmcnt(5)
	v_cndmask_b32_e32 v3, v3, v27, vcc
	v_cmp_eq_u32_e32 vcc, 26, v0
	s_waitcnt vmcnt(4)
	v_cndmask_b32_e32 v3, v3, v28, vcc
	v_cmp_eq_u32_e32 vcc, 27, v0
	ds_read_b32 v33, v127
	s_waitcnt vmcnt(3)
	v_cndmask_b32_e32 v3, v3, v29, vcc
	v_cmp_eq_u32_e32 vcc, 28, v0
	s_waitcnt vmcnt(2)
	v_cndmask_b32_e32 v3, v3, v30, vcc
	v_cmp_eq_u32_e32 vcc, 29, v0
	;; [unrolled: 3-line block ×3, first 2 shown]
	s_waitcnt vmcnt(0)
	v_cndmask_b32_e32 v3, v3, v32, vcc
	s_waitcnt lgkmcnt(0)
	v_mul_f32_e32 v3, v3, v33
	s_cbranch_execz .LBB30_470
	s_branch .LBB30_471
.LBB30_469:
                                        ; implicit-def: $vgpr3
.LBB30_470:
	ds_read_b32 v3, v127
.LBB30_471:
	v_mov_b32_e32 v33, 0
	ds_read_b32 v33, v33 offset:4
	s_waitcnt lgkmcnt(0)
	v_mul_f32_e32 v3, v3, v33
.LBB30_472:
	s_or_b64 exec, exec, s[0:1]
	v_cndmask_b32_e64 v33, 0, 1, s[66:67]
	v_cmp_gt_u32_e32 vcc, 2, v0
	v_cmp_ne_u32_e64 s[0:1], 1, v33
	s_waitcnt vmcnt(29)
	ds_write_b32 v127, v4
	s_waitcnt lgkmcnt(0)
	; wave barrier
	s_and_saveexec_b64 s[4:5], vcc
	s_cbranch_execz .LBB30_478
; %bb.473:
	s_and_b64 vcc, exec, s[0:1]
	s_cbranch_vccnz .LBB30_475
; %bb.474:
	v_cmp_eq_u32_e32 vcc, 1, v0
	s_waitcnt vmcnt(6)
	v_cndmask_b32_e32 v33, v2, v3, vcc
	v_cmp_eq_u32_e32 vcc, 2, v0
	v_cndmask_b32_e32 v4, v33, v4, vcc
	v_cmp_eq_u32_e32 vcc, 3, v0
	;; [unrolled: 2-line block ×24, first 2 shown]
	s_waitcnt vmcnt(5)
	v_cndmask_b32_e32 v4, v4, v27, vcc
	v_cmp_eq_u32_e32 vcc, 26, v0
	s_waitcnt vmcnt(4)
	v_cndmask_b32_e32 v4, v4, v28, vcc
	v_cmp_eq_u32_e32 vcc, 27, v0
	ds_read_b32 v33, v127
	s_waitcnt vmcnt(3)
	v_cndmask_b32_e32 v4, v4, v29, vcc
	v_cmp_eq_u32_e32 vcc, 28, v0
	s_waitcnt vmcnt(2)
	v_cndmask_b32_e32 v4, v4, v30, vcc
	v_cmp_eq_u32_e32 vcc, 29, v0
	;; [unrolled: 3-line block ×3, first 2 shown]
	s_waitcnt vmcnt(0)
	v_cndmask_b32_e32 v4, v4, v32, vcc
	s_waitcnt lgkmcnt(0)
	v_mul_f32_e32 v4, v4, v33
	s_cbranch_execz .LBB30_476
	s_branch .LBB30_477
.LBB30_475:
                                        ; implicit-def: $vgpr4
.LBB30_476:
	ds_read_b32 v4, v127
.LBB30_477:
	v_mov_b32_e32 v33, 0
	ds_read2_b32 v[33:34], v33 offset0:2 offset1:33
	s_waitcnt lgkmcnt(0)
	v_fma_f32 v34, v3, v34, v4
	v_cndmask_b32_e64 v4, v4, v34, s[2:3]
	v_mul_f32_e32 v4, v4, v33
.LBB30_478:
	s_or_b64 exec, exec, s[4:5]
	v_add_u32_e32 v35, 1, v0
	v_cmp_gt_u32_e64 s[4:5], 3, v0
	s_waitcnt vmcnt(28)
	ds_write_b32 v127, v5
	s_waitcnt lgkmcnt(0)
	; wave barrier
	s_and_saveexec_b64 s[6:7], s[4:5]
	s_cbranch_execz .LBB30_486
; %bb.479:
	s_and_b64 vcc, exec, s[0:1]
	s_cbranch_vccnz .LBB30_481
; %bb.480:
	v_cmp_eq_u32_e32 vcc, 1, v0
	s_waitcnt vmcnt(6)
	v_cndmask_b32_e32 v33, v2, v3, vcc
	v_cmp_eq_u32_e32 vcc, 2, v0
	v_cndmask_b32_e32 v33, v33, v4, vcc
	v_cmp_eq_u32_e32 vcc, 3, v0
	;; [unrolled: 2-line block ×24, first 2 shown]
	s_waitcnt vmcnt(5)
	v_cndmask_b32_e32 v33, v33, v27, vcc
	v_cmp_eq_u32_e32 vcc, 26, v0
	s_waitcnt vmcnt(4)
	v_cndmask_b32_e32 v33, v33, v28, vcc
	v_cmp_eq_u32_e32 vcc, 27, v0
	ds_read_b32 v34, v127
	s_waitcnt vmcnt(3)
	v_cndmask_b32_e32 v33, v33, v29, vcc
	v_cmp_eq_u32_e32 vcc, 28, v0
	s_waitcnt vmcnt(2)
	v_cndmask_b32_e32 v33, v33, v30, vcc
	v_cmp_eq_u32_e32 vcc, 29, v0
	;; [unrolled: 3-line block ×3, first 2 shown]
	s_waitcnt vmcnt(0)
	v_cndmask_b32_e32 v33, v33, v32, vcc
	s_waitcnt lgkmcnt(0)
	v_mul_f32_e32 v33, v33, v34
	s_cbranch_execz .LBB30_482
	s_branch .LBB30_483
.LBB30_481:
                                        ; implicit-def: $vgpr33
.LBB30_482:
	ds_read_b32 v33, v127
.LBB30_483:
	v_cmp_ne_u32_e32 vcc, 2, v0
	s_and_saveexec_b64 s[8:9], vcc
	s_cbranch_execz .LBB30_485
; %bb.484:
	v_cmp_eq_u32_e32 vcc, 1, v35
	s_waitcnt vmcnt(6)
	v_cndmask_b32_e32 v34, v2, v3, vcc
	v_cmp_eq_u32_e32 vcc, 2, v35
	v_cndmask_b32_e32 v34, v34, v4, vcc
	v_cmp_eq_u32_e32 vcc, 3, v35
	;; [unrolled: 2-line block ×24, first 2 shown]
	s_waitcnt vmcnt(5)
	v_cndmask_b32_e32 v5, v5, v27, vcc
	v_cmp_eq_u32_e32 vcc, 26, v35
	s_waitcnt vmcnt(4)
	v_cndmask_b32_e32 v5, v5, v28, vcc
	v_cmp_eq_u32_e32 vcc, 27, v35
	v_mov_b32_e32 v34, 0
	s_waitcnt vmcnt(3)
	v_cndmask_b32_e32 v5, v5, v29, vcc
	v_cmp_eq_u32_e32 vcc, 28, v35
	ds_read_b32 v36, v127 offset:4
	ds_read_b32 v34, v34 offset:136
	s_waitcnt vmcnt(2)
	v_cndmask_b32_e32 v5, v5, v30, vcc
	v_cmp_eq_u32_e32 vcc, 29, v35
	s_waitcnt vmcnt(1)
	v_cndmask_b32_e32 v5, v5, v31, vcc
	v_cmp_eq_u32_e32 vcc, 30, v35
	s_waitcnt vmcnt(0)
	v_cndmask_b32_e32 v5, v5, v32, vcc
	s_waitcnt lgkmcnt(1)
	v_fmac_f32_e32 v33, v5, v36
	s_waitcnt lgkmcnt(0)
	v_fma_f32 v5, v4, v34, v33
	v_cndmask_b32_e64 v33, v33, v5, s[2:3]
.LBB30_485:
	s_or_b64 exec, exec, s[8:9]
	v_mov_b32_e32 v5, 0
	ds_read_b32 v5, v5 offset:12
	s_waitcnt lgkmcnt(0)
	v_mul_f32_e32 v5, v33, v5
.LBB30_486:
	s_or_b64 exec, exec, s[6:7]
	v_cmp_gt_u32_e32 vcc, 4, v0
	s_waitcnt vmcnt(27)
	ds_write_b32 v127, v6
	s_waitcnt lgkmcnt(0)
	; wave barrier
	s_and_saveexec_b64 s[8:9], vcc
	s_cbranch_execz .LBB30_496
; %bb.487:
	s_and_b64 vcc, exec, s[0:1]
	s_cbranch_vccnz .LBB30_489
; %bb.488:
	v_cmp_eq_u32_e32 vcc, 1, v0
	s_waitcnt vmcnt(6)
	v_cndmask_b32_e32 v33, v2, v3, vcc
	v_cmp_eq_u32_e32 vcc, 2, v0
	v_cndmask_b32_e32 v33, v33, v4, vcc
	v_cmp_eq_u32_e32 vcc, 3, v0
	;; [unrolled: 2-line block ×24, first 2 shown]
	s_waitcnt vmcnt(5)
	v_cndmask_b32_e32 v33, v33, v27, vcc
	v_cmp_eq_u32_e32 vcc, 26, v0
	s_waitcnt vmcnt(4)
	v_cndmask_b32_e32 v33, v33, v28, vcc
	v_cmp_eq_u32_e32 vcc, 27, v0
	ds_read_b32 v34, v127
	s_waitcnt vmcnt(3)
	v_cndmask_b32_e32 v33, v33, v29, vcc
	v_cmp_eq_u32_e32 vcc, 28, v0
	s_waitcnt vmcnt(2)
	v_cndmask_b32_e32 v33, v33, v30, vcc
	v_cmp_eq_u32_e32 vcc, 29, v0
	;; [unrolled: 3-line block ×3, first 2 shown]
	s_waitcnt vmcnt(0)
	v_cndmask_b32_e32 v33, v33, v32, vcc
	s_waitcnt lgkmcnt(0)
	v_mul_f32_e32 v36, v33, v34
	s_cbranch_execz .LBB30_490
	s_branch .LBB30_491
.LBB30_489:
                                        ; implicit-def: $vgpr36
.LBB30_490:
	ds_read_b32 v36, v127
.LBB30_491:
	v_cmp_ne_u32_e32 vcc, 3, v0
	s_and_saveexec_b64 s[10:11], vcc
	s_cbranch_execz .LBB30_495
; %bb.492:
	v_mov_b32_e32 v33, 0x84
	v_lshl_add_u32 v37, v0, 2, v33
	v_mov_b32_e32 v34, v1
	s_mov_b64 s[12:13], 0
	v_mov_b32_e32 v33, v0
.LBB30_493:                             ; =>This Inner Loop Header: Depth=1
	v_add_co_u32_e32 v33, vcc, 1, v33
	v_addc_co_u32_e32 v34, vcc, 0, v34, vcc
	v_cmp_eq_u32_e32 vcc, 1, v33
	s_waitcnt vmcnt(6)
	v_cndmask_b32_e32 v39, v2, v3, vcc
	v_cmp_lt_u32_e32 vcc, 2, v33
	v_cmp_eq_u32_e64 s[6:7], 2, v33
	v_cndmask_b32_e64 v39, v39, v4, s[6:7]
	s_or_b64 s[12:13], vcc, s[12:13]
	v_cmp_eq_u32_e32 vcc, 3, v33
	v_cndmask_b32_e32 v39, v39, v5, vcc
	v_cmp_eq_u32_e32 vcc, 4, v33
	v_cndmask_b32_e32 v39, v39, v6, vcc
	;; [unrolled: 2-line block ×22, first 2 shown]
	v_cmp_eq_u32_e32 vcc, 25, v33
	s_waitcnt vmcnt(5)
	v_cndmask_b32_e32 v39, v39, v27, vcc
	v_cmp_eq_u32_e32 vcc, 26, v33
	ds_read_b32 v38, v37
	s_waitcnt vmcnt(4)
	v_cndmask_b32_e32 v39, v39, v28, vcc
	v_cmp_eq_u32_e32 vcc, 27, v33
	s_waitcnt vmcnt(3)
	v_cndmask_b32_e32 v39, v39, v29, vcc
	v_cmp_eq_u32_e32 vcc, 28, v33
	;; [unrolled: 3-line block ×4, first 2 shown]
	s_waitcnt vmcnt(0)
	v_cndmask_b32_e32 v39, v39, v32, vcc
	v_add_u32_e32 v37, 4, v37
	s_waitcnt lgkmcnt(0)
	v_fmac_f32_e32 v36, v39, v38
	s_andn2_b64 exec, exec, s[12:13]
	s_cbranch_execnz .LBB30_493
; %bb.494:
	s_or_b64 exec, exec, s[12:13]
.LBB30_495:
	s_or_b64 exec, exec, s[10:11]
	v_mov_b32_e32 v6, 0
	ds_read_b32 v6, v6 offset:16
	s_waitcnt lgkmcnt(0)
	v_mul_f32_e32 v6, v36, v6
.LBB30_496:
	s_or_b64 exec, exec, s[8:9]
	v_cmp_gt_u32_e64 s[6:7], 5, v0
	s_waitcnt vmcnt(26)
	ds_write_b32 v127, v7
	s_waitcnt lgkmcnt(0)
	; wave barrier
	s_and_saveexec_b64 s[10:11], s[6:7]
	s_cbranch_execz .LBB30_506
; %bb.497:
	s_and_b64 vcc, exec, s[0:1]
	s_cbranch_vccnz .LBB30_499
; %bb.498:
	v_cmp_eq_u32_e32 vcc, 1, v0
	s_waitcnt vmcnt(6)
	v_cndmask_b32_e32 v33, v2, v3, vcc
	v_cmp_eq_u32_e32 vcc, 2, v0
	v_cndmask_b32_e32 v33, v33, v4, vcc
	v_cmp_eq_u32_e32 vcc, 3, v0
	v_cndmask_b32_e32 v33, v33, v5, vcc
	v_cmp_eq_u32_e32 vcc, 4, v0
	v_cndmask_b32_e32 v33, v33, v6, vcc
	v_cmp_eq_u32_e32 vcc, 5, v0
	v_cndmask_b32_e32 v33, v33, v7, vcc
	v_cmp_eq_u32_e32 vcc, 6, v0
	v_cndmask_b32_e32 v33, v33, v8, vcc
	v_cmp_eq_u32_e32 vcc, 7, v0
	v_cndmask_b32_e32 v33, v33, v9, vcc
	v_cmp_eq_u32_e32 vcc, 8, v0
	v_cndmask_b32_e32 v33, v33, v10, vcc
	v_cmp_eq_u32_e32 vcc, 9, v0
	v_cndmask_b32_e32 v33, v33, v11, vcc
	v_cmp_eq_u32_e32 vcc, 10, v0
	v_cndmask_b32_e32 v33, v33, v12, vcc
	v_cmp_eq_u32_e32 vcc, 11, v0
	v_cndmask_b32_e32 v33, v33, v13, vcc
	v_cmp_eq_u32_e32 vcc, 12, v0
	v_cndmask_b32_e32 v33, v33, v14, vcc
	v_cmp_eq_u32_e32 vcc, 13, v0
	v_cndmask_b32_e32 v33, v33, v15, vcc
	v_cmp_eq_u32_e32 vcc, 14, v0
	v_cndmask_b32_e32 v33, v33, v16, vcc
	v_cmp_eq_u32_e32 vcc, 15, v0
	v_cndmask_b32_e32 v33, v33, v17, vcc
	v_cmp_eq_u32_e32 vcc, 16, v0
	v_cndmask_b32_e32 v33, v33, v18, vcc
	v_cmp_eq_u32_e32 vcc, 17, v0
	v_cndmask_b32_e32 v33, v33, v19, vcc
	v_cmp_eq_u32_e32 vcc, 18, v0
	v_cndmask_b32_e32 v33, v33, v20, vcc
	v_cmp_eq_u32_e32 vcc, 19, v0
	v_cndmask_b32_e32 v33, v33, v21, vcc
	v_cmp_eq_u32_e32 vcc, 20, v0
	v_cndmask_b32_e32 v33, v33, v22, vcc
	v_cmp_eq_u32_e32 vcc, 21, v0
	v_cndmask_b32_e32 v33, v33, v23, vcc
	v_cmp_eq_u32_e32 vcc, 22, v0
	v_cndmask_b32_e32 v33, v33, v24, vcc
	v_cmp_eq_u32_e32 vcc, 23, v0
	v_cndmask_b32_e32 v33, v33, v25, vcc
	v_cmp_eq_u32_e32 vcc, 24, v0
	v_cndmask_b32_e32 v33, v33, v26, vcc
	v_cmp_eq_u32_e32 vcc, 25, v0
	s_waitcnt vmcnt(5)
	v_cndmask_b32_e32 v33, v33, v27, vcc
	v_cmp_eq_u32_e32 vcc, 26, v0
	s_waitcnt vmcnt(4)
	v_cndmask_b32_e32 v33, v33, v28, vcc
	v_cmp_eq_u32_e32 vcc, 27, v0
	ds_read_b32 v34, v127
	s_waitcnt vmcnt(3)
	v_cndmask_b32_e32 v33, v33, v29, vcc
	v_cmp_eq_u32_e32 vcc, 28, v0
	s_waitcnt vmcnt(2)
	v_cndmask_b32_e32 v33, v33, v30, vcc
	v_cmp_eq_u32_e32 vcc, 29, v0
	;; [unrolled: 3-line block ×3, first 2 shown]
	s_waitcnt vmcnt(0)
	v_cndmask_b32_e32 v33, v33, v32, vcc
	s_waitcnt lgkmcnt(0)
	v_mul_f32_e32 v36, v33, v34
	s_cbranch_execz .LBB30_500
	s_branch .LBB30_501
.LBB30_499:
                                        ; implicit-def: $vgpr36
.LBB30_500:
	ds_read_b32 v36, v127
.LBB30_501:
	v_cmp_ne_u32_e32 vcc, 4, v0
	s_and_saveexec_b64 s[12:13], vcc
	s_cbranch_execz .LBB30_505
; %bb.502:
	v_mov_b32_e32 v33, 0x84
	v_lshl_add_u32 v37, v0, 2, v33
	v_mov_b32_e32 v34, v1
	s_mov_b64 s[14:15], 0
	v_mov_b32_e32 v33, v0
.LBB30_503:                             ; =>This Inner Loop Header: Depth=1
	v_add_co_u32_e32 v33, vcc, 1, v33
	v_addc_co_u32_e32 v34, vcc, 0, v34, vcc
	v_cmp_eq_u32_e32 vcc, 1, v33
	s_waitcnt vmcnt(6)
	v_cndmask_b32_e32 v39, v2, v3, vcc
	v_cmp_lt_u32_e32 vcc, 3, v33
	v_cmp_eq_u32_e64 s[8:9], 2, v33
	v_cndmask_b32_e64 v39, v39, v4, s[8:9]
	s_or_b64 s[14:15], vcc, s[14:15]
	v_cmp_eq_u32_e32 vcc, 3, v33
	v_cndmask_b32_e32 v39, v39, v5, vcc
	v_cmp_eq_u32_e32 vcc, 4, v33
	v_cndmask_b32_e32 v39, v39, v6, vcc
	;; [unrolled: 2-line block ×22, first 2 shown]
	v_cmp_eq_u32_e32 vcc, 25, v33
	s_waitcnt vmcnt(5)
	v_cndmask_b32_e32 v39, v39, v27, vcc
	v_cmp_eq_u32_e32 vcc, 26, v33
	ds_read_b32 v38, v37
	s_waitcnt vmcnt(4)
	v_cndmask_b32_e32 v39, v39, v28, vcc
	v_cmp_eq_u32_e32 vcc, 27, v33
	s_waitcnt vmcnt(3)
	v_cndmask_b32_e32 v39, v39, v29, vcc
	v_cmp_eq_u32_e32 vcc, 28, v33
	;; [unrolled: 3-line block ×4, first 2 shown]
	s_waitcnt vmcnt(0)
	v_cndmask_b32_e32 v39, v39, v32, vcc
	v_add_u32_e32 v37, 4, v37
	s_waitcnt lgkmcnt(0)
	v_fmac_f32_e32 v36, v39, v38
	s_andn2_b64 exec, exec, s[14:15]
	s_cbranch_execnz .LBB30_503
; %bb.504:
	s_or_b64 exec, exec, s[14:15]
.LBB30_505:
	s_or_b64 exec, exec, s[12:13]
	v_mov_b32_e32 v7, 0
	ds_read_b32 v7, v7 offset:20
	s_waitcnt lgkmcnt(0)
	v_mul_f32_e32 v7, v36, v7
.LBB30_506:
	s_or_b64 exec, exec, s[10:11]
	v_cmp_gt_u32_e32 vcc, 6, v0
	s_waitcnt vmcnt(25)
	ds_write_b32 v127, v8
	s_waitcnt lgkmcnt(0)
	; wave barrier
	s_and_saveexec_b64 s[10:11], vcc
	s_cbranch_execz .LBB30_516
; %bb.507:
	s_and_b64 vcc, exec, s[0:1]
	s_cbranch_vccnz .LBB30_509
; %bb.508:
	v_cmp_eq_u32_e32 vcc, 1, v0
	s_waitcnt vmcnt(6)
	v_cndmask_b32_e32 v33, v2, v3, vcc
	v_cmp_eq_u32_e32 vcc, 2, v0
	v_cndmask_b32_e32 v33, v33, v4, vcc
	v_cmp_eq_u32_e32 vcc, 3, v0
	;; [unrolled: 2-line block ×24, first 2 shown]
	s_waitcnt vmcnt(5)
	v_cndmask_b32_e32 v33, v33, v27, vcc
	v_cmp_eq_u32_e32 vcc, 26, v0
	s_waitcnt vmcnt(4)
	v_cndmask_b32_e32 v33, v33, v28, vcc
	v_cmp_eq_u32_e32 vcc, 27, v0
	ds_read_b32 v34, v127
	s_waitcnt vmcnt(3)
	v_cndmask_b32_e32 v33, v33, v29, vcc
	v_cmp_eq_u32_e32 vcc, 28, v0
	s_waitcnt vmcnt(2)
	v_cndmask_b32_e32 v33, v33, v30, vcc
	v_cmp_eq_u32_e32 vcc, 29, v0
	;; [unrolled: 3-line block ×3, first 2 shown]
	s_waitcnt vmcnt(0)
	v_cndmask_b32_e32 v33, v33, v32, vcc
	s_waitcnt lgkmcnt(0)
	v_mul_f32_e32 v36, v33, v34
	s_cbranch_execz .LBB30_510
	s_branch .LBB30_511
.LBB30_509:
                                        ; implicit-def: $vgpr36
.LBB30_510:
	ds_read_b32 v36, v127
.LBB30_511:
	v_cmp_ne_u32_e32 vcc, 5, v0
	s_and_saveexec_b64 s[12:13], vcc
	s_cbranch_execz .LBB30_515
; %bb.512:
	v_mov_b32_e32 v33, 0x84
	v_lshl_add_u32 v37, v0, 2, v33
	v_mov_b32_e32 v34, v1
	s_mov_b64 s[14:15], 0
	v_mov_b32_e32 v33, v0
.LBB30_513:                             ; =>This Inner Loop Header: Depth=1
	v_add_co_u32_e32 v33, vcc, 1, v33
	v_addc_co_u32_e32 v34, vcc, 0, v34, vcc
	v_cmp_eq_u32_e32 vcc, 1, v33
	s_waitcnt vmcnt(6)
	v_cndmask_b32_e32 v39, v2, v3, vcc
	v_cmp_lt_u32_e32 vcc, 4, v33
	v_cmp_eq_u32_e64 s[8:9], 2, v33
	v_cndmask_b32_e64 v39, v39, v4, s[8:9]
	s_or_b64 s[14:15], vcc, s[14:15]
	v_cmp_eq_u32_e32 vcc, 3, v33
	v_cndmask_b32_e32 v39, v39, v5, vcc
	v_cmp_eq_u32_e32 vcc, 4, v33
	v_cndmask_b32_e32 v39, v39, v6, vcc
	;; [unrolled: 2-line block ×22, first 2 shown]
	v_cmp_eq_u32_e32 vcc, 25, v33
	s_waitcnt vmcnt(5)
	v_cndmask_b32_e32 v39, v39, v27, vcc
	v_cmp_eq_u32_e32 vcc, 26, v33
	ds_read_b32 v38, v37
	s_waitcnt vmcnt(4)
	v_cndmask_b32_e32 v39, v39, v28, vcc
	v_cmp_eq_u32_e32 vcc, 27, v33
	s_waitcnt vmcnt(3)
	v_cndmask_b32_e32 v39, v39, v29, vcc
	v_cmp_eq_u32_e32 vcc, 28, v33
	;; [unrolled: 3-line block ×4, first 2 shown]
	s_waitcnt vmcnt(0)
	v_cndmask_b32_e32 v39, v39, v32, vcc
	v_add_u32_e32 v37, 4, v37
	s_waitcnt lgkmcnt(0)
	v_fmac_f32_e32 v36, v39, v38
	s_andn2_b64 exec, exec, s[14:15]
	s_cbranch_execnz .LBB30_513
; %bb.514:
	s_or_b64 exec, exec, s[14:15]
.LBB30_515:
	s_or_b64 exec, exec, s[12:13]
	v_mov_b32_e32 v8, 0
	ds_read_b32 v8, v8 offset:24
	s_waitcnt lgkmcnt(0)
	v_mul_f32_e32 v8, v36, v8
.LBB30_516:
	s_or_b64 exec, exec, s[10:11]
	v_cmp_gt_u32_e64 s[8:9], 7, v0
	s_waitcnt vmcnt(24)
	ds_write_b32 v127, v9
	s_waitcnt lgkmcnt(0)
	; wave barrier
	s_and_saveexec_b64 s[12:13], s[8:9]
	s_cbranch_execz .LBB30_526
; %bb.517:
	s_and_b64 vcc, exec, s[0:1]
	s_cbranch_vccnz .LBB30_519
; %bb.518:
	v_cmp_eq_u32_e32 vcc, 1, v0
	s_waitcnt vmcnt(6)
	v_cndmask_b32_e32 v33, v2, v3, vcc
	v_cmp_eq_u32_e32 vcc, 2, v0
	v_cndmask_b32_e32 v33, v33, v4, vcc
	v_cmp_eq_u32_e32 vcc, 3, v0
	;; [unrolled: 2-line block ×24, first 2 shown]
	s_waitcnt vmcnt(5)
	v_cndmask_b32_e32 v33, v33, v27, vcc
	v_cmp_eq_u32_e32 vcc, 26, v0
	s_waitcnt vmcnt(4)
	v_cndmask_b32_e32 v33, v33, v28, vcc
	v_cmp_eq_u32_e32 vcc, 27, v0
	ds_read_b32 v34, v127
	s_waitcnt vmcnt(3)
	v_cndmask_b32_e32 v33, v33, v29, vcc
	v_cmp_eq_u32_e32 vcc, 28, v0
	s_waitcnt vmcnt(2)
	v_cndmask_b32_e32 v33, v33, v30, vcc
	v_cmp_eq_u32_e32 vcc, 29, v0
	;; [unrolled: 3-line block ×3, first 2 shown]
	s_waitcnt vmcnt(0)
	v_cndmask_b32_e32 v33, v33, v32, vcc
	s_waitcnt lgkmcnt(0)
	v_mul_f32_e32 v36, v33, v34
	s_cbranch_execz .LBB30_520
	s_branch .LBB30_521
.LBB30_519:
                                        ; implicit-def: $vgpr36
.LBB30_520:
	ds_read_b32 v36, v127
.LBB30_521:
	v_cmp_ne_u32_e32 vcc, 6, v0
	s_and_saveexec_b64 s[14:15], vcc
	s_cbranch_execz .LBB30_525
; %bb.522:
	v_mov_b32_e32 v33, 0x84
	v_lshl_add_u32 v37, v0, 2, v33
	v_mov_b32_e32 v34, v1
	s_mov_b64 s[16:17], 0
	v_mov_b32_e32 v33, v0
.LBB30_523:                             ; =>This Inner Loop Header: Depth=1
	v_add_co_u32_e32 v33, vcc, 1, v33
	v_addc_co_u32_e32 v34, vcc, 0, v34, vcc
	v_cmp_eq_u32_e32 vcc, 1, v33
	s_waitcnt vmcnt(6)
	v_cndmask_b32_e32 v39, v2, v3, vcc
	v_cmp_lt_u32_e32 vcc, 5, v33
	v_cmp_eq_u32_e64 s[10:11], 2, v33
	v_cndmask_b32_e64 v39, v39, v4, s[10:11]
	s_or_b64 s[16:17], vcc, s[16:17]
	v_cmp_eq_u32_e32 vcc, 3, v33
	v_cndmask_b32_e32 v39, v39, v5, vcc
	v_cmp_eq_u32_e32 vcc, 4, v33
	v_cndmask_b32_e32 v39, v39, v6, vcc
	;; [unrolled: 2-line block ×22, first 2 shown]
	v_cmp_eq_u32_e32 vcc, 25, v33
	s_waitcnt vmcnt(5)
	v_cndmask_b32_e32 v39, v39, v27, vcc
	v_cmp_eq_u32_e32 vcc, 26, v33
	ds_read_b32 v38, v37
	s_waitcnt vmcnt(4)
	v_cndmask_b32_e32 v39, v39, v28, vcc
	v_cmp_eq_u32_e32 vcc, 27, v33
	s_waitcnt vmcnt(3)
	v_cndmask_b32_e32 v39, v39, v29, vcc
	v_cmp_eq_u32_e32 vcc, 28, v33
	;; [unrolled: 3-line block ×4, first 2 shown]
	s_waitcnt vmcnt(0)
	v_cndmask_b32_e32 v39, v39, v32, vcc
	v_add_u32_e32 v37, 4, v37
	s_waitcnt lgkmcnt(0)
	v_fmac_f32_e32 v36, v39, v38
	s_andn2_b64 exec, exec, s[16:17]
	s_cbranch_execnz .LBB30_523
; %bb.524:
	s_or_b64 exec, exec, s[16:17]
.LBB30_525:
	s_or_b64 exec, exec, s[14:15]
	v_mov_b32_e32 v9, 0
	ds_read_b32 v9, v9 offset:28
	s_waitcnt lgkmcnt(0)
	v_mul_f32_e32 v9, v36, v9
.LBB30_526:
	s_or_b64 exec, exec, s[12:13]
	v_cmp_gt_u32_e32 vcc, 8, v0
	s_waitcnt vmcnt(23)
	ds_write_b32 v127, v10
	s_waitcnt lgkmcnt(0)
	; wave barrier
	s_and_saveexec_b64 s[12:13], vcc
	s_cbranch_execz .LBB30_536
; %bb.527:
	s_and_b64 vcc, exec, s[0:1]
	s_cbranch_vccnz .LBB30_529
; %bb.528:
	v_cmp_eq_u32_e32 vcc, 1, v0
	s_waitcnt vmcnt(6)
	v_cndmask_b32_e32 v33, v2, v3, vcc
	v_cmp_eq_u32_e32 vcc, 2, v0
	v_cndmask_b32_e32 v33, v33, v4, vcc
	v_cmp_eq_u32_e32 vcc, 3, v0
	;; [unrolled: 2-line block ×24, first 2 shown]
	s_waitcnt vmcnt(5)
	v_cndmask_b32_e32 v33, v33, v27, vcc
	v_cmp_eq_u32_e32 vcc, 26, v0
	s_waitcnt vmcnt(4)
	v_cndmask_b32_e32 v33, v33, v28, vcc
	v_cmp_eq_u32_e32 vcc, 27, v0
	ds_read_b32 v34, v127
	s_waitcnt vmcnt(3)
	v_cndmask_b32_e32 v33, v33, v29, vcc
	v_cmp_eq_u32_e32 vcc, 28, v0
	s_waitcnt vmcnt(2)
	v_cndmask_b32_e32 v33, v33, v30, vcc
	v_cmp_eq_u32_e32 vcc, 29, v0
	s_waitcnt vmcnt(1)
	v_cndmask_b32_e32 v33, v33, v31, vcc
	v_cmp_eq_u32_e32 vcc, 30, v0
	s_waitcnt vmcnt(0)
	v_cndmask_b32_e32 v33, v33, v32, vcc
	s_waitcnt lgkmcnt(0)
	v_mul_f32_e32 v36, v33, v34
	s_cbranch_execz .LBB30_530
	s_branch .LBB30_531
.LBB30_529:
                                        ; implicit-def: $vgpr36
.LBB30_530:
	ds_read_b32 v36, v127
.LBB30_531:
	v_cmp_ne_u32_e32 vcc, 7, v0
	s_and_saveexec_b64 s[14:15], vcc
	s_cbranch_execz .LBB30_535
; %bb.532:
	v_mov_b32_e32 v33, 0x84
	v_lshl_add_u32 v37, v0, 2, v33
	v_mov_b32_e32 v34, v1
	s_mov_b64 s[16:17], 0
	v_mov_b32_e32 v33, v0
.LBB30_533:                             ; =>This Inner Loop Header: Depth=1
	v_add_co_u32_e32 v33, vcc, 1, v33
	v_addc_co_u32_e32 v34, vcc, 0, v34, vcc
	v_cmp_eq_u32_e32 vcc, 1, v33
	s_waitcnt vmcnt(6)
	v_cndmask_b32_e32 v39, v2, v3, vcc
	v_cmp_lt_u32_e32 vcc, 6, v33
	v_cmp_eq_u32_e64 s[10:11], 2, v33
	v_cndmask_b32_e64 v39, v39, v4, s[10:11]
	s_or_b64 s[16:17], vcc, s[16:17]
	v_cmp_eq_u32_e32 vcc, 3, v33
	v_cndmask_b32_e32 v39, v39, v5, vcc
	v_cmp_eq_u32_e32 vcc, 4, v33
	v_cndmask_b32_e32 v39, v39, v6, vcc
	;; [unrolled: 2-line block ×22, first 2 shown]
	v_cmp_eq_u32_e32 vcc, 25, v33
	s_waitcnt vmcnt(5)
	v_cndmask_b32_e32 v39, v39, v27, vcc
	v_cmp_eq_u32_e32 vcc, 26, v33
	ds_read_b32 v38, v37
	s_waitcnt vmcnt(4)
	v_cndmask_b32_e32 v39, v39, v28, vcc
	v_cmp_eq_u32_e32 vcc, 27, v33
	s_waitcnt vmcnt(3)
	v_cndmask_b32_e32 v39, v39, v29, vcc
	v_cmp_eq_u32_e32 vcc, 28, v33
	;; [unrolled: 3-line block ×4, first 2 shown]
	s_waitcnt vmcnt(0)
	v_cndmask_b32_e32 v39, v39, v32, vcc
	v_add_u32_e32 v37, 4, v37
	s_waitcnt lgkmcnt(0)
	v_fmac_f32_e32 v36, v39, v38
	s_andn2_b64 exec, exec, s[16:17]
	s_cbranch_execnz .LBB30_533
; %bb.534:
	s_or_b64 exec, exec, s[16:17]
.LBB30_535:
	s_or_b64 exec, exec, s[14:15]
	v_mov_b32_e32 v10, 0
	ds_read_b32 v10, v10 offset:32
	s_waitcnt lgkmcnt(0)
	v_mul_f32_e32 v10, v36, v10
.LBB30_536:
	s_or_b64 exec, exec, s[12:13]
	v_cmp_gt_u32_e32 vcc, 9, v0
	s_waitcnt vmcnt(22)
	ds_write_b32 v127, v11
	s_waitcnt lgkmcnt(0)
	; wave barrier
	s_and_saveexec_b64 s[10:11], vcc
	s_cbranch_execz .LBB30_558
; %bb.537:
	s_and_b64 vcc, exec, s[0:1]
	s_cbranch_vccnz .LBB30_539
; %bb.538:
	v_cmp_eq_u32_e32 vcc, 1, v0
	s_waitcnt vmcnt(6)
	v_cndmask_b32_e32 v33, v2, v3, vcc
	v_cmp_eq_u32_e32 vcc, 2, v0
	v_cndmask_b32_e32 v33, v33, v4, vcc
	v_cmp_eq_u32_e32 vcc, 3, v0
	;; [unrolled: 2-line block ×24, first 2 shown]
	s_waitcnt vmcnt(5)
	v_cndmask_b32_e32 v33, v33, v27, vcc
	v_cmp_eq_u32_e32 vcc, 26, v0
	s_waitcnt vmcnt(4)
	v_cndmask_b32_e32 v33, v33, v28, vcc
	v_cmp_eq_u32_e32 vcc, 27, v0
	ds_read_b32 v34, v127
	s_waitcnt vmcnt(3)
	v_cndmask_b32_e32 v33, v33, v29, vcc
	v_cmp_eq_u32_e32 vcc, 28, v0
	s_waitcnt vmcnt(2)
	v_cndmask_b32_e32 v33, v33, v30, vcc
	v_cmp_eq_u32_e32 vcc, 29, v0
	;; [unrolled: 3-line block ×3, first 2 shown]
	s_waitcnt vmcnt(0)
	v_cndmask_b32_e32 v33, v33, v32, vcc
	s_waitcnt lgkmcnt(0)
	v_mul_f32_e32 v33, v33, v34
	s_cbranch_execz .LBB30_540
	s_branch .LBB30_541
.LBB30_539:
                                        ; implicit-def: $vgpr33
.LBB30_540:
	ds_read_b32 v33, v127
.LBB30_541:
	v_cmp_ne_u32_e32 vcc, 8, v0
	s_and_saveexec_b64 s[12:13], vcc
	s_cbranch_execz .LBB30_557
; %bb.542:
	v_cmp_eq_u32_e32 vcc, 1, v35
	s_waitcnt vmcnt(6)
	v_cndmask_b32_e32 v34, v2, v3, vcc
	v_cmp_eq_u32_e32 vcc, 2, v35
	v_cndmask_b32_e32 v34, v34, v4, vcc
	v_cmp_eq_u32_e32 vcc, 3, v35
	;; [unrolled: 2-line block ×24, first 2 shown]
	s_waitcnt vmcnt(5)
	v_cndmask_b32_e32 v34, v34, v27, vcc
	v_cmp_eq_u32_e32 vcc, 26, v35
	s_waitcnt vmcnt(4)
	v_cndmask_b32_e32 v34, v34, v28, vcc
	v_cmp_eq_u32_e32 vcc, 27, v35
	ds_read_b32 v36, v127 offset:4
	s_waitcnt vmcnt(3)
	v_cndmask_b32_e32 v34, v34, v29, vcc
	v_cmp_eq_u32_e32 vcc, 28, v35
	s_waitcnt vmcnt(2)
	v_cndmask_b32_e32 v34, v34, v30, vcc
	v_cmp_eq_u32_e32 vcc, 29, v35
	;; [unrolled: 3-line block ×3, first 2 shown]
	s_waitcnt vmcnt(0)
	v_cndmask_b32_e32 v34, v34, v32, vcc
	s_waitcnt lgkmcnt(0)
	v_fmac_f32_e32 v33, v34, v36
	s_and_saveexec_b64 s[14:15], s[8:9]
	s_cbranch_execz .LBB30_556
; %bb.543:
	v_add_u32_e32 v34, 2, v0
	v_cmp_eq_u32_e32 vcc, 1, v34
	v_cndmask_b32_e32 v35, v2, v3, vcc
	v_cmp_eq_u32_e32 vcc, 2, v34
	v_cndmask_b32_e32 v35, v35, v4, vcc
	;; [unrolled: 2-line block ×26, first 2 shown]
	v_cmp_eq_u32_e32 vcc, 27, v34
	ds_read_b32 v36, v127 offset:8
	v_cndmask_b32_e32 v35, v35, v29, vcc
	v_cmp_eq_u32_e32 vcc, 28, v34
	v_cndmask_b32_e32 v35, v35, v30, vcc
	v_cmp_eq_u32_e32 vcc, 29, v34
	;; [unrolled: 2-line block ×3, first 2 shown]
	v_cndmask_b32_e32 v34, v35, v32, vcc
	s_waitcnt lgkmcnt(0)
	v_fmac_f32_e32 v33, v34, v36
	v_cmp_ne_u32_e32 vcc, 6, v0
	s_and_saveexec_b64 s[8:9], vcc
	s_cbranch_execz .LBB30_555
; %bb.544:
	v_add_u32_e32 v34, 3, v0
	v_cmp_eq_u32_e32 vcc, 1, v34
	v_cndmask_b32_e32 v35, v2, v3, vcc
	v_cmp_eq_u32_e32 vcc, 2, v34
	v_cndmask_b32_e32 v35, v35, v4, vcc
	;; [unrolled: 2-line block ×26, first 2 shown]
	v_cmp_eq_u32_e32 vcc, 27, v34
	ds_read_b32 v36, v127 offset:12
	v_cndmask_b32_e32 v35, v35, v29, vcc
	v_cmp_eq_u32_e32 vcc, 28, v34
	v_cndmask_b32_e32 v35, v35, v30, vcc
	v_cmp_eq_u32_e32 vcc, 29, v34
	;; [unrolled: 2-line block ×3, first 2 shown]
	v_cndmask_b32_e32 v34, v35, v32, vcc
	s_waitcnt lgkmcnt(0)
	v_fmac_f32_e32 v33, v34, v36
	s_and_saveexec_b64 s[16:17], s[6:7]
	s_cbranch_execz .LBB30_554
; %bb.545:
	v_add_u32_e32 v34, 4, v0
	v_cmp_eq_u32_e32 vcc, 1, v34
	v_cndmask_b32_e32 v35, v2, v3, vcc
	v_cmp_eq_u32_e32 vcc, 2, v34
	v_cndmask_b32_e32 v35, v35, v4, vcc
	;; [unrolled: 2-line block ×26, first 2 shown]
	v_cmp_eq_u32_e32 vcc, 27, v34
	ds_read_b32 v36, v127 offset:16
	v_cndmask_b32_e32 v35, v35, v29, vcc
	v_cmp_eq_u32_e32 vcc, 28, v34
	v_cndmask_b32_e32 v35, v35, v30, vcc
	v_cmp_eq_u32_e32 vcc, 29, v34
	;; [unrolled: 2-line block ×3, first 2 shown]
	v_cndmask_b32_e32 v34, v35, v32, vcc
	s_waitcnt lgkmcnt(0)
	v_fmac_f32_e32 v33, v34, v36
	v_cmp_ne_u32_e32 vcc, 4, v0
	s_and_saveexec_b64 s[6:7], vcc
	s_cbranch_execz .LBB30_553
; %bb.546:
	v_add_u32_e32 v34, 5, v0
	v_cmp_eq_u32_e32 vcc, 1, v34
	v_cndmask_b32_e32 v35, v2, v3, vcc
	v_cmp_eq_u32_e32 vcc, 2, v34
	v_cndmask_b32_e32 v35, v35, v4, vcc
	;; [unrolled: 2-line block ×26, first 2 shown]
	v_cmp_eq_u32_e32 vcc, 27, v34
	ds_read_b32 v36, v127 offset:20
	v_cndmask_b32_e32 v35, v35, v29, vcc
	v_cmp_eq_u32_e32 vcc, 28, v34
	v_cndmask_b32_e32 v35, v35, v30, vcc
	v_cmp_eq_u32_e32 vcc, 29, v34
	v_cndmask_b32_e32 v35, v35, v31, vcc
	v_cmp_eq_u32_e32 vcc, 30, v34
	v_cndmask_b32_e32 v34, v35, v32, vcc
	s_waitcnt lgkmcnt(0)
	v_fmac_f32_e32 v33, v34, v36
	s_and_saveexec_b64 s[18:19], s[4:5]
	s_cbranch_execz .LBB30_552
; %bb.547:
	v_add_u32_e32 v34, 6, v0
	v_cmp_eq_u32_e32 vcc, 1, v34
	v_cndmask_b32_e32 v35, v2, v3, vcc
	v_cmp_eq_u32_e32 vcc, 2, v34
	v_cndmask_b32_e32 v35, v35, v4, vcc
	;; [unrolled: 2-line block ×26, first 2 shown]
	v_cmp_eq_u32_e32 vcc, 27, v34
	ds_read_b32 v36, v127 offset:24
	v_cndmask_b32_e32 v35, v35, v29, vcc
	v_cmp_eq_u32_e32 vcc, 28, v34
	v_cndmask_b32_e32 v35, v35, v30, vcc
	v_cmp_eq_u32_e32 vcc, 29, v34
	v_cndmask_b32_e32 v35, v35, v31, vcc
	v_cmp_eq_u32_e32 vcc, 30, v34
	v_cndmask_b32_e32 v34, v35, v32, vcc
	s_waitcnt lgkmcnt(0)
	v_fmac_f32_e32 v33, v34, v36
	v_cmp_ne_u32_e32 vcc, 2, v0
	s_and_saveexec_b64 s[4:5], vcc
	s_cbranch_execz .LBB30_551
; %bb.548:
	v_add_u32_e32 v34, 7, v0
	v_cmp_eq_u32_e32 vcc, 1, v34
	v_cndmask_b32_e32 v35, v2, v3, vcc
	v_cmp_eq_u32_e32 vcc, 2, v34
	v_cndmask_b32_e32 v35, v35, v4, vcc
	;; [unrolled: 2-line block ×26, first 2 shown]
	v_cmp_eq_u32_e32 vcc, 27, v34
	ds_read_b32 v35, v127 offset:28
	v_cndmask_b32_e32 v11, v11, v29, vcc
	v_cmp_eq_u32_e32 vcc, 28, v34
	v_cndmask_b32_e32 v11, v11, v30, vcc
	v_cmp_eq_u32_e32 vcc, 29, v34
	;; [unrolled: 2-line block ×3, first 2 shown]
	v_cndmask_b32_e32 v11, v11, v32, vcc
	s_waitcnt lgkmcnt(0)
	v_fmac_f32_e32 v33, v11, v35
	s_and_saveexec_b64 s[20:21], s[2:3]
	s_cbranch_execz .LBB30_550
; %bb.549:
	ds_read_b32 v11, v127 offset:32
	s_waitcnt lgkmcnt(0)
	v_fmac_f32_e32 v33, v10, v11
.LBB30_550:
	s_or_b64 exec, exec, s[20:21]
.LBB30_551:
	s_or_b64 exec, exec, s[4:5]
.LBB30_552:
	s_or_b64 exec, exec, s[18:19]
.LBB30_553:
	s_or_b64 exec, exec, s[6:7]
.LBB30_554:
	s_or_b64 exec, exec, s[16:17]
.LBB30_555:
	s_or_b64 exec, exec, s[8:9]
.LBB30_556:
	s_or_b64 exec, exec, s[14:15]
.LBB30_557:
	s_or_b64 exec, exec, s[12:13]
	v_mov_b32_e32 v11, 0
	ds_read_b32 v11, v11 offset:36
	s_waitcnt lgkmcnt(0)
	v_mul_f32_e32 v11, v33, v11
.LBB30_558:
	s_or_b64 exec, exec, s[10:11]
	v_cmp_gt_u32_e32 vcc, 10, v0
	s_waitcnt vmcnt(21)
	ds_write_b32 v127, v12
	s_waitcnt lgkmcnt(0)
	; wave barrier
	s_and_saveexec_b64 s[4:5], vcc
	s_cbranch_execz .LBB30_568
; %bb.559:
	s_and_b64 vcc, exec, s[0:1]
	s_cbranch_vccnz .LBB30_561
; %bb.560:
	v_cmp_eq_u32_e32 vcc, 1, v0
	s_waitcnt vmcnt(6)
	v_cndmask_b32_e32 v33, v2, v3, vcc
	v_cmp_eq_u32_e32 vcc, 2, v0
	v_cndmask_b32_e32 v33, v33, v4, vcc
	v_cmp_eq_u32_e32 vcc, 3, v0
	;; [unrolled: 2-line block ×24, first 2 shown]
	s_waitcnt vmcnt(5)
	v_cndmask_b32_e32 v33, v33, v27, vcc
	v_cmp_eq_u32_e32 vcc, 26, v0
	s_waitcnt vmcnt(4)
	v_cndmask_b32_e32 v33, v33, v28, vcc
	v_cmp_eq_u32_e32 vcc, 27, v0
	ds_read_b32 v34, v127
	s_waitcnt vmcnt(3)
	v_cndmask_b32_e32 v33, v33, v29, vcc
	v_cmp_eq_u32_e32 vcc, 28, v0
	s_waitcnt vmcnt(2)
	v_cndmask_b32_e32 v33, v33, v30, vcc
	v_cmp_eq_u32_e32 vcc, 29, v0
	;; [unrolled: 3-line block ×3, first 2 shown]
	s_waitcnt vmcnt(0)
	v_cndmask_b32_e32 v33, v33, v32, vcc
	s_waitcnt lgkmcnt(0)
	v_mul_f32_e32 v35, v33, v34
	s_cbranch_execz .LBB30_562
	s_branch .LBB30_563
.LBB30_561:
                                        ; implicit-def: $vgpr35
.LBB30_562:
	ds_read_b32 v35, v127
.LBB30_563:
	v_cmp_ne_u32_e32 vcc, 9, v0
	s_and_saveexec_b64 s[6:7], vcc
	s_cbranch_execz .LBB30_567
; %bb.564:
	v_mov_b32_e32 v33, 0x84
	v_lshl_add_u32 v36, v0, 2, v33
	v_mov_b32_e32 v34, v1
	s_mov_b64 s[8:9], 0
	v_mov_b32_e32 v33, v0
.LBB30_565:                             ; =>This Inner Loop Header: Depth=1
	v_add_co_u32_e32 v33, vcc, 1, v33
	v_addc_co_u32_e32 v34, vcc, 0, v34, vcc
	v_cmp_eq_u32_e32 vcc, 1, v33
	s_waitcnt vmcnt(6)
	v_cndmask_b32_e32 v38, v2, v3, vcc
	v_cmp_lt_u32_e32 vcc, 8, v33
	v_cmp_eq_u32_e64 s[2:3], 2, v33
	v_cndmask_b32_e64 v38, v38, v4, s[2:3]
	s_or_b64 s[8:9], vcc, s[8:9]
	v_cmp_eq_u32_e32 vcc, 3, v33
	v_cndmask_b32_e32 v38, v38, v5, vcc
	v_cmp_eq_u32_e32 vcc, 4, v33
	v_cndmask_b32_e32 v38, v38, v6, vcc
	;; [unrolled: 2-line block ×22, first 2 shown]
	v_cmp_eq_u32_e32 vcc, 25, v33
	s_waitcnt vmcnt(5)
	v_cndmask_b32_e32 v38, v38, v27, vcc
	v_cmp_eq_u32_e32 vcc, 26, v33
	ds_read_b32 v37, v36
	s_waitcnt vmcnt(4)
	v_cndmask_b32_e32 v38, v38, v28, vcc
	v_cmp_eq_u32_e32 vcc, 27, v33
	s_waitcnt vmcnt(3)
	v_cndmask_b32_e32 v38, v38, v29, vcc
	v_cmp_eq_u32_e32 vcc, 28, v33
	;; [unrolled: 3-line block ×4, first 2 shown]
	s_waitcnt vmcnt(0)
	v_cndmask_b32_e32 v38, v38, v32, vcc
	v_add_u32_e32 v36, 4, v36
	s_waitcnt lgkmcnt(0)
	v_fmac_f32_e32 v35, v38, v37
	s_andn2_b64 exec, exec, s[8:9]
	s_cbranch_execnz .LBB30_565
; %bb.566:
	s_or_b64 exec, exec, s[8:9]
.LBB30_567:
	s_or_b64 exec, exec, s[6:7]
	v_mov_b32_e32 v12, 0
	ds_read_b32 v12, v12 offset:40
	s_waitcnt lgkmcnt(0)
	v_mul_f32_e32 v12, v35, v12
.LBB30_568:
	s_or_b64 exec, exec, s[4:5]
	v_cmp_gt_u32_e32 vcc, 11, v0
	s_waitcnt vmcnt(20)
	ds_write_b32 v127, v13
	s_waitcnt lgkmcnt(0)
	; wave barrier
	s_and_saveexec_b64 s[4:5], vcc
	s_cbranch_execz .LBB30_578
; %bb.569:
	s_and_b64 vcc, exec, s[0:1]
	s_cbranch_vccnz .LBB30_571
; %bb.570:
	v_cmp_eq_u32_e32 vcc, 1, v0
	s_waitcnt vmcnt(6)
	v_cndmask_b32_e32 v33, v2, v3, vcc
	v_cmp_eq_u32_e32 vcc, 2, v0
	v_cndmask_b32_e32 v33, v33, v4, vcc
	v_cmp_eq_u32_e32 vcc, 3, v0
	;; [unrolled: 2-line block ×24, first 2 shown]
	s_waitcnt vmcnt(5)
	v_cndmask_b32_e32 v33, v33, v27, vcc
	v_cmp_eq_u32_e32 vcc, 26, v0
	s_waitcnt vmcnt(4)
	v_cndmask_b32_e32 v33, v33, v28, vcc
	v_cmp_eq_u32_e32 vcc, 27, v0
	ds_read_b32 v34, v127
	s_waitcnt vmcnt(3)
	v_cndmask_b32_e32 v33, v33, v29, vcc
	v_cmp_eq_u32_e32 vcc, 28, v0
	s_waitcnt vmcnt(2)
	v_cndmask_b32_e32 v33, v33, v30, vcc
	v_cmp_eq_u32_e32 vcc, 29, v0
	;; [unrolled: 3-line block ×3, first 2 shown]
	s_waitcnt vmcnt(0)
	v_cndmask_b32_e32 v33, v33, v32, vcc
	s_waitcnt lgkmcnt(0)
	v_mul_f32_e32 v35, v33, v34
	s_cbranch_execz .LBB30_572
	s_branch .LBB30_573
.LBB30_571:
                                        ; implicit-def: $vgpr35
.LBB30_572:
	ds_read_b32 v35, v127
.LBB30_573:
	v_cmp_ne_u32_e32 vcc, 10, v0
	s_and_saveexec_b64 s[6:7], vcc
	s_cbranch_execz .LBB30_577
; %bb.574:
	v_mov_b32_e32 v33, 0x84
	v_lshl_add_u32 v36, v0, 2, v33
	v_mov_b32_e32 v34, v1
	s_mov_b64 s[8:9], 0
	v_mov_b32_e32 v33, v0
.LBB30_575:                             ; =>This Inner Loop Header: Depth=1
	v_add_co_u32_e32 v33, vcc, 1, v33
	v_addc_co_u32_e32 v34, vcc, 0, v34, vcc
	v_cmp_eq_u32_e32 vcc, 1, v33
	s_waitcnt vmcnt(6)
	v_cndmask_b32_e32 v38, v2, v3, vcc
	v_cmp_lt_u32_e32 vcc, 9, v33
	v_cmp_eq_u32_e64 s[2:3], 2, v33
	v_cndmask_b32_e64 v38, v38, v4, s[2:3]
	s_or_b64 s[8:9], vcc, s[8:9]
	v_cmp_eq_u32_e32 vcc, 3, v33
	v_cndmask_b32_e32 v38, v38, v5, vcc
	v_cmp_eq_u32_e32 vcc, 4, v33
	v_cndmask_b32_e32 v38, v38, v6, vcc
	;; [unrolled: 2-line block ×22, first 2 shown]
	v_cmp_eq_u32_e32 vcc, 25, v33
	s_waitcnt vmcnt(5)
	v_cndmask_b32_e32 v38, v38, v27, vcc
	v_cmp_eq_u32_e32 vcc, 26, v33
	ds_read_b32 v37, v36
	s_waitcnt vmcnt(4)
	v_cndmask_b32_e32 v38, v38, v28, vcc
	v_cmp_eq_u32_e32 vcc, 27, v33
	s_waitcnt vmcnt(3)
	v_cndmask_b32_e32 v38, v38, v29, vcc
	v_cmp_eq_u32_e32 vcc, 28, v33
	;; [unrolled: 3-line block ×4, first 2 shown]
	s_waitcnt vmcnt(0)
	v_cndmask_b32_e32 v38, v38, v32, vcc
	v_add_u32_e32 v36, 4, v36
	s_waitcnt lgkmcnt(0)
	v_fmac_f32_e32 v35, v38, v37
	s_andn2_b64 exec, exec, s[8:9]
	s_cbranch_execnz .LBB30_575
; %bb.576:
	s_or_b64 exec, exec, s[8:9]
.LBB30_577:
	s_or_b64 exec, exec, s[6:7]
	v_mov_b32_e32 v13, 0
	ds_read_b32 v13, v13 offset:44
	s_waitcnt lgkmcnt(0)
	v_mul_f32_e32 v13, v35, v13
.LBB30_578:
	s_or_b64 exec, exec, s[4:5]
	v_cmp_gt_u32_e32 vcc, 12, v0
	s_waitcnt vmcnt(19)
	ds_write_b32 v127, v14
	s_waitcnt lgkmcnt(0)
	; wave barrier
	s_and_saveexec_b64 s[4:5], vcc
	s_cbranch_execz .LBB30_588
; %bb.579:
	s_and_b64 vcc, exec, s[0:1]
	s_cbranch_vccnz .LBB30_581
; %bb.580:
	v_cmp_eq_u32_e32 vcc, 1, v0
	s_waitcnt vmcnt(6)
	v_cndmask_b32_e32 v33, v2, v3, vcc
	v_cmp_eq_u32_e32 vcc, 2, v0
	v_cndmask_b32_e32 v33, v33, v4, vcc
	v_cmp_eq_u32_e32 vcc, 3, v0
	;; [unrolled: 2-line block ×24, first 2 shown]
	s_waitcnt vmcnt(5)
	v_cndmask_b32_e32 v33, v33, v27, vcc
	v_cmp_eq_u32_e32 vcc, 26, v0
	s_waitcnt vmcnt(4)
	v_cndmask_b32_e32 v33, v33, v28, vcc
	v_cmp_eq_u32_e32 vcc, 27, v0
	ds_read_b32 v34, v127
	s_waitcnt vmcnt(3)
	v_cndmask_b32_e32 v33, v33, v29, vcc
	v_cmp_eq_u32_e32 vcc, 28, v0
	s_waitcnt vmcnt(2)
	v_cndmask_b32_e32 v33, v33, v30, vcc
	v_cmp_eq_u32_e32 vcc, 29, v0
	;; [unrolled: 3-line block ×3, first 2 shown]
	s_waitcnt vmcnt(0)
	v_cndmask_b32_e32 v33, v33, v32, vcc
	s_waitcnt lgkmcnt(0)
	v_mul_f32_e32 v35, v33, v34
	s_cbranch_execz .LBB30_582
	s_branch .LBB30_583
.LBB30_581:
                                        ; implicit-def: $vgpr35
.LBB30_582:
	ds_read_b32 v35, v127
.LBB30_583:
	v_cmp_ne_u32_e32 vcc, 11, v0
	s_and_saveexec_b64 s[6:7], vcc
	s_cbranch_execz .LBB30_587
; %bb.584:
	v_mov_b32_e32 v33, 0x84
	v_lshl_add_u32 v36, v0, 2, v33
	v_mov_b32_e32 v34, v1
	s_mov_b64 s[8:9], 0
	v_mov_b32_e32 v33, v0
.LBB30_585:                             ; =>This Inner Loop Header: Depth=1
	v_add_co_u32_e32 v33, vcc, 1, v33
	v_addc_co_u32_e32 v34, vcc, 0, v34, vcc
	v_cmp_eq_u32_e32 vcc, 1, v33
	s_waitcnt vmcnt(6)
	v_cndmask_b32_e32 v38, v2, v3, vcc
	v_cmp_lt_u32_e32 vcc, 10, v33
	v_cmp_eq_u32_e64 s[2:3], 2, v33
	v_cndmask_b32_e64 v38, v38, v4, s[2:3]
	s_or_b64 s[8:9], vcc, s[8:9]
	v_cmp_eq_u32_e32 vcc, 3, v33
	v_cndmask_b32_e32 v38, v38, v5, vcc
	v_cmp_eq_u32_e32 vcc, 4, v33
	v_cndmask_b32_e32 v38, v38, v6, vcc
	;; [unrolled: 2-line block ×22, first 2 shown]
	v_cmp_eq_u32_e32 vcc, 25, v33
	s_waitcnt vmcnt(5)
	v_cndmask_b32_e32 v38, v38, v27, vcc
	v_cmp_eq_u32_e32 vcc, 26, v33
	ds_read_b32 v37, v36
	s_waitcnt vmcnt(4)
	v_cndmask_b32_e32 v38, v38, v28, vcc
	v_cmp_eq_u32_e32 vcc, 27, v33
	s_waitcnt vmcnt(3)
	v_cndmask_b32_e32 v38, v38, v29, vcc
	v_cmp_eq_u32_e32 vcc, 28, v33
	;; [unrolled: 3-line block ×4, first 2 shown]
	s_waitcnt vmcnt(0)
	v_cndmask_b32_e32 v38, v38, v32, vcc
	v_add_u32_e32 v36, 4, v36
	s_waitcnt lgkmcnt(0)
	v_fmac_f32_e32 v35, v38, v37
	s_andn2_b64 exec, exec, s[8:9]
	s_cbranch_execnz .LBB30_585
; %bb.586:
	s_or_b64 exec, exec, s[8:9]
.LBB30_587:
	s_or_b64 exec, exec, s[6:7]
	v_mov_b32_e32 v14, 0
	ds_read_b32 v14, v14 offset:48
	s_waitcnt lgkmcnt(0)
	v_mul_f32_e32 v14, v35, v14
.LBB30_588:
	s_or_b64 exec, exec, s[4:5]
	v_cmp_gt_u32_e32 vcc, 13, v0
	s_waitcnt vmcnt(18)
	ds_write_b32 v127, v15
	s_waitcnt lgkmcnt(0)
	; wave barrier
	s_and_saveexec_b64 s[4:5], vcc
	s_cbranch_execz .LBB30_598
; %bb.589:
	s_and_b64 vcc, exec, s[0:1]
	s_cbranch_vccnz .LBB30_591
; %bb.590:
	v_cmp_eq_u32_e32 vcc, 1, v0
	s_waitcnt vmcnt(6)
	v_cndmask_b32_e32 v33, v2, v3, vcc
	v_cmp_eq_u32_e32 vcc, 2, v0
	v_cndmask_b32_e32 v33, v33, v4, vcc
	v_cmp_eq_u32_e32 vcc, 3, v0
	;; [unrolled: 2-line block ×24, first 2 shown]
	s_waitcnt vmcnt(5)
	v_cndmask_b32_e32 v33, v33, v27, vcc
	v_cmp_eq_u32_e32 vcc, 26, v0
	s_waitcnt vmcnt(4)
	v_cndmask_b32_e32 v33, v33, v28, vcc
	v_cmp_eq_u32_e32 vcc, 27, v0
	ds_read_b32 v34, v127
	s_waitcnt vmcnt(3)
	v_cndmask_b32_e32 v33, v33, v29, vcc
	v_cmp_eq_u32_e32 vcc, 28, v0
	s_waitcnt vmcnt(2)
	v_cndmask_b32_e32 v33, v33, v30, vcc
	v_cmp_eq_u32_e32 vcc, 29, v0
	;; [unrolled: 3-line block ×3, first 2 shown]
	s_waitcnt vmcnt(0)
	v_cndmask_b32_e32 v33, v33, v32, vcc
	s_waitcnt lgkmcnt(0)
	v_mul_f32_e32 v35, v33, v34
	s_cbranch_execz .LBB30_592
	s_branch .LBB30_593
.LBB30_591:
                                        ; implicit-def: $vgpr35
.LBB30_592:
	ds_read_b32 v35, v127
.LBB30_593:
	v_cmp_ne_u32_e32 vcc, 12, v0
	s_and_saveexec_b64 s[6:7], vcc
	s_cbranch_execz .LBB30_597
; %bb.594:
	v_mov_b32_e32 v33, 0x84
	v_lshl_add_u32 v36, v0, 2, v33
	v_mov_b32_e32 v34, v1
	s_mov_b64 s[8:9], 0
	v_mov_b32_e32 v33, v0
.LBB30_595:                             ; =>This Inner Loop Header: Depth=1
	v_add_co_u32_e32 v33, vcc, 1, v33
	v_addc_co_u32_e32 v34, vcc, 0, v34, vcc
	v_cmp_eq_u32_e32 vcc, 1, v33
	s_waitcnt vmcnt(6)
	v_cndmask_b32_e32 v38, v2, v3, vcc
	v_cmp_lt_u32_e32 vcc, 11, v33
	v_cmp_eq_u32_e64 s[2:3], 2, v33
	v_cndmask_b32_e64 v38, v38, v4, s[2:3]
	s_or_b64 s[8:9], vcc, s[8:9]
	v_cmp_eq_u32_e32 vcc, 3, v33
	v_cndmask_b32_e32 v38, v38, v5, vcc
	v_cmp_eq_u32_e32 vcc, 4, v33
	v_cndmask_b32_e32 v38, v38, v6, vcc
	;; [unrolled: 2-line block ×22, first 2 shown]
	v_cmp_eq_u32_e32 vcc, 25, v33
	s_waitcnt vmcnt(5)
	v_cndmask_b32_e32 v38, v38, v27, vcc
	v_cmp_eq_u32_e32 vcc, 26, v33
	ds_read_b32 v37, v36
	s_waitcnt vmcnt(4)
	v_cndmask_b32_e32 v38, v38, v28, vcc
	v_cmp_eq_u32_e32 vcc, 27, v33
	s_waitcnt vmcnt(3)
	v_cndmask_b32_e32 v38, v38, v29, vcc
	v_cmp_eq_u32_e32 vcc, 28, v33
	;; [unrolled: 3-line block ×4, first 2 shown]
	s_waitcnt vmcnt(0)
	v_cndmask_b32_e32 v38, v38, v32, vcc
	v_add_u32_e32 v36, 4, v36
	s_waitcnt lgkmcnt(0)
	v_fmac_f32_e32 v35, v38, v37
	s_andn2_b64 exec, exec, s[8:9]
	s_cbranch_execnz .LBB30_595
; %bb.596:
	s_or_b64 exec, exec, s[8:9]
.LBB30_597:
	s_or_b64 exec, exec, s[6:7]
	v_mov_b32_e32 v15, 0
	ds_read_b32 v15, v15 offset:52
	s_waitcnt lgkmcnt(0)
	v_mul_f32_e32 v15, v35, v15
.LBB30_598:
	s_or_b64 exec, exec, s[4:5]
	v_cmp_gt_u32_e32 vcc, 14, v0
	s_waitcnt vmcnt(17)
	ds_write_b32 v127, v16
	s_waitcnt lgkmcnt(0)
	; wave barrier
	s_and_saveexec_b64 s[4:5], vcc
	s_cbranch_execz .LBB30_608
; %bb.599:
	s_and_b64 vcc, exec, s[0:1]
	s_cbranch_vccnz .LBB30_601
; %bb.600:
	v_cmp_eq_u32_e32 vcc, 1, v0
	s_waitcnt vmcnt(6)
	v_cndmask_b32_e32 v33, v2, v3, vcc
	v_cmp_eq_u32_e32 vcc, 2, v0
	v_cndmask_b32_e32 v33, v33, v4, vcc
	v_cmp_eq_u32_e32 vcc, 3, v0
	;; [unrolled: 2-line block ×24, first 2 shown]
	s_waitcnt vmcnt(5)
	v_cndmask_b32_e32 v33, v33, v27, vcc
	v_cmp_eq_u32_e32 vcc, 26, v0
	s_waitcnt vmcnt(4)
	v_cndmask_b32_e32 v33, v33, v28, vcc
	v_cmp_eq_u32_e32 vcc, 27, v0
	ds_read_b32 v34, v127
	s_waitcnt vmcnt(3)
	v_cndmask_b32_e32 v33, v33, v29, vcc
	v_cmp_eq_u32_e32 vcc, 28, v0
	s_waitcnt vmcnt(2)
	v_cndmask_b32_e32 v33, v33, v30, vcc
	v_cmp_eq_u32_e32 vcc, 29, v0
	;; [unrolled: 3-line block ×3, first 2 shown]
	s_waitcnt vmcnt(0)
	v_cndmask_b32_e32 v33, v33, v32, vcc
	s_waitcnt lgkmcnt(0)
	v_mul_f32_e32 v35, v33, v34
	s_cbranch_execz .LBB30_602
	s_branch .LBB30_603
.LBB30_601:
                                        ; implicit-def: $vgpr35
.LBB30_602:
	ds_read_b32 v35, v127
.LBB30_603:
	v_cmp_ne_u32_e32 vcc, 13, v0
	s_and_saveexec_b64 s[6:7], vcc
	s_cbranch_execz .LBB30_607
; %bb.604:
	v_mov_b32_e32 v33, 0x84
	v_lshl_add_u32 v36, v0, 2, v33
	v_mov_b32_e32 v34, v1
	s_mov_b64 s[8:9], 0
	v_mov_b32_e32 v33, v0
.LBB30_605:                             ; =>This Inner Loop Header: Depth=1
	v_add_co_u32_e32 v33, vcc, 1, v33
	v_addc_co_u32_e32 v34, vcc, 0, v34, vcc
	v_cmp_eq_u32_e32 vcc, 1, v33
	s_waitcnt vmcnt(6)
	v_cndmask_b32_e32 v38, v2, v3, vcc
	v_cmp_lt_u32_e32 vcc, 12, v33
	v_cmp_eq_u32_e64 s[2:3], 2, v33
	v_cndmask_b32_e64 v38, v38, v4, s[2:3]
	s_or_b64 s[8:9], vcc, s[8:9]
	v_cmp_eq_u32_e32 vcc, 3, v33
	v_cndmask_b32_e32 v38, v38, v5, vcc
	v_cmp_eq_u32_e32 vcc, 4, v33
	v_cndmask_b32_e32 v38, v38, v6, vcc
	;; [unrolled: 2-line block ×22, first 2 shown]
	v_cmp_eq_u32_e32 vcc, 25, v33
	s_waitcnt vmcnt(5)
	v_cndmask_b32_e32 v38, v38, v27, vcc
	v_cmp_eq_u32_e32 vcc, 26, v33
	ds_read_b32 v37, v36
	s_waitcnt vmcnt(4)
	v_cndmask_b32_e32 v38, v38, v28, vcc
	v_cmp_eq_u32_e32 vcc, 27, v33
	s_waitcnt vmcnt(3)
	v_cndmask_b32_e32 v38, v38, v29, vcc
	v_cmp_eq_u32_e32 vcc, 28, v33
	;; [unrolled: 3-line block ×4, first 2 shown]
	s_waitcnt vmcnt(0)
	v_cndmask_b32_e32 v38, v38, v32, vcc
	v_add_u32_e32 v36, 4, v36
	s_waitcnt lgkmcnt(0)
	v_fmac_f32_e32 v35, v38, v37
	s_andn2_b64 exec, exec, s[8:9]
	s_cbranch_execnz .LBB30_605
; %bb.606:
	s_or_b64 exec, exec, s[8:9]
.LBB30_607:
	s_or_b64 exec, exec, s[6:7]
	v_mov_b32_e32 v16, 0
	ds_read_b32 v16, v16 offset:56
	s_waitcnt lgkmcnt(0)
	v_mul_f32_e32 v16, v35, v16
.LBB30_608:
	s_or_b64 exec, exec, s[4:5]
	v_cmp_gt_u32_e32 vcc, 15, v0
	s_waitcnt vmcnt(16)
	ds_write_b32 v127, v17
	s_waitcnt lgkmcnt(0)
	; wave barrier
	s_and_saveexec_b64 s[4:5], vcc
	s_cbranch_execz .LBB30_618
; %bb.609:
	s_and_b64 vcc, exec, s[0:1]
	s_cbranch_vccnz .LBB30_611
; %bb.610:
	v_cmp_eq_u32_e32 vcc, 1, v0
	s_waitcnt vmcnt(6)
	v_cndmask_b32_e32 v33, v2, v3, vcc
	v_cmp_eq_u32_e32 vcc, 2, v0
	v_cndmask_b32_e32 v33, v33, v4, vcc
	v_cmp_eq_u32_e32 vcc, 3, v0
	;; [unrolled: 2-line block ×24, first 2 shown]
	s_waitcnt vmcnt(5)
	v_cndmask_b32_e32 v33, v33, v27, vcc
	v_cmp_eq_u32_e32 vcc, 26, v0
	s_waitcnt vmcnt(4)
	v_cndmask_b32_e32 v33, v33, v28, vcc
	v_cmp_eq_u32_e32 vcc, 27, v0
	ds_read_b32 v34, v127
	s_waitcnt vmcnt(3)
	v_cndmask_b32_e32 v33, v33, v29, vcc
	v_cmp_eq_u32_e32 vcc, 28, v0
	s_waitcnt vmcnt(2)
	v_cndmask_b32_e32 v33, v33, v30, vcc
	v_cmp_eq_u32_e32 vcc, 29, v0
	;; [unrolled: 3-line block ×3, first 2 shown]
	s_waitcnt vmcnt(0)
	v_cndmask_b32_e32 v33, v33, v32, vcc
	s_waitcnt lgkmcnt(0)
	v_mul_f32_e32 v35, v33, v34
	s_cbranch_execz .LBB30_612
	s_branch .LBB30_613
.LBB30_611:
                                        ; implicit-def: $vgpr35
.LBB30_612:
	ds_read_b32 v35, v127
.LBB30_613:
	v_cmp_ne_u32_e32 vcc, 14, v0
	s_and_saveexec_b64 s[6:7], vcc
	s_cbranch_execz .LBB30_617
; %bb.614:
	v_mov_b32_e32 v33, 0x84
	v_lshl_add_u32 v36, v0, 2, v33
	v_mov_b32_e32 v34, v1
	s_mov_b64 s[8:9], 0
	v_mov_b32_e32 v33, v0
.LBB30_615:                             ; =>This Inner Loop Header: Depth=1
	v_add_co_u32_e32 v33, vcc, 1, v33
	v_addc_co_u32_e32 v34, vcc, 0, v34, vcc
	v_cmp_eq_u32_e32 vcc, 1, v33
	s_waitcnt vmcnt(6)
	v_cndmask_b32_e32 v38, v2, v3, vcc
	v_cmp_lt_u32_e32 vcc, 13, v33
	v_cmp_eq_u32_e64 s[2:3], 2, v33
	v_cndmask_b32_e64 v38, v38, v4, s[2:3]
	s_or_b64 s[8:9], vcc, s[8:9]
	v_cmp_eq_u32_e32 vcc, 3, v33
	v_cndmask_b32_e32 v38, v38, v5, vcc
	v_cmp_eq_u32_e32 vcc, 4, v33
	v_cndmask_b32_e32 v38, v38, v6, vcc
	;; [unrolled: 2-line block ×22, first 2 shown]
	v_cmp_eq_u32_e32 vcc, 25, v33
	s_waitcnt vmcnt(5)
	v_cndmask_b32_e32 v38, v38, v27, vcc
	v_cmp_eq_u32_e32 vcc, 26, v33
	ds_read_b32 v37, v36
	s_waitcnt vmcnt(4)
	v_cndmask_b32_e32 v38, v38, v28, vcc
	v_cmp_eq_u32_e32 vcc, 27, v33
	s_waitcnt vmcnt(3)
	v_cndmask_b32_e32 v38, v38, v29, vcc
	v_cmp_eq_u32_e32 vcc, 28, v33
	;; [unrolled: 3-line block ×4, first 2 shown]
	s_waitcnt vmcnt(0)
	v_cndmask_b32_e32 v38, v38, v32, vcc
	v_add_u32_e32 v36, 4, v36
	s_waitcnt lgkmcnt(0)
	v_fmac_f32_e32 v35, v38, v37
	s_andn2_b64 exec, exec, s[8:9]
	s_cbranch_execnz .LBB30_615
; %bb.616:
	s_or_b64 exec, exec, s[8:9]
.LBB30_617:
	s_or_b64 exec, exec, s[6:7]
	v_mov_b32_e32 v17, 0
	ds_read_b32 v17, v17 offset:60
	s_waitcnt lgkmcnt(0)
	v_mul_f32_e32 v17, v35, v17
.LBB30_618:
	s_or_b64 exec, exec, s[4:5]
	v_cmp_gt_u32_e32 vcc, 16, v0
	s_waitcnt vmcnt(15)
	ds_write_b32 v127, v18
	s_waitcnt lgkmcnt(0)
	; wave barrier
	s_and_saveexec_b64 s[4:5], vcc
	s_cbranch_execz .LBB30_628
; %bb.619:
	s_and_b64 vcc, exec, s[0:1]
	s_cbranch_vccnz .LBB30_621
; %bb.620:
	v_cmp_eq_u32_e32 vcc, 1, v0
	s_waitcnt vmcnt(6)
	v_cndmask_b32_e32 v33, v2, v3, vcc
	v_cmp_eq_u32_e32 vcc, 2, v0
	v_cndmask_b32_e32 v33, v33, v4, vcc
	v_cmp_eq_u32_e32 vcc, 3, v0
	;; [unrolled: 2-line block ×24, first 2 shown]
	s_waitcnt vmcnt(5)
	v_cndmask_b32_e32 v33, v33, v27, vcc
	v_cmp_eq_u32_e32 vcc, 26, v0
	s_waitcnt vmcnt(4)
	v_cndmask_b32_e32 v33, v33, v28, vcc
	v_cmp_eq_u32_e32 vcc, 27, v0
	ds_read_b32 v34, v127
	s_waitcnt vmcnt(3)
	v_cndmask_b32_e32 v33, v33, v29, vcc
	v_cmp_eq_u32_e32 vcc, 28, v0
	s_waitcnt vmcnt(2)
	v_cndmask_b32_e32 v33, v33, v30, vcc
	v_cmp_eq_u32_e32 vcc, 29, v0
	;; [unrolled: 3-line block ×3, first 2 shown]
	s_waitcnt vmcnt(0)
	v_cndmask_b32_e32 v33, v33, v32, vcc
	s_waitcnt lgkmcnt(0)
	v_mul_f32_e32 v35, v33, v34
	s_cbranch_execz .LBB30_622
	s_branch .LBB30_623
.LBB30_621:
                                        ; implicit-def: $vgpr35
.LBB30_622:
	ds_read_b32 v35, v127
.LBB30_623:
	v_cmp_ne_u32_e32 vcc, 15, v0
	s_and_saveexec_b64 s[6:7], vcc
	s_cbranch_execz .LBB30_627
; %bb.624:
	v_mov_b32_e32 v33, 0x84
	v_lshl_add_u32 v36, v0, 2, v33
	v_mov_b32_e32 v34, v1
	s_mov_b64 s[8:9], 0
	v_mov_b32_e32 v33, v0
.LBB30_625:                             ; =>This Inner Loop Header: Depth=1
	v_add_co_u32_e32 v33, vcc, 1, v33
	v_addc_co_u32_e32 v34, vcc, 0, v34, vcc
	v_cmp_eq_u32_e32 vcc, 1, v33
	s_waitcnt vmcnt(6)
	v_cndmask_b32_e32 v38, v2, v3, vcc
	v_cmp_lt_u32_e32 vcc, 14, v33
	v_cmp_eq_u32_e64 s[2:3], 2, v33
	v_cndmask_b32_e64 v38, v38, v4, s[2:3]
	s_or_b64 s[8:9], vcc, s[8:9]
	v_cmp_eq_u32_e32 vcc, 3, v33
	v_cndmask_b32_e32 v38, v38, v5, vcc
	v_cmp_eq_u32_e32 vcc, 4, v33
	v_cndmask_b32_e32 v38, v38, v6, vcc
	;; [unrolled: 2-line block ×22, first 2 shown]
	v_cmp_eq_u32_e32 vcc, 25, v33
	s_waitcnt vmcnt(5)
	v_cndmask_b32_e32 v38, v38, v27, vcc
	v_cmp_eq_u32_e32 vcc, 26, v33
	ds_read_b32 v37, v36
	s_waitcnt vmcnt(4)
	v_cndmask_b32_e32 v38, v38, v28, vcc
	v_cmp_eq_u32_e32 vcc, 27, v33
	s_waitcnt vmcnt(3)
	v_cndmask_b32_e32 v38, v38, v29, vcc
	v_cmp_eq_u32_e32 vcc, 28, v33
	;; [unrolled: 3-line block ×4, first 2 shown]
	s_waitcnt vmcnt(0)
	v_cndmask_b32_e32 v38, v38, v32, vcc
	v_add_u32_e32 v36, 4, v36
	s_waitcnt lgkmcnt(0)
	v_fmac_f32_e32 v35, v38, v37
	s_andn2_b64 exec, exec, s[8:9]
	s_cbranch_execnz .LBB30_625
; %bb.626:
	s_or_b64 exec, exec, s[8:9]
.LBB30_627:
	s_or_b64 exec, exec, s[6:7]
	v_mov_b32_e32 v18, 0
	ds_read_b32 v18, v18 offset:64
	s_waitcnt lgkmcnt(0)
	v_mul_f32_e32 v18, v35, v18
.LBB30_628:
	s_or_b64 exec, exec, s[4:5]
	v_cmp_gt_u32_e32 vcc, 17, v0
	s_waitcnt vmcnt(14)
	ds_write_b32 v127, v19
	s_waitcnt lgkmcnt(0)
	; wave barrier
	s_and_saveexec_b64 s[4:5], vcc
	s_cbranch_execz .LBB30_638
; %bb.629:
	s_and_b64 vcc, exec, s[0:1]
	s_cbranch_vccnz .LBB30_631
; %bb.630:
	v_cmp_eq_u32_e32 vcc, 1, v0
	s_waitcnt vmcnt(6)
	v_cndmask_b32_e32 v33, v2, v3, vcc
	v_cmp_eq_u32_e32 vcc, 2, v0
	v_cndmask_b32_e32 v33, v33, v4, vcc
	v_cmp_eq_u32_e32 vcc, 3, v0
	;; [unrolled: 2-line block ×24, first 2 shown]
	s_waitcnt vmcnt(5)
	v_cndmask_b32_e32 v33, v33, v27, vcc
	v_cmp_eq_u32_e32 vcc, 26, v0
	s_waitcnt vmcnt(4)
	v_cndmask_b32_e32 v33, v33, v28, vcc
	v_cmp_eq_u32_e32 vcc, 27, v0
	ds_read_b32 v34, v127
	s_waitcnt vmcnt(3)
	v_cndmask_b32_e32 v33, v33, v29, vcc
	v_cmp_eq_u32_e32 vcc, 28, v0
	s_waitcnt vmcnt(2)
	v_cndmask_b32_e32 v33, v33, v30, vcc
	v_cmp_eq_u32_e32 vcc, 29, v0
	s_waitcnt vmcnt(1)
	v_cndmask_b32_e32 v33, v33, v31, vcc
	v_cmp_eq_u32_e32 vcc, 30, v0
	s_waitcnt vmcnt(0)
	v_cndmask_b32_e32 v33, v33, v32, vcc
	s_waitcnt lgkmcnt(0)
	v_mul_f32_e32 v35, v33, v34
	s_cbranch_execz .LBB30_632
	s_branch .LBB30_633
.LBB30_631:
                                        ; implicit-def: $vgpr35
.LBB30_632:
	ds_read_b32 v35, v127
.LBB30_633:
	v_cmp_ne_u32_e32 vcc, 16, v0
	s_and_saveexec_b64 s[6:7], vcc
	s_cbranch_execz .LBB30_637
; %bb.634:
	v_mov_b32_e32 v33, 0x84
	v_lshl_add_u32 v36, v0, 2, v33
	v_mov_b32_e32 v34, v1
	s_mov_b64 s[8:9], 0
	v_mov_b32_e32 v33, v0
.LBB30_635:                             ; =>This Inner Loop Header: Depth=1
	v_add_co_u32_e32 v33, vcc, 1, v33
	v_addc_co_u32_e32 v34, vcc, 0, v34, vcc
	v_cmp_eq_u32_e32 vcc, 1, v33
	s_waitcnt vmcnt(6)
	v_cndmask_b32_e32 v38, v2, v3, vcc
	v_cmp_lt_u32_e32 vcc, 15, v33
	v_cmp_eq_u32_e64 s[2:3], 2, v33
	v_cndmask_b32_e64 v38, v38, v4, s[2:3]
	s_or_b64 s[8:9], vcc, s[8:9]
	v_cmp_eq_u32_e32 vcc, 3, v33
	v_cndmask_b32_e32 v38, v38, v5, vcc
	v_cmp_eq_u32_e32 vcc, 4, v33
	v_cndmask_b32_e32 v38, v38, v6, vcc
	;; [unrolled: 2-line block ×22, first 2 shown]
	v_cmp_eq_u32_e32 vcc, 25, v33
	s_waitcnt vmcnt(5)
	v_cndmask_b32_e32 v38, v38, v27, vcc
	v_cmp_eq_u32_e32 vcc, 26, v33
	ds_read_b32 v37, v36
	s_waitcnt vmcnt(4)
	v_cndmask_b32_e32 v38, v38, v28, vcc
	v_cmp_eq_u32_e32 vcc, 27, v33
	s_waitcnt vmcnt(3)
	v_cndmask_b32_e32 v38, v38, v29, vcc
	v_cmp_eq_u32_e32 vcc, 28, v33
	;; [unrolled: 3-line block ×4, first 2 shown]
	s_waitcnt vmcnt(0)
	v_cndmask_b32_e32 v38, v38, v32, vcc
	v_add_u32_e32 v36, 4, v36
	s_waitcnt lgkmcnt(0)
	v_fmac_f32_e32 v35, v38, v37
	s_andn2_b64 exec, exec, s[8:9]
	s_cbranch_execnz .LBB30_635
; %bb.636:
	s_or_b64 exec, exec, s[8:9]
.LBB30_637:
	s_or_b64 exec, exec, s[6:7]
	v_mov_b32_e32 v19, 0
	ds_read_b32 v19, v19 offset:68
	s_waitcnt lgkmcnt(0)
	v_mul_f32_e32 v19, v35, v19
.LBB30_638:
	s_or_b64 exec, exec, s[4:5]
	v_cmp_gt_u32_e32 vcc, 18, v0
	s_waitcnt vmcnt(13)
	ds_write_b32 v127, v20
	s_waitcnt lgkmcnt(0)
	; wave barrier
	s_and_saveexec_b64 s[4:5], vcc
	s_cbranch_execz .LBB30_648
; %bb.639:
	s_and_b64 vcc, exec, s[0:1]
	s_cbranch_vccnz .LBB30_641
; %bb.640:
	v_cmp_eq_u32_e32 vcc, 1, v0
	s_waitcnt vmcnt(6)
	v_cndmask_b32_e32 v33, v2, v3, vcc
	v_cmp_eq_u32_e32 vcc, 2, v0
	v_cndmask_b32_e32 v33, v33, v4, vcc
	v_cmp_eq_u32_e32 vcc, 3, v0
	v_cndmask_b32_e32 v33, v33, v5, vcc
	v_cmp_eq_u32_e32 vcc, 4, v0
	v_cndmask_b32_e32 v33, v33, v6, vcc
	v_cmp_eq_u32_e32 vcc, 5, v0
	v_cndmask_b32_e32 v33, v33, v7, vcc
	v_cmp_eq_u32_e32 vcc, 6, v0
	v_cndmask_b32_e32 v33, v33, v8, vcc
	v_cmp_eq_u32_e32 vcc, 7, v0
	v_cndmask_b32_e32 v33, v33, v9, vcc
	v_cmp_eq_u32_e32 vcc, 8, v0
	v_cndmask_b32_e32 v33, v33, v10, vcc
	v_cmp_eq_u32_e32 vcc, 9, v0
	v_cndmask_b32_e32 v33, v33, v11, vcc
	v_cmp_eq_u32_e32 vcc, 10, v0
	v_cndmask_b32_e32 v33, v33, v12, vcc
	v_cmp_eq_u32_e32 vcc, 11, v0
	v_cndmask_b32_e32 v33, v33, v13, vcc
	v_cmp_eq_u32_e32 vcc, 12, v0
	v_cndmask_b32_e32 v33, v33, v14, vcc
	v_cmp_eq_u32_e32 vcc, 13, v0
	v_cndmask_b32_e32 v33, v33, v15, vcc
	v_cmp_eq_u32_e32 vcc, 14, v0
	v_cndmask_b32_e32 v33, v33, v16, vcc
	v_cmp_eq_u32_e32 vcc, 15, v0
	v_cndmask_b32_e32 v33, v33, v17, vcc
	v_cmp_eq_u32_e32 vcc, 16, v0
	v_cndmask_b32_e32 v33, v33, v18, vcc
	v_cmp_eq_u32_e32 vcc, 17, v0
	v_cndmask_b32_e32 v33, v33, v19, vcc
	v_cmp_eq_u32_e32 vcc, 18, v0
	v_cndmask_b32_e32 v33, v33, v20, vcc
	v_cmp_eq_u32_e32 vcc, 19, v0
	v_cndmask_b32_e32 v33, v33, v21, vcc
	v_cmp_eq_u32_e32 vcc, 20, v0
	v_cndmask_b32_e32 v33, v33, v22, vcc
	v_cmp_eq_u32_e32 vcc, 21, v0
	v_cndmask_b32_e32 v33, v33, v23, vcc
	v_cmp_eq_u32_e32 vcc, 22, v0
	v_cndmask_b32_e32 v33, v33, v24, vcc
	v_cmp_eq_u32_e32 vcc, 23, v0
	v_cndmask_b32_e32 v33, v33, v25, vcc
	v_cmp_eq_u32_e32 vcc, 24, v0
	v_cndmask_b32_e32 v33, v33, v26, vcc
	v_cmp_eq_u32_e32 vcc, 25, v0
	s_waitcnt vmcnt(5)
	v_cndmask_b32_e32 v33, v33, v27, vcc
	v_cmp_eq_u32_e32 vcc, 26, v0
	s_waitcnt vmcnt(4)
	v_cndmask_b32_e32 v33, v33, v28, vcc
	v_cmp_eq_u32_e32 vcc, 27, v0
	ds_read_b32 v34, v127
	s_waitcnt vmcnt(3)
	v_cndmask_b32_e32 v33, v33, v29, vcc
	v_cmp_eq_u32_e32 vcc, 28, v0
	s_waitcnt vmcnt(2)
	v_cndmask_b32_e32 v33, v33, v30, vcc
	v_cmp_eq_u32_e32 vcc, 29, v0
	;; [unrolled: 3-line block ×3, first 2 shown]
	s_waitcnt vmcnt(0)
	v_cndmask_b32_e32 v33, v33, v32, vcc
	s_waitcnt lgkmcnt(0)
	v_mul_f32_e32 v35, v33, v34
	s_cbranch_execz .LBB30_642
	s_branch .LBB30_643
.LBB30_641:
                                        ; implicit-def: $vgpr35
.LBB30_642:
	ds_read_b32 v35, v127
.LBB30_643:
	v_cmp_ne_u32_e32 vcc, 17, v0
	s_and_saveexec_b64 s[6:7], vcc
	s_cbranch_execz .LBB30_647
; %bb.644:
	v_mov_b32_e32 v33, 0x84
	v_lshl_add_u32 v36, v0, 2, v33
	v_mov_b32_e32 v34, v1
	s_mov_b64 s[8:9], 0
	v_mov_b32_e32 v33, v0
.LBB30_645:                             ; =>This Inner Loop Header: Depth=1
	v_add_co_u32_e32 v33, vcc, 1, v33
	v_addc_co_u32_e32 v34, vcc, 0, v34, vcc
	v_cmp_eq_u32_e32 vcc, 1, v33
	s_waitcnt vmcnt(6)
	v_cndmask_b32_e32 v38, v2, v3, vcc
	v_cmp_lt_u32_e32 vcc, 16, v33
	v_cmp_eq_u32_e64 s[2:3], 2, v33
	v_cndmask_b32_e64 v38, v38, v4, s[2:3]
	s_or_b64 s[8:9], vcc, s[8:9]
	v_cmp_eq_u32_e32 vcc, 3, v33
	v_cndmask_b32_e32 v38, v38, v5, vcc
	v_cmp_eq_u32_e32 vcc, 4, v33
	v_cndmask_b32_e32 v38, v38, v6, vcc
	;; [unrolled: 2-line block ×22, first 2 shown]
	v_cmp_eq_u32_e32 vcc, 25, v33
	s_waitcnt vmcnt(5)
	v_cndmask_b32_e32 v38, v38, v27, vcc
	v_cmp_eq_u32_e32 vcc, 26, v33
	ds_read_b32 v37, v36
	s_waitcnt vmcnt(4)
	v_cndmask_b32_e32 v38, v38, v28, vcc
	v_cmp_eq_u32_e32 vcc, 27, v33
	s_waitcnt vmcnt(3)
	v_cndmask_b32_e32 v38, v38, v29, vcc
	v_cmp_eq_u32_e32 vcc, 28, v33
	;; [unrolled: 3-line block ×4, first 2 shown]
	s_waitcnt vmcnt(0)
	v_cndmask_b32_e32 v38, v38, v32, vcc
	v_add_u32_e32 v36, 4, v36
	s_waitcnt lgkmcnt(0)
	v_fmac_f32_e32 v35, v38, v37
	s_andn2_b64 exec, exec, s[8:9]
	s_cbranch_execnz .LBB30_645
; %bb.646:
	s_or_b64 exec, exec, s[8:9]
.LBB30_647:
	s_or_b64 exec, exec, s[6:7]
	v_mov_b32_e32 v20, 0
	ds_read_b32 v20, v20 offset:72
	s_waitcnt lgkmcnt(0)
	v_mul_f32_e32 v20, v35, v20
.LBB30_648:
	s_or_b64 exec, exec, s[4:5]
	v_cmp_gt_u32_e32 vcc, 19, v0
	s_waitcnt vmcnt(12)
	ds_write_b32 v127, v21
	s_waitcnt lgkmcnt(0)
	; wave barrier
	s_and_saveexec_b64 s[4:5], vcc
	s_cbranch_execz .LBB30_658
; %bb.649:
	s_and_b64 vcc, exec, s[0:1]
	s_cbranch_vccnz .LBB30_651
; %bb.650:
	v_cmp_eq_u32_e32 vcc, 1, v0
	s_waitcnt vmcnt(6)
	v_cndmask_b32_e32 v33, v2, v3, vcc
	v_cmp_eq_u32_e32 vcc, 2, v0
	v_cndmask_b32_e32 v33, v33, v4, vcc
	v_cmp_eq_u32_e32 vcc, 3, v0
	;; [unrolled: 2-line block ×24, first 2 shown]
	s_waitcnt vmcnt(5)
	v_cndmask_b32_e32 v33, v33, v27, vcc
	v_cmp_eq_u32_e32 vcc, 26, v0
	s_waitcnt vmcnt(4)
	v_cndmask_b32_e32 v33, v33, v28, vcc
	v_cmp_eq_u32_e32 vcc, 27, v0
	ds_read_b32 v34, v127
	s_waitcnt vmcnt(3)
	v_cndmask_b32_e32 v33, v33, v29, vcc
	v_cmp_eq_u32_e32 vcc, 28, v0
	s_waitcnt vmcnt(2)
	v_cndmask_b32_e32 v33, v33, v30, vcc
	v_cmp_eq_u32_e32 vcc, 29, v0
	;; [unrolled: 3-line block ×3, first 2 shown]
	s_waitcnt vmcnt(0)
	v_cndmask_b32_e32 v33, v33, v32, vcc
	s_waitcnt lgkmcnt(0)
	v_mul_f32_e32 v35, v33, v34
	s_cbranch_execz .LBB30_652
	s_branch .LBB30_653
.LBB30_651:
                                        ; implicit-def: $vgpr35
.LBB30_652:
	ds_read_b32 v35, v127
.LBB30_653:
	v_cmp_ne_u32_e32 vcc, 18, v0
	s_and_saveexec_b64 s[6:7], vcc
	s_cbranch_execz .LBB30_657
; %bb.654:
	v_mov_b32_e32 v33, 0x84
	v_lshl_add_u32 v36, v0, 2, v33
	v_mov_b32_e32 v34, v1
	s_mov_b64 s[8:9], 0
	v_mov_b32_e32 v33, v0
.LBB30_655:                             ; =>This Inner Loop Header: Depth=1
	v_add_co_u32_e32 v33, vcc, 1, v33
	v_addc_co_u32_e32 v34, vcc, 0, v34, vcc
	v_cmp_eq_u32_e32 vcc, 1, v33
	s_waitcnt vmcnt(6)
	v_cndmask_b32_e32 v38, v2, v3, vcc
	v_cmp_lt_u32_e32 vcc, 17, v33
	v_cmp_eq_u32_e64 s[2:3], 2, v33
	v_cndmask_b32_e64 v38, v38, v4, s[2:3]
	s_or_b64 s[8:9], vcc, s[8:9]
	v_cmp_eq_u32_e32 vcc, 3, v33
	v_cndmask_b32_e32 v38, v38, v5, vcc
	v_cmp_eq_u32_e32 vcc, 4, v33
	v_cndmask_b32_e32 v38, v38, v6, vcc
	;; [unrolled: 2-line block ×22, first 2 shown]
	v_cmp_eq_u32_e32 vcc, 25, v33
	s_waitcnt vmcnt(5)
	v_cndmask_b32_e32 v38, v38, v27, vcc
	v_cmp_eq_u32_e32 vcc, 26, v33
	ds_read_b32 v37, v36
	s_waitcnt vmcnt(4)
	v_cndmask_b32_e32 v38, v38, v28, vcc
	v_cmp_eq_u32_e32 vcc, 27, v33
	s_waitcnt vmcnt(3)
	v_cndmask_b32_e32 v38, v38, v29, vcc
	v_cmp_eq_u32_e32 vcc, 28, v33
	s_waitcnt vmcnt(2)
	v_cndmask_b32_e32 v38, v38, v30, vcc
	v_cmp_eq_u32_e32 vcc, 29, v33
	s_waitcnt vmcnt(1)
	v_cndmask_b32_e32 v38, v38, v31, vcc
	v_cmp_eq_u32_e32 vcc, 30, v33
	s_waitcnt vmcnt(0)
	v_cndmask_b32_e32 v38, v38, v32, vcc
	v_add_u32_e32 v36, 4, v36
	s_waitcnt lgkmcnt(0)
	v_fmac_f32_e32 v35, v38, v37
	s_andn2_b64 exec, exec, s[8:9]
	s_cbranch_execnz .LBB30_655
; %bb.656:
	s_or_b64 exec, exec, s[8:9]
.LBB30_657:
	s_or_b64 exec, exec, s[6:7]
	v_mov_b32_e32 v21, 0
	ds_read_b32 v21, v21 offset:76
	s_waitcnt lgkmcnt(0)
	v_mul_f32_e32 v21, v35, v21
.LBB30_658:
	s_or_b64 exec, exec, s[4:5]
	v_cmp_gt_u32_e32 vcc, 20, v0
	s_waitcnt vmcnt(11)
	ds_write_b32 v127, v22
	s_waitcnt lgkmcnt(0)
	; wave barrier
	s_and_saveexec_b64 s[4:5], vcc
	s_cbranch_execz .LBB30_668
; %bb.659:
	s_and_b64 vcc, exec, s[0:1]
	s_cbranch_vccnz .LBB30_661
; %bb.660:
	v_cmp_eq_u32_e32 vcc, 1, v0
	s_waitcnt vmcnt(6)
	v_cndmask_b32_e32 v33, v2, v3, vcc
	v_cmp_eq_u32_e32 vcc, 2, v0
	v_cndmask_b32_e32 v33, v33, v4, vcc
	v_cmp_eq_u32_e32 vcc, 3, v0
	;; [unrolled: 2-line block ×24, first 2 shown]
	s_waitcnt vmcnt(5)
	v_cndmask_b32_e32 v33, v33, v27, vcc
	v_cmp_eq_u32_e32 vcc, 26, v0
	s_waitcnt vmcnt(4)
	v_cndmask_b32_e32 v33, v33, v28, vcc
	v_cmp_eq_u32_e32 vcc, 27, v0
	ds_read_b32 v34, v127
	s_waitcnt vmcnt(3)
	v_cndmask_b32_e32 v33, v33, v29, vcc
	v_cmp_eq_u32_e32 vcc, 28, v0
	s_waitcnt vmcnt(2)
	v_cndmask_b32_e32 v33, v33, v30, vcc
	v_cmp_eq_u32_e32 vcc, 29, v0
	;; [unrolled: 3-line block ×3, first 2 shown]
	s_waitcnt vmcnt(0)
	v_cndmask_b32_e32 v33, v33, v32, vcc
	s_waitcnt lgkmcnt(0)
	v_mul_f32_e32 v35, v33, v34
	s_cbranch_execz .LBB30_662
	s_branch .LBB30_663
.LBB30_661:
                                        ; implicit-def: $vgpr35
.LBB30_662:
	ds_read_b32 v35, v127
.LBB30_663:
	v_cmp_ne_u32_e32 vcc, 19, v0
	s_and_saveexec_b64 s[6:7], vcc
	s_cbranch_execz .LBB30_667
; %bb.664:
	v_mov_b32_e32 v33, 0x84
	v_lshl_add_u32 v36, v0, 2, v33
	v_mov_b32_e32 v34, v1
	s_mov_b64 s[8:9], 0
	v_mov_b32_e32 v33, v0
.LBB30_665:                             ; =>This Inner Loop Header: Depth=1
	v_add_co_u32_e32 v33, vcc, 1, v33
	v_addc_co_u32_e32 v34, vcc, 0, v34, vcc
	v_cmp_eq_u32_e32 vcc, 1, v33
	s_waitcnt vmcnt(6)
	v_cndmask_b32_e32 v38, v2, v3, vcc
	v_cmp_lt_u32_e32 vcc, 18, v33
	v_cmp_eq_u32_e64 s[2:3], 2, v33
	v_cndmask_b32_e64 v38, v38, v4, s[2:3]
	s_or_b64 s[8:9], vcc, s[8:9]
	v_cmp_eq_u32_e32 vcc, 3, v33
	v_cndmask_b32_e32 v38, v38, v5, vcc
	v_cmp_eq_u32_e32 vcc, 4, v33
	v_cndmask_b32_e32 v38, v38, v6, vcc
	;; [unrolled: 2-line block ×22, first 2 shown]
	v_cmp_eq_u32_e32 vcc, 25, v33
	s_waitcnt vmcnt(5)
	v_cndmask_b32_e32 v38, v38, v27, vcc
	v_cmp_eq_u32_e32 vcc, 26, v33
	ds_read_b32 v37, v36
	s_waitcnt vmcnt(4)
	v_cndmask_b32_e32 v38, v38, v28, vcc
	v_cmp_eq_u32_e32 vcc, 27, v33
	s_waitcnt vmcnt(3)
	v_cndmask_b32_e32 v38, v38, v29, vcc
	v_cmp_eq_u32_e32 vcc, 28, v33
	;; [unrolled: 3-line block ×4, first 2 shown]
	s_waitcnt vmcnt(0)
	v_cndmask_b32_e32 v38, v38, v32, vcc
	v_add_u32_e32 v36, 4, v36
	s_waitcnt lgkmcnt(0)
	v_fmac_f32_e32 v35, v38, v37
	s_andn2_b64 exec, exec, s[8:9]
	s_cbranch_execnz .LBB30_665
; %bb.666:
	s_or_b64 exec, exec, s[8:9]
.LBB30_667:
	s_or_b64 exec, exec, s[6:7]
	v_mov_b32_e32 v22, 0
	ds_read_b32 v22, v22 offset:80
	s_waitcnt lgkmcnt(0)
	v_mul_f32_e32 v22, v35, v22
.LBB30_668:
	s_or_b64 exec, exec, s[4:5]
	v_cmp_gt_u32_e32 vcc, 21, v0
	s_waitcnt vmcnt(10)
	ds_write_b32 v127, v23
	s_waitcnt lgkmcnt(0)
	; wave barrier
	s_and_saveexec_b64 s[4:5], vcc
	s_cbranch_execz .LBB30_678
; %bb.669:
	s_and_b64 vcc, exec, s[0:1]
	s_cbranch_vccnz .LBB30_671
; %bb.670:
	v_cmp_eq_u32_e32 vcc, 1, v0
	s_waitcnt vmcnt(6)
	v_cndmask_b32_e32 v33, v2, v3, vcc
	v_cmp_eq_u32_e32 vcc, 2, v0
	v_cndmask_b32_e32 v33, v33, v4, vcc
	v_cmp_eq_u32_e32 vcc, 3, v0
	;; [unrolled: 2-line block ×24, first 2 shown]
	s_waitcnt vmcnt(5)
	v_cndmask_b32_e32 v33, v33, v27, vcc
	v_cmp_eq_u32_e32 vcc, 26, v0
	s_waitcnt vmcnt(4)
	v_cndmask_b32_e32 v33, v33, v28, vcc
	v_cmp_eq_u32_e32 vcc, 27, v0
	ds_read_b32 v34, v127
	s_waitcnt vmcnt(3)
	v_cndmask_b32_e32 v33, v33, v29, vcc
	v_cmp_eq_u32_e32 vcc, 28, v0
	s_waitcnt vmcnt(2)
	v_cndmask_b32_e32 v33, v33, v30, vcc
	v_cmp_eq_u32_e32 vcc, 29, v0
	s_waitcnt vmcnt(1)
	v_cndmask_b32_e32 v33, v33, v31, vcc
	v_cmp_eq_u32_e32 vcc, 30, v0
	s_waitcnt vmcnt(0)
	v_cndmask_b32_e32 v33, v33, v32, vcc
	s_waitcnt lgkmcnt(0)
	v_mul_f32_e32 v35, v33, v34
	s_cbranch_execz .LBB30_672
	s_branch .LBB30_673
.LBB30_671:
                                        ; implicit-def: $vgpr35
.LBB30_672:
	ds_read_b32 v35, v127
.LBB30_673:
	v_cmp_ne_u32_e32 vcc, 20, v0
	s_and_saveexec_b64 s[6:7], vcc
	s_cbranch_execz .LBB30_677
; %bb.674:
	v_mov_b32_e32 v33, 0x84
	v_lshl_add_u32 v36, v0, 2, v33
	v_mov_b32_e32 v34, v1
	s_mov_b64 s[8:9], 0
	v_mov_b32_e32 v33, v0
.LBB30_675:                             ; =>This Inner Loop Header: Depth=1
	v_add_co_u32_e32 v33, vcc, 1, v33
	v_addc_co_u32_e32 v34, vcc, 0, v34, vcc
	v_cmp_eq_u32_e32 vcc, 1, v33
	s_waitcnt vmcnt(6)
	v_cndmask_b32_e32 v38, v2, v3, vcc
	v_cmp_lt_u32_e32 vcc, 19, v33
	v_cmp_eq_u32_e64 s[2:3], 2, v33
	v_cndmask_b32_e64 v38, v38, v4, s[2:3]
	s_or_b64 s[8:9], vcc, s[8:9]
	v_cmp_eq_u32_e32 vcc, 3, v33
	v_cndmask_b32_e32 v38, v38, v5, vcc
	v_cmp_eq_u32_e32 vcc, 4, v33
	v_cndmask_b32_e32 v38, v38, v6, vcc
	;; [unrolled: 2-line block ×22, first 2 shown]
	v_cmp_eq_u32_e32 vcc, 25, v33
	s_waitcnt vmcnt(5)
	v_cndmask_b32_e32 v38, v38, v27, vcc
	v_cmp_eq_u32_e32 vcc, 26, v33
	ds_read_b32 v37, v36
	s_waitcnt vmcnt(4)
	v_cndmask_b32_e32 v38, v38, v28, vcc
	v_cmp_eq_u32_e32 vcc, 27, v33
	s_waitcnt vmcnt(3)
	v_cndmask_b32_e32 v38, v38, v29, vcc
	v_cmp_eq_u32_e32 vcc, 28, v33
	;; [unrolled: 3-line block ×4, first 2 shown]
	s_waitcnt vmcnt(0)
	v_cndmask_b32_e32 v38, v38, v32, vcc
	v_add_u32_e32 v36, 4, v36
	s_waitcnt lgkmcnt(0)
	v_fmac_f32_e32 v35, v38, v37
	s_andn2_b64 exec, exec, s[8:9]
	s_cbranch_execnz .LBB30_675
; %bb.676:
	s_or_b64 exec, exec, s[8:9]
.LBB30_677:
	s_or_b64 exec, exec, s[6:7]
	v_mov_b32_e32 v23, 0
	ds_read_b32 v23, v23 offset:84
	s_waitcnt lgkmcnt(0)
	v_mul_f32_e32 v23, v35, v23
.LBB30_678:
	s_or_b64 exec, exec, s[4:5]
	v_cmp_gt_u32_e32 vcc, 22, v0
	s_waitcnt vmcnt(9)
	ds_write_b32 v127, v24
	s_waitcnt lgkmcnt(0)
	; wave barrier
	s_and_saveexec_b64 s[4:5], vcc
	s_cbranch_execz .LBB30_688
; %bb.679:
	s_and_b64 vcc, exec, s[0:1]
	s_cbranch_vccnz .LBB30_681
; %bb.680:
	v_cmp_eq_u32_e32 vcc, 1, v0
	s_waitcnt vmcnt(6)
	v_cndmask_b32_e32 v33, v2, v3, vcc
	v_cmp_eq_u32_e32 vcc, 2, v0
	v_cndmask_b32_e32 v33, v33, v4, vcc
	v_cmp_eq_u32_e32 vcc, 3, v0
	;; [unrolled: 2-line block ×24, first 2 shown]
	s_waitcnt vmcnt(5)
	v_cndmask_b32_e32 v33, v33, v27, vcc
	v_cmp_eq_u32_e32 vcc, 26, v0
	s_waitcnt vmcnt(4)
	v_cndmask_b32_e32 v33, v33, v28, vcc
	v_cmp_eq_u32_e32 vcc, 27, v0
	ds_read_b32 v34, v127
	s_waitcnt vmcnt(3)
	v_cndmask_b32_e32 v33, v33, v29, vcc
	v_cmp_eq_u32_e32 vcc, 28, v0
	s_waitcnt vmcnt(2)
	v_cndmask_b32_e32 v33, v33, v30, vcc
	v_cmp_eq_u32_e32 vcc, 29, v0
	;; [unrolled: 3-line block ×3, first 2 shown]
	s_waitcnt vmcnt(0)
	v_cndmask_b32_e32 v33, v33, v32, vcc
	s_waitcnt lgkmcnt(0)
	v_mul_f32_e32 v35, v33, v34
	s_cbranch_execz .LBB30_682
	s_branch .LBB30_683
.LBB30_681:
                                        ; implicit-def: $vgpr35
.LBB30_682:
	ds_read_b32 v35, v127
.LBB30_683:
	v_cmp_ne_u32_e32 vcc, 21, v0
	s_and_saveexec_b64 s[6:7], vcc
	s_cbranch_execz .LBB30_687
; %bb.684:
	v_mov_b32_e32 v33, 0x84
	v_lshl_add_u32 v36, v0, 2, v33
	v_mov_b32_e32 v34, v1
	s_mov_b64 s[8:9], 0
	v_mov_b32_e32 v33, v0
.LBB30_685:                             ; =>This Inner Loop Header: Depth=1
	v_add_co_u32_e32 v33, vcc, 1, v33
	v_addc_co_u32_e32 v34, vcc, 0, v34, vcc
	v_cmp_eq_u32_e32 vcc, 1, v33
	s_waitcnt vmcnt(6)
	v_cndmask_b32_e32 v38, v2, v3, vcc
	v_cmp_lt_u32_e32 vcc, 20, v33
	v_cmp_eq_u32_e64 s[2:3], 2, v33
	v_cndmask_b32_e64 v38, v38, v4, s[2:3]
	s_or_b64 s[8:9], vcc, s[8:9]
	v_cmp_eq_u32_e32 vcc, 3, v33
	v_cndmask_b32_e32 v38, v38, v5, vcc
	v_cmp_eq_u32_e32 vcc, 4, v33
	v_cndmask_b32_e32 v38, v38, v6, vcc
	;; [unrolled: 2-line block ×22, first 2 shown]
	v_cmp_eq_u32_e32 vcc, 25, v33
	s_waitcnt vmcnt(5)
	v_cndmask_b32_e32 v38, v38, v27, vcc
	v_cmp_eq_u32_e32 vcc, 26, v33
	ds_read_b32 v37, v36
	s_waitcnt vmcnt(4)
	v_cndmask_b32_e32 v38, v38, v28, vcc
	v_cmp_eq_u32_e32 vcc, 27, v33
	s_waitcnt vmcnt(3)
	v_cndmask_b32_e32 v38, v38, v29, vcc
	v_cmp_eq_u32_e32 vcc, 28, v33
	;; [unrolled: 3-line block ×4, first 2 shown]
	s_waitcnt vmcnt(0)
	v_cndmask_b32_e32 v38, v38, v32, vcc
	v_add_u32_e32 v36, 4, v36
	s_waitcnt lgkmcnt(0)
	v_fmac_f32_e32 v35, v38, v37
	s_andn2_b64 exec, exec, s[8:9]
	s_cbranch_execnz .LBB30_685
; %bb.686:
	s_or_b64 exec, exec, s[8:9]
.LBB30_687:
	s_or_b64 exec, exec, s[6:7]
	v_mov_b32_e32 v24, 0
	ds_read_b32 v24, v24 offset:88
	s_waitcnt lgkmcnt(0)
	v_mul_f32_e32 v24, v35, v24
.LBB30_688:
	s_or_b64 exec, exec, s[4:5]
	v_cmp_gt_u32_e32 vcc, 23, v0
	s_waitcnt vmcnt(8)
	ds_write_b32 v127, v25
	s_waitcnt lgkmcnt(0)
	; wave barrier
	s_and_saveexec_b64 s[4:5], vcc
	s_cbranch_execz .LBB30_698
; %bb.689:
	s_and_b64 vcc, exec, s[0:1]
	s_cbranch_vccnz .LBB30_691
; %bb.690:
	v_cmp_eq_u32_e32 vcc, 1, v0
	s_waitcnt vmcnt(6)
	v_cndmask_b32_e32 v33, v2, v3, vcc
	v_cmp_eq_u32_e32 vcc, 2, v0
	v_cndmask_b32_e32 v33, v33, v4, vcc
	v_cmp_eq_u32_e32 vcc, 3, v0
	v_cndmask_b32_e32 v33, v33, v5, vcc
	v_cmp_eq_u32_e32 vcc, 4, v0
	v_cndmask_b32_e32 v33, v33, v6, vcc
	v_cmp_eq_u32_e32 vcc, 5, v0
	v_cndmask_b32_e32 v33, v33, v7, vcc
	v_cmp_eq_u32_e32 vcc, 6, v0
	v_cndmask_b32_e32 v33, v33, v8, vcc
	v_cmp_eq_u32_e32 vcc, 7, v0
	v_cndmask_b32_e32 v33, v33, v9, vcc
	v_cmp_eq_u32_e32 vcc, 8, v0
	v_cndmask_b32_e32 v33, v33, v10, vcc
	v_cmp_eq_u32_e32 vcc, 9, v0
	v_cndmask_b32_e32 v33, v33, v11, vcc
	v_cmp_eq_u32_e32 vcc, 10, v0
	v_cndmask_b32_e32 v33, v33, v12, vcc
	v_cmp_eq_u32_e32 vcc, 11, v0
	v_cndmask_b32_e32 v33, v33, v13, vcc
	v_cmp_eq_u32_e32 vcc, 12, v0
	v_cndmask_b32_e32 v33, v33, v14, vcc
	v_cmp_eq_u32_e32 vcc, 13, v0
	v_cndmask_b32_e32 v33, v33, v15, vcc
	v_cmp_eq_u32_e32 vcc, 14, v0
	v_cndmask_b32_e32 v33, v33, v16, vcc
	v_cmp_eq_u32_e32 vcc, 15, v0
	v_cndmask_b32_e32 v33, v33, v17, vcc
	v_cmp_eq_u32_e32 vcc, 16, v0
	v_cndmask_b32_e32 v33, v33, v18, vcc
	v_cmp_eq_u32_e32 vcc, 17, v0
	v_cndmask_b32_e32 v33, v33, v19, vcc
	v_cmp_eq_u32_e32 vcc, 18, v0
	v_cndmask_b32_e32 v33, v33, v20, vcc
	v_cmp_eq_u32_e32 vcc, 19, v0
	v_cndmask_b32_e32 v33, v33, v21, vcc
	v_cmp_eq_u32_e32 vcc, 20, v0
	v_cndmask_b32_e32 v33, v33, v22, vcc
	v_cmp_eq_u32_e32 vcc, 21, v0
	v_cndmask_b32_e32 v33, v33, v23, vcc
	v_cmp_eq_u32_e32 vcc, 22, v0
	v_cndmask_b32_e32 v33, v33, v24, vcc
	v_cmp_eq_u32_e32 vcc, 23, v0
	v_cndmask_b32_e32 v33, v33, v25, vcc
	v_cmp_eq_u32_e32 vcc, 24, v0
	v_cndmask_b32_e32 v33, v33, v26, vcc
	v_cmp_eq_u32_e32 vcc, 25, v0
	s_waitcnt vmcnt(5)
	v_cndmask_b32_e32 v33, v33, v27, vcc
	v_cmp_eq_u32_e32 vcc, 26, v0
	s_waitcnt vmcnt(4)
	v_cndmask_b32_e32 v33, v33, v28, vcc
	v_cmp_eq_u32_e32 vcc, 27, v0
	ds_read_b32 v34, v127
	s_waitcnt vmcnt(3)
	v_cndmask_b32_e32 v33, v33, v29, vcc
	v_cmp_eq_u32_e32 vcc, 28, v0
	s_waitcnt vmcnt(2)
	v_cndmask_b32_e32 v33, v33, v30, vcc
	v_cmp_eq_u32_e32 vcc, 29, v0
	;; [unrolled: 3-line block ×3, first 2 shown]
	s_waitcnt vmcnt(0)
	v_cndmask_b32_e32 v33, v33, v32, vcc
	s_waitcnt lgkmcnt(0)
	v_mul_f32_e32 v35, v33, v34
	s_cbranch_execz .LBB30_692
	s_branch .LBB30_693
.LBB30_691:
                                        ; implicit-def: $vgpr35
.LBB30_692:
	ds_read_b32 v35, v127
.LBB30_693:
	v_cmp_ne_u32_e32 vcc, 22, v0
	s_and_saveexec_b64 s[6:7], vcc
	s_cbranch_execz .LBB30_697
; %bb.694:
	v_mov_b32_e32 v33, 0x84
	v_lshl_add_u32 v36, v0, 2, v33
	v_mov_b32_e32 v34, v1
	s_mov_b64 s[8:9], 0
	v_mov_b32_e32 v33, v0
.LBB30_695:                             ; =>This Inner Loop Header: Depth=1
	v_add_co_u32_e32 v33, vcc, 1, v33
	v_addc_co_u32_e32 v34, vcc, 0, v34, vcc
	v_cmp_eq_u32_e32 vcc, 1, v33
	s_waitcnt vmcnt(6)
	v_cndmask_b32_e32 v38, v2, v3, vcc
	v_cmp_lt_u32_e32 vcc, 21, v33
	v_cmp_eq_u32_e64 s[2:3], 2, v33
	v_cndmask_b32_e64 v38, v38, v4, s[2:3]
	s_or_b64 s[8:9], vcc, s[8:9]
	v_cmp_eq_u32_e32 vcc, 3, v33
	v_cndmask_b32_e32 v38, v38, v5, vcc
	v_cmp_eq_u32_e32 vcc, 4, v33
	v_cndmask_b32_e32 v38, v38, v6, vcc
	;; [unrolled: 2-line block ×22, first 2 shown]
	v_cmp_eq_u32_e32 vcc, 25, v33
	s_waitcnt vmcnt(5)
	v_cndmask_b32_e32 v38, v38, v27, vcc
	v_cmp_eq_u32_e32 vcc, 26, v33
	ds_read_b32 v37, v36
	s_waitcnt vmcnt(4)
	v_cndmask_b32_e32 v38, v38, v28, vcc
	v_cmp_eq_u32_e32 vcc, 27, v33
	s_waitcnt vmcnt(3)
	v_cndmask_b32_e32 v38, v38, v29, vcc
	v_cmp_eq_u32_e32 vcc, 28, v33
	;; [unrolled: 3-line block ×4, first 2 shown]
	s_waitcnt vmcnt(0)
	v_cndmask_b32_e32 v38, v38, v32, vcc
	v_add_u32_e32 v36, 4, v36
	s_waitcnt lgkmcnt(0)
	v_fmac_f32_e32 v35, v38, v37
	s_andn2_b64 exec, exec, s[8:9]
	s_cbranch_execnz .LBB30_695
; %bb.696:
	s_or_b64 exec, exec, s[8:9]
.LBB30_697:
	s_or_b64 exec, exec, s[6:7]
	v_mov_b32_e32 v25, 0
	ds_read_b32 v25, v25 offset:92
	s_waitcnt lgkmcnt(0)
	v_mul_f32_e32 v25, v35, v25
.LBB30_698:
	s_or_b64 exec, exec, s[4:5]
	v_cmp_gt_u32_e32 vcc, 24, v0
	s_waitcnt vmcnt(7)
	ds_write_b32 v127, v26
	s_waitcnt lgkmcnt(0)
	; wave barrier
	s_and_saveexec_b64 s[4:5], vcc
	s_cbranch_execz .LBB30_708
; %bb.699:
	s_and_b64 vcc, exec, s[0:1]
	s_cbranch_vccnz .LBB30_701
; %bb.700:
	v_cmp_eq_u32_e32 vcc, 1, v0
	s_waitcnt vmcnt(6)
	v_cndmask_b32_e32 v33, v2, v3, vcc
	v_cmp_eq_u32_e32 vcc, 2, v0
	v_cndmask_b32_e32 v33, v33, v4, vcc
	v_cmp_eq_u32_e32 vcc, 3, v0
	;; [unrolled: 2-line block ×24, first 2 shown]
	s_waitcnt vmcnt(5)
	v_cndmask_b32_e32 v33, v33, v27, vcc
	v_cmp_eq_u32_e32 vcc, 26, v0
	s_waitcnt vmcnt(4)
	v_cndmask_b32_e32 v33, v33, v28, vcc
	v_cmp_eq_u32_e32 vcc, 27, v0
	ds_read_b32 v34, v127
	s_waitcnt vmcnt(3)
	v_cndmask_b32_e32 v33, v33, v29, vcc
	v_cmp_eq_u32_e32 vcc, 28, v0
	s_waitcnt vmcnt(2)
	v_cndmask_b32_e32 v33, v33, v30, vcc
	v_cmp_eq_u32_e32 vcc, 29, v0
	;; [unrolled: 3-line block ×3, first 2 shown]
	s_waitcnt vmcnt(0)
	v_cndmask_b32_e32 v33, v33, v32, vcc
	s_waitcnt lgkmcnt(0)
	v_mul_f32_e32 v35, v33, v34
	s_cbranch_execz .LBB30_702
	s_branch .LBB30_703
.LBB30_701:
                                        ; implicit-def: $vgpr35
.LBB30_702:
	ds_read_b32 v35, v127
.LBB30_703:
	v_cmp_ne_u32_e32 vcc, 23, v0
	s_and_saveexec_b64 s[6:7], vcc
	s_cbranch_execz .LBB30_707
; %bb.704:
	v_mov_b32_e32 v33, 0x84
	v_lshl_add_u32 v36, v0, 2, v33
	v_mov_b32_e32 v34, v1
	s_mov_b64 s[8:9], 0
	v_mov_b32_e32 v33, v0
.LBB30_705:                             ; =>This Inner Loop Header: Depth=1
	v_add_co_u32_e32 v33, vcc, 1, v33
	v_addc_co_u32_e32 v34, vcc, 0, v34, vcc
	v_cmp_eq_u32_e32 vcc, 1, v33
	s_waitcnt vmcnt(6)
	v_cndmask_b32_e32 v38, v2, v3, vcc
	v_cmp_lt_u32_e32 vcc, 22, v33
	v_cmp_eq_u32_e64 s[2:3], 2, v33
	v_cndmask_b32_e64 v38, v38, v4, s[2:3]
	s_or_b64 s[8:9], vcc, s[8:9]
	v_cmp_eq_u32_e32 vcc, 3, v33
	v_cndmask_b32_e32 v38, v38, v5, vcc
	v_cmp_eq_u32_e32 vcc, 4, v33
	v_cndmask_b32_e32 v38, v38, v6, vcc
	;; [unrolled: 2-line block ×22, first 2 shown]
	v_cmp_eq_u32_e32 vcc, 25, v33
	s_waitcnt vmcnt(5)
	v_cndmask_b32_e32 v38, v38, v27, vcc
	v_cmp_eq_u32_e32 vcc, 26, v33
	ds_read_b32 v37, v36
	s_waitcnt vmcnt(4)
	v_cndmask_b32_e32 v38, v38, v28, vcc
	v_cmp_eq_u32_e32 vcc, 27, v33
	s_waitcnt vmcnt(3)
	v_cndmask_b32_e32 v38, v38, v29, vcc
	v_cmp_eq_u32_e32 vcc, 28, v33
	;; [unrolled: 3-line block ×4, first 2 shown]
	s_waitcnt vmcnt(0)
	v_cndmask_b32_e32 v38, v38, v32, vcc
	v_add_u32_e32 v36, 4, v36
	s_waitcnt lgkmcnt(0)
	v_fmac_f32_e32 v35, v38, v37
	s_andn2_b64 exec, exec, s[8:9]
	s_cbranch_execnz .LBB30_705
; %bb.706:
	s_or_b64 exec, exec, s[8:9]
.LBB30_707:
	s_or_b64 exec, exec, s[6:7]
	v_mov_b32_e32 v26, 0
	ds_read_b32 v26, v26 offset:96
	s_waitcnt lgkmcnt(0)
	v_mul_f32_e32 v26, v35, v26
.LBB30_708:
	s_or_b64 exec, exec, s[4:5]
	v_cmp_gt_u32_e32 vcc, 25, v0
	s_waitcnt vmcnt(5)
	ds_write_b32 v127, v27
	s_waitcnt lgkmcnt(0)
	; wave barrier
	s_and_saveexec_b64 s[4:5], vcc
	s_cbranch_execz .LBB30_718
; %bb.709:
	s_and_b64 vcc, exec, s[0:1]
	s_cbranch_vccnz .LBB30_711
; %bb.710:
	v_cmp_eq_u32_e32 vcc, 1, v0
	v_cndmask_b32_e32 v33, v2, v3, vcc
	v_cmp_eq_u32_e32 vcc, 2, v0
	v_cndmask_b32_e32 v33, v33, v4, vcc
	;; [unrolled: 2-line block ×25, first 2 shown]
	v_cmp_eq_u32_e32 vcc, 26, v0
	s_waitcnt vmcnt(4)
	v_cndmask_b32_e32 v33, v33, v28, vcc
	v_cmp_eq_u32_e32 vcc, 27, v0
	ds_read_b32 v34, v127
	s_waitcnt vmcnt(3)
	v_cndmask_b32_e32 v33, v33, v29, vcc
	v_cmp_eq_u32_e32 vcc, 28, v0
	s_waitcnt vmcnt(2)
	v_cndmask_b32_e32 v33, v33, v30, vcc
	v_cmp_eq_u32_e32 vcc, 29, v0
	;; [unrolled: 3-line block ×3, first 2 shown]
	s_waitcnt vmcnt(0)
	v_cndmask_b32_e32 v33, v33, v32, vcc
	s_waitcnt lgkmcnt(0)
	v_mul_f32_e32 v35, v33, v34
	s_cbranch_execz .LBB30_712
	s_branch .LBB30_713
.LBB30_711:
                                        ; implicit-def: $vgpr35
.LBB30_712:
	ds_read_b32 v35, v127
.LBB30_713:
	v_cmp_ne_u32_e32 vcc, 24, v0
	s_and_saveexec_b64 s[6:7], vcc
	s_cbranch_execz .LBB30_717
; %bb.714:
	v_mov_b32_e32 v33, 0x84
	v_lshl_add_u32 v36, v0, 2, v33
	v_mov_b32_e32 v34, v1
	s_mov_b64 s[8:9], 0
	v_mov_b32_e32 v33, v0
.LBB30_715:                             ; =>This Inner Loop Header: Depth=1
	v_add_co_u32_e32 v33, vcc, 1, v33
	v_addc_co_u32_e32 v34, vcc, 0, v34, vcc
	v_cmp_eq_u32_e32 vcc, 1, v33
	v_cndmask_b32_e32 v38, v2, v3, vcc
	v_cmp_lt_u32_e32 vcc, 23, v33
	v_cmp_eq_u32_e64 s[2:3], 2, v33
	v_cndmask_b32_e64 v38, v38, v4, s[2:3]
	s_or_b64 s[8:9], vcc, s[8:9]
	v_cmp_eq_u32_e32 vcc, 3, v33
	v_cndmask_b32_e32 v38, v38, v5, vcc
	v_cmp_eq_u32_e32 vcc, 4, v33
	v_cndmask_b32_e32 v38, v38, v6, vcc
	;; [unrolled: 2-line block ×23, first 2 shown]
	v_cmp_eq_u32_e32 vcc, 26, v33
	ds_read_b32 v37, v36
	s_waitcnt vmcnt(4)
	v_cndmask_b32_e32 v38, v38, v28, vcc
	v_cmp_eq_u32_e32 vcc, 27, v33
	s_waitcnt vmcnt(3)
	v_cndmask_b32_e32 v38, v38, v29, vcc
	v_cmp_eq_u32_e32 vcc, 28, v33
	;; [unrolled: 3-line block ×4, first 2 shown]
	s_waitcnt vmcnt(0)
	v_cndmask_b32_e32 v38, v38, v32, vcc
	v_add_u32_e32 v36, 4, v36
	s_waitcnt lgkmcnt(0)
	v_fmac_f32_e32 v35, v38, v37
	s_andn2_b64 exec, exec, s[8:9]
	s_cbranch_execnz .LBB30_715
; %bb.716:
	s_or_b64 exec, exec, s[8:9]
.LBB30_717:
	s_or_b64 exec, exec, s[6:7]
	v_mov_b32_e32 v27, 0
	ds_read_b32 v27, v27 offset:100
	s_waitcnt lgkmcnt(0)
	v_mul_f32_e32 v27, v35, v27
.LBB30_718:
	s_or_b64 exec, exec, s[4:5]
	v_cmp_gt_u32_e32 vcc, 26, v0
	s_waitcnt vmcnt(4)
	ds_write_b32 v127, v28
	s_waitcnt lgkmcnt(0)
	; wave barrier
	s_and_saveexec_b64 s[4:5], vcc
	s_cbranch_execz .LBB30_728
; %bb.719:
	s_and_b64 vcc, exec, s[0:1]
	s_cbranch_vccnz .LBB30_721
; %bb.720:
	v_cmp_eq_u32_e32 vcc, 1, v0
	v_cndmask_b32_e32 v33, v2, v3, vcc
	v_cmp_eq_u32_e32 vcc, 2, v0
	v_cndmask_b32_e32 v33, v33, v4, vcc
	;; [unrolled: 2-line block ×26, first 2 shown]
	v_cmp_eq_u32_e32 vcc, 27, v0
	ds_read_b32 v34, v127
	s_waitcnt vmcnt(3)
	v_cndmask_b32_e32 v33, v33, v29, vcc
	v_cmp_eq_u32_e32 vcc, 28, v0
	s_waitcnt vmcnt(2)
	v_cndmask_b32_e32 v33, v33, v30, vcc
	v_cmp_eq_u32_e32 vcc, 29, v0
	s_waitcnt vmcnt(1)
	v_cndmask_b32_e32 v33, v33, v31, vcc
	v_cmp_eq_u32_e32 vcc, 30, v0
	s_waitcnt vmcnt(0)
	v_cndmask_b32_e32 v33, v33, v32, vcc
	s_waitcnt lgkmcnt(0)
	v_mul_f32_e32 v35, v33, v34
	s_cbranch_execz .LBB30_722
	s_branch .LBB30_723
.LBB30_721:
                                        ; implicit-def: $vgpr35
.LBB30_722:
	ds_read_b32 v35, v127
.LBB30_723:
	v_cmp_ne_u32_e32 vcc, 25, v0
	s_and_saveexec_b64 s[6:7], vcc
	s_cbranch_execz .LBB30_727
; %bb.724:
	v_mov_b32_e32 v33, 0x84
	v_lshl_add_u32 v36, v0, 2, v33
	v_mov_b32_e32 v34, v1
	s_mov_b64 s[8:9], 0
	v_mov_b32_e32 v33, v0
.LBB30_725:                             ; =>This Inner Loop Header: Depth=1
	v_add_co_u32_e32 v33, vcc, 1, v33
	v_addc_co_u32_e32 v34, vcc, 0, v34, vcc
	v_cmp_eq_u32_e32 vcc, 1, v33
	v_cndmask_b32_e32 v38, v2, v3, vcc
	v_cmp_lt_u32_e32 vcc, 24, v33
	v_cmp_eq_u32_e64 s[2:3], 2, v33
	v_cndmask_b32_e64 v38, v38, v4, s[2:3]
	s_or_b64 s[8:9], vcc, s[8:9]
	v_cmp_eq_u32_e32 vcc, 3, v33
	v_cndmask_b32_e32 v38, v38, v5, vcc
	v_cmp_eq_u32_e32 vcc, 4, v33
	v_cndmask_b32_e32 v38, v38, v6, vcc
	;; [unrolled: 2-line block ×23, first 2 shown]
	v_cmp_eq_u32_e32 vcc, 26, v33
	ds_read_b32 v37, v36
	v_cndmask_b32_e32 v38, v38, v28, vcc
	v_cmp_eq_u32_e32 vcc, 27, v33
	s_waitcnt vmcnt(3)
	v_cndmask_b32_e32 v38, v38, v29, vcc
	v_cmp_eq_u32_e32 vcc, 28, v33
	s_waitcnt vmcnt(2)
	;; [unrolled: 3-line block ×4, first 2 shown]
	v_cndmask_b32_e32 v38, v38, v32, vcc
	v_add_u32_e32 v36, 4, v36
	s_waitcnt lgkmcnt(0)
	v_fmac_f32_e32 v35, v38, v37
	s_andn2_b64 exec, exec, s[8:9]
	s_cbranch_execnz .LBB30_725
; %bb.726:
	s_or_b64 exec, exec, s[8:9]
.LBB30_727:
	s_or_b64 exec, exec, s[6:7]
	v_mov_b32_e32 v28, 0
	ds_read_b32 v28, v28 offset:104
	s_waitcnt lgkmcnt(0)
	v_mul_f32_e32 v28, v35, v28
.LBB30_728:
	s_or_b64 exec, exec, s[4:5]
	v_cmp_gt_u32_e32 vcc, 27, v0
	s_waitcnt vmcnt(3)
	ds_write_b32 v127, v29
	s_waitcnt lgkmcnt(0)
	; wave barrier
	s_and_saveexec_b64 s[4:5], vcc
	s_cbranch_execz .LBB30_738
; %bb.729:
	s_and_b64 vcc, exec, s[0:1]
	s_cbranch_vccnz .LBB30_731
; %bb.730:
	v_cmp_eq_u32_e32 vcc, 1, v0
	v_cndmask_b32_e32 v33, v2, v3, vcc
	v_cmp_eq_u32_e32 vcc, 2, v0
	v_cndmask_b32_e32 v33, v33, v4, vcc
	;; [unrolled: 2-line block ×26, first 2 shown]
	v_cmp_eq_u32_e32 vcc, 27, v0
	ds_read_b32 v34, v127
	v_cndmask_b32_e32 v33, v33, v29, vcc
	v_cmp_eq_u32_e32 vcc, 28, v0
	s_waitcnt vmcnt(2)
	v_cndmask_b32_e32 v33, v33, v30, vcc
	v_cmp_eq_u32_e32 vcc, 29, v0
	s_waitcnt vmcnt(1)
	;; [unrolled: 3-line block ×3, first 2 shown]
	v_cndmask_b32_e32 v33, v33, v32, vcc
	s_waitcnt lgkmcnt(0)
	v_mul_f32_e32 v35, v33, v34
	s_cbranch_execz .LBB30_732
	s_branch .LBB30_733
.LBB30_731:
                                        ; implicit-def: $vgpr35
.LBB30_732:
	ds_read_b32 v35, v127
.LBB30_733:
	v_cmp_ne_u32_e32 vcc, 26, v0
	s_and_saveexec_b64 s[6:7], vcc
	s_cbranch_execz .LBB30_737
; %bb.734:
	v_mov_b32_e32 v33, 0x84
	v_lshl_add_u32 v36, v0, 2, v33
	v_mov_b32_e32 v34, v1
	s_mov_b64 s[8:9], 0
	v_mov_b32_e32 v33, v0
.LBB30_735:                             ; =>This Inner Loop Header: Depth=1
	v_add_co_u32_e32 v33, vcc, 1, v33
	v_addc_co_u32_e32 v34, vcc, 0, v34, vcc
	v_cmp_eq_u32_e32 vcc, 1, v33
	v_cndmask_b32_e32 v38, v2, v3, vcc
	v_cmp_lt_u32_e32 vcc, 25, v33
	v_cmp_eq_u32_e64 s[2:3], 2, v33
	v_cndmask_b32_e64 v38, v38, v4, s[2:3]
	s_or_b64 s[8:9], vcc, s[8:9]
	v_cmp_eq_u32_e32 vcc, 3, v33
	v_cndmask_b32_e32 v38, v38, v5, vcc
	v_cmp_eq_u32_e32 vcc, 4, v33
	v_cndmask_b32_e32 v38, v38, v6, vcc
	;; [unrolled: 2-line block ×23, first 2 shown]
	v_cmp_eq_u32_e32 vcc, 26, v33
	ds_read_b32 v37, v36
	v_cndmask_b32_e32 v38, v38, v28, vcc
	v_cmp_eq_u32_e32 vcc, 27, v33
	v_cndmask_b32_e32 v38, v38, v29, vcc
	v_cmp_eq_u32_e32 vcc, 28, v33
	s_waitcnt vmcnt(2)
	v_cndmask_b32_e32 v38, v38, v30, vcc
	v_cmp_eq_u32_e32 vcc, 29, v33
	s_waitcnt vmcnt(1)
	v_cndmask_b32_e32 v38, v38, v31, vcc
	v_cmp_eq_u32_e32 vcc, 30, v33
	s_waitcnt vmcnt(0)
	v_cndmask_b32_e32 v38, v38, v32, vcc
	v_add_u32_e32 v36, 4, v36
	s_waitcnt lgkmcnt(0)
	v_fmac_f32_e32 v35, v38, v37
	s_andn2_b64 exec, exec, s[8:9]
	s_cbranch_execnz .LBB30_735
; %bb.736:
	s_or_b64 exec, exec, s[8:9]
.LBB30_737:
	s_or_b64 exec, exec, s[6:7]
	v_mov_b32_e32 v29, 0
	ds_read_b32 v29, v29 offset:108
	s_waitcnt lgkmcnt(0)
	v_mul_f32_e32 v29, v35, v29
.LBB30_738:
	s_or_b64 exec, exec, s[4:5]
	v_cmp_gt_u32_e32 vcc, 28, v0
	s_waitcnt vmcnt(2)
	ds_write_b32 v127, v30
	s_waitcnt lgkmcnt(0)
	; wave barrier
	s_and_saveexec_b64 s[4:5], vcc
	s_cbranch_execz .LBB30_748
; %bb.739:
	s_and_b64 vcc, exec, s[0:1]
	s_cbranch_vccnz .LBB30_741
; %bb.740:
	v_cmp_eq_u32_e32 vcc, 1, v0
	v_cndmask_b32_e32 v33, v2, v3, vcc
	v_cmp_eq_u32_e32 vcc, 2, v0
	v_cndmask_b32_e32 v33, v33, v4, vcc
	;; [unrolled: 2-line block ×26, first 2 shown]
	v_cmp_eq_u32_e32 vcc, 27, v0
	ds_read_b32 v34, v127
	v_cndmask_b32_e32 v33, v33, v29, vcc
	v_cmp_eq_u32_e32 vcc, 28, v0
	v_cndmask_b32_e32 v33, v33, v30, vcc
	v_cmp_eq_u32_e32 vcc, 29, v0
	s_waitcnt vmcnt(1)
	v_cndmask_b32_e32 v33, v33, v31, vcc
	v_cmp_eq_u32_e32 vcc, 30, v0
	s_waitcnt vmcnt(0)
	v_cndmask_b32_e32 v33, v33, v32, vcc
	s_waitcnt lgkmcnt(0)
	v_mul_f32_e32 v35, v33, v34
	s_cbranch_execz .LBB30_742
	s_branch .LBB30_743
.LBB30_741:
                                        ; implicit-def: $vgpr35
.LBB30_742:
	ds_read_b32 v35, v127
.LBB30_743:
	v_cmp_ne_u32_e32 vcc, 27, v0
	s_and_saveexec_b64 s[6:7], vcc
	s_cbranch_execz .LBB30_747
; %bb.744:
	v_mov_b32_e32 v33, 0x84
	v_lshl_add_u32 v36, v0, 2, v33
	v_mov_b32_e32 v34, v1
	s_mov_b64 s[8:9], 0
	v_mov_b32_e32 v33, v0
.LBB30_745:                             ; =>This Inner Loop Header: Depth=1
	v_add_co_u32_e32 v33, vcc, 1, v33
	v_addc_co_u32_e32 v34, vcc, 0, v34, vcc
	v_cmp_eq_u32_e32 vcc, 1, v33
	v_cndmask_b32_e32 v38, v2, v3, vcc
	v_cmp_lt_u32_e32 vcc, 26, v33
	v_cmp_eq_u32_e64 s[2:3], 2, v33
	v_cndmask_b32_e64 v38, v38, v4, s[2:3]
	s_or_b64 s[8:9], vcc, s[8:9]
	v_cmp_eq_u32_e32 vcc, 3, v33
	v_cndmask_b32_e32 v38, v38, v5, vcc
	v_cmp_eq_u32_e32 vcc, 4, v33
	v_cndmask_b32_e32 v38, v38, v6, vcc
	;; [unrolled: 2-line block ×23, first 2 shown]
	v_cmp_eq_u32_e32 vcc, 26, v33
	ds_read_b32 v37, v36
	v_cndmask_b32_e32 v38, v38, v28, vcc
	v_cmp_eq_u32_e32 vcc, 27, v33
	v_cndmask_b32_e32 v38, v38, v29, vcc
	v_cmp_eq_u32_e32 vcc, 28, v33
	;; [unrolled: 2-line block ×3, first 2 shown]
	s_waitcnt vmcnt(1)
	v_cndmask_b32_e32 v38, v38, v31, vcc
	v_cmp_eq_u32_e32 vcc, 30, v33
	s_waitcnt vmcnt(0)
	v_cndmask_b32_e32 v38, v38, v32, vcc
	v_add_u32_e32 v36, 4, v36
	s_waitcnt lgkmcnt(0)
	v_fmac_f32_e32 v35, v38, v37
	s_andn2_b64 exec, exec, s[8:9]
	s_cbranch_execnz .LBB30_745
; %bb.746:
	s_or_b64 exec, exec, s[8:9]
.LBB30_747:
	s_or_b64 exec, exec, s[6:7]
	v_mov_b32_e32 v30, 0
	ds_read_b32 v30, v30 offset:112
	s_waitcnt lgkmcnt(0)
	v_mul_f32_e32 v30, v35, v30
.LBB30_748:
	s_or_b64 exec, exec, s[4:5]
	v_cmp_gt_u32_e64 s[2:3], 29, v0
	s_waitcnt vmcnt(1)
	ds_write_b32 v127, v31
	s_waitcnt lgkmcnt(0)
	; wave barrier
	s_and_saveexec_b64 s[6:7], s[2:3]
	s_cbranch_execz .LBB30_758
; %bb.749:
	s_and_b64 vcc, exec, s[0:1]
	s_cbranch_vccnz .LBB30_751
; %bb.750:
	v_cmp_eq_u32_e32 vcc, 1, v0
	v_cndmask_b32_e32 v33, v2, v3, vcc
	v_cmp_eq_u32_e32 vcc, 2, v0
	v_cndmask_b32_e32 v33, v33, v4, vcc
	v_cmp_eq_u32_e32 vcc, 3, v0
	v_cndmask_b32_e32 v33, v33, v5, vcc
	v_cmp_eq_u32_e32 vcc, 4, v0
	v_cndmask_b32_e32 v33, v33, v6, vcc
	v_cmp_eq_u32_e32 vcc, 5, v0
	v_cndmask_b32_e32 v33, v33, v7, vcc
	v_cmp_eq_u32_e32 vcc, 6, v0
	v_cndmask_b32_e32 v33, v33, v8, vcc
	v_cmp_eq_u32_e32 vcc, 7, v0
	v_cndmask_b32_e32 v33, v33, v9, vcc
	v_cmp_eq_u32_e32 vcc, 8, v0
	v_cndmask_b32_e32 v33, v33, v10, vcc
	v_cmp_eq_u32_e32 vcc, 9, v0
	v_cndmask_b32_e32 v33, v33, v11, vcc
	v_cmp_eq_u32_e32 vcc, 10, v0
	v_cndmask_b32_e32 v33, v33, v12, vcc
	v_cmp_eq_u32_e32 vcc, 11, v0
	v_cndmask_b32_e32 v33, v33, v13, vcc
	v_cmp_eq_u32_e32 vcc, 12, v0
	v_cndmask_b32_e32 v33, v33, v14, vcc
	v_cmp_eq_u32_e32 vcc, 13, v0
	v_cndmask_b32_e32 v33, v33, v15, vcc
	v_cmp_eq_u32_e32 vcc, 14, v0
	v_cndmask_b32_e32 v33, v33, v16, vcc
	v_cmp_eq_u32_e32 vcc, 15, v0
	v_cndmask_b32_e32 v33, v33, v17, vcc
	v_cmp_eq_u32_e32 vcc, 16, v0
	v_cndmask_b32_e32 v33, v33, v18, vcc
	v_cmp_eq_u32_e32 vcc, 17, v0
	v_cndmask_b32_e32 v33, v33, v19, vcc
	v_cmp_eq_u32_e32 vcc, 18, v0
	v_cndmask_b32_e32 v33, v33, v20, vcc
	v_cmp_eq_u32_e32 vcc, 19, v0
	v_cndmask_b32_e32 v33, v33, v21, vcc
	v_cmp_eq_u32_e32 vcc, 20, v0
	v_cndmask_b32_e32 v33, v33, v22, vcc
	v_cmp_eq_u32_e32 vcc, 21, v0
	v_cndmask_b32_e32 v33, v33, v23, vcc
	v_cmp_eq_u32_e32 vcc, 22, v0
	v_cndmask_b32_e32 v33, v33, v24, vcc
	v_cmp_eq_u32_e32 vcc, 23, v0
	v_cndmask_b32_e32 v33, v33, v25, vcc
	v_cmp_eq_u32_e32 vcc, 24, v0
	v_cndmask_b32_e32 v33, v33, v26, vcc
	v_cmp_eq_u32_e32 vcc, 25, v0
	v_cndmask_b32_e32 v33, v33, v27, vcc
	v_cmp_eq_u32_e32 vcc, 26, v0
	v_cndmask_b32_e32 v33, v33, v28, vcc
	v_cmp_eq_u32_e32 vcc, 27, v0
	ds_read_b32 v34, v127
	v_cndmask_b32_e32 v33, v33, v29, vcc
	v_cmp_eq_u32_e32 vcc, 28, v0
	v_cndmask_b32_e32 v33, v33, v30, vcc
	v_cmp_eq_u32_e32 vcc, 29, v0
	;; [unrolled: 2-line block ×3, first 2 shown]
	s_waitcnt vmcnt(0)
	v_cndmask_b32_e32 v33, v33, v32, vcc
	s_waitcnt lgkmcnt(0)
	v_mul_f32_e32 v35, v33, v34
	s_cbranch_execz .LBB30_752
	s_branch .LBB30_753
.LBB30_751:
                                        ; implicit-def: $vgpr35
.LBB30_752:
	ds_read_b32 v35, v127
.LBB30_753:
	v_cmp_ne_u32_e32 vcc, 28, v0
	s_and_saveexec_b64 s[8:9], vcc
	s_cbranch_execz .LBB30_757
; %bb.754:
	v_mov_b32_e32 v33, 0x84
	v_lshl_add_u32 v36, v0, 2, v33
	v_mov_b32_e32 v34, v1
	s_mov_b64 s[10:11], 0
	v_mov_b32_e32 v33, v0
.LBB30_755:                             ; =>This Inner Loop Header: Depth=1
	v_add_co_u32_e32 v33, vcc, 1, v33
	v_addc_co_u32_e32 v34, vcc, 0, v34, vcc
	v_cmp_eq_u32_e32 vcc, 1, v33
	v_cndmask_b32_e32 v38, v2, v3, vcc
	v_cmp_lt_u32_e32 vcc, 27, v33
	v_cmp_eq_u32_e64 s[4:5], 2, v33
	v_cndmask_b32_e64 v38, v38, v4, s[4:5]
	s_or_b64 s[10:11], vcc, s[10:11]
	v_cmp_eq_u32_e32 vcc, 3, v33
	v_cndmask_b32_e32 v38, v38, v5, vcc
	v_cmp_eq_u32_e32 vcc, 4, v33
	v_cndmask_b32_e32 v38, v38, v6, vcc
	;; [unrolled: 2-line block ×23, first 2 shown]
	v_cmp_eq_u32_e32 vcc, 26, v33
	ds_read_b32 v37, v36
	v_cndmask_b32_e32 v38, v38, v28, vcc
	v_cmp_eq_u32_e32 vcc, 27, v33
	v_cndmask_b32_e32 v38, v38, v29, vcc
	v_cmp_eq_u32_e32 vcc, 28, v33
	;; [unrolled: 2-line block ×4, first 2 shown]
	s_waitcnt vmcnt(0)
	v_cndmask_b32_e32 v38, v38, v32, vcc
	v_add_u32_e32 v36, 4, v36
	s_waitcnt lgkmcnt(0)
	v_fmac_f32_e32 v35, v38, v37
	s_andn2_b64 exec, exec, s[10:11]
	s_cbranch_execnz .LBB30_755
; %bb.756:
	s_or_b64 exec, exec, s[10:11]
.LBB30_757:
	s_or_b64 exec, exec, s[8:9]
	v_mov_b32_e32 v31, 0
	ds_read_b32 v31, v31 offset:116
	s_waitcnt lgkmcnt(0)
	v_mul_f32_e32 v31, v35, v31
.LBB30_758:
	s_or_b64 exec, exec, s[6:7]
	v_cmp_ne_u32_e32 vcc, 30, v0
	s_waitcnt vmcnt(0)
	ds_write_b32 v127, v32
	s_waitcnt lgkmcnt(0)
	; wave barrier
	s_and_saveexec_b64 s[4:5], vcc
	s_cbranch_execz .LBB30_768
; %bb.759:
	s_and_b64 vcc, exec, s[0:1]
	s_cbranch_vccnz .LBB30_761
; %bb.760:
	v_cmp_eq_u32_e32 vcc, 1, v0
	v_cndmask_b32_e32 v33, v2, v3, vcc
	v_cmp_eq_u32_e32 vcc, 2, v0
	v_cndmask_b32_e32 v33, v33, v4, vcc
	;; [unrolled: 2-line block ×26, first 2 shown]
	v_cmp_eq_u32_e32 vcc, 27, v0
	ds_read_b32 v34, v127
	v_cndmask_b32_e32 v33, v33, v29, vcc
	v_cmp_eq_u32_e32 vcc, 28, v0
	v_cndmask_b32_e32 v33, v33, v30, vcc
	v_cmp_eq_u32_e32 vcc, 29, v0
	v_cndmask_b32_e32 v33, v33, v31, vcc
	v_cmp_eq_u32_e32 vcc, 30, v0
	v_cndmask_b32_e32 v33, v33, v32, vcc
	s_waitcnt lgkmcnt(0)
	v_mul_f32_e32 v33, v33, v34
	s_cbranch_execz .LBB30_762
	s_branch .LBB30_763
.LBB30_761:
                                        ; implicit-def: $vgpr33
.LBB30_762:
	ds_read_b32 v33, v127
.LBB30_763:
	s_and_saveexec_b64 s[6:7], s[2:3]
	s_cbranch_execz .LBB30_767
; %bb.764:
	v_mov_b32_e32 v34, 0x84
	v_lshl_add_u32 v34, v0, 2, v34
	s_mov_b64 s[2:3], 0
.LBB30_765:                             ; =>This Inner Loop Header: Depth=1
	v_add_co_u32_e32 v0, vcc, 1, v0
	v_addc_co_u32_e32 v1, vcc, 0, v1, vcc
	v_cmp_eq_u32_e32 vcc, 1, v0
	v_cndmask_b32_e32 v36, v2, v3, vcc
	v_cmp_lt_u32_e32 vcc, 28, v0
	v_cmp_eq_u32_e64 s[0:1], 2, v0
	v_cndmask_b32_e64 v36, v36, v4, s[0:1]
	s_or_b64 s[2:3], vcc, s[2:3]
	v_cmp_eq_u32_e32 vcc, 3, v0
	v_cndmask_b32_e32 v36, v36, v5, vcc
	v_cmp_eq_u32_e32 vcc, 4, v0
	v_cndmask_b32_e32 v36, v36, v6, vcc
	;; [unrolled: 2-line block ×23, first 2 shown]
	v_cmp_eq_u32_e32 vcc, 26, v0
	ds_read_b32 v35, v34
	v_cndmask_b32_e32 v36, v36, v28, vcc
	v_cmp_eq_u32_e32 vcc, 27, v0
	v_cndmask_b32_e32 v36, v36, v29, vcc
	v_cmp_eq_u32_e32 vcc, 28, v0
	;; [unrolled: 2-line block ×4, first 2 shown]
	v_cndmask_b32_e32 v36, v36, v32, vcc
	v_add_u32_e32 v34, 4, v34
	s_waitcnt lgkmcnt(0)
	v_fmac_f32_e32 v33, v36, v35
	s_andn2_b64 exec, exec, s[2:3]
	s_cbranch_execnz .LBB30_765
; %bb.766:
	s_or_b64 exec, exec, s[2:3]
.LBB30_767:
	s_or_b64 exec, exec, s[6:7]
	v_mov_b32_e32 v0, 0
	ds_read_b32 v0, v0 offset:120
	s_waitcnt lgkmcnt(0)
	v_mul_f32_e32 v32, v33, v0
.LBB30_768:
	s_or_b64 exec, exec, s[4:5]
	v_mov_b32_e32 v64, v33
	v_mov_b32_e32 v63, v32
	;; [unrolled: 1-line block ×32, first 2 shown]
.LBB30_769:
	global_store_dword v[123:124], v33, off
	global_store_dword v[125:126], v34, off
	;; [unrolled: 1-line block ×31, first 2 shown]
.LBB30_770:
	s_endpgm
	.section	.rodata,"a",@progbits
	.p2align	6, 0x0
	.amdhsa_kernel _ZN9rocsolver6v33100L18trti2_kernel_smallILi31EfPfEEv13rocblas_fill_17rocblas_diagonal_T1_iil
		.amdhsa_group_segment_fixed_size 252
		.amdhsa_private_segment_fixed_size 0
		.amdhsa_kernarg_size 32
		.amdhsa_user_sgpr_count 6
		.amdhsa_user_sgpr_private_segment_buffer 1
		.amdhsa_user_sgpr_dispatch_ptr 0
		.amdhsa_user_sgpr_queue_ptr 0
		.amdhsa_user_sgpr_kernarg_segment_ptr 1
		.amdhsa_user_sgpr_dispatch_id 0
		.amdhsa_user_sgpr_flat_scratch_init 0
		.amdhsa_user_sgpr_private_segment_size 0
		.amdhsa_uses_dynamic_stack 0
		.amdhsa_system_sgpr_private_segment_wavefront_offset 0
		.amdhsa_system_sgpr_workgroup_id_x 1
		.amdhsa_system_sgpr_workgroup_id_y 0
		.amdhsa_system_sgpr_workgroup_id_z 0
		.amdhsa_system_sgpr_workgroup_info 0
		.amdhsa_system_vgpr_workitem_id 0
		.amdhsa_next_free_vgpr 145
		.amdhsa_next_free_sgpr 72
		.amdhsa_reserve_vcc 1
		.amdhsa_reserve_flat_scratch 0
		.amdhsa_float_round_mode_32 0
		.amdhsa_float_round_mode_16_64 0
		.amdhsa_float_denorm_mode_32 3
		.amdhsa_float_denorm_mode_16_64 3
		.amdhsa_dx10_clamp 1
		.amdhsa_ieee_mode 1
		.amdhsa_fp16_overflow 0
		.amdhsa_exception_fp_ieee_invalid_op 0
		.amdhsa_exception_fp_denorm_src 0
		.amdhsa_exception_fp_ieee_div_zero 0
		.amdhsa_exception_fp_ieee_overflow 0
		.amdhsa_exception_fp_ieee_underflow 0
		.amdhsa_exception_fp_ieee_inexact 0
		.amdhsa_exception_int_div_zero 0
	.end_amdhsa_kernel
	.section	.text._ZN9rocsolver6v33100L18trti2_kernel_smallILi31EfPfEEv13rocblas_fill_17rocblas_diagonal_T1_iil,"axG",@progbits,_ZN9rocsolver6v33100L18trti2_kernel_smallILi31EfPfEEv13rocblas_fill_17rocblas_diagonal_T1_iil,comdat
.Lfunc_end30:
	.size	_ZN9rocsolver6v33100L18trti2_kernel_smallILi31EfPfEEv13rocblas_fill_17rocblas_diagonal_T1_iil, .Lfunc_end30-_ZN9rocsolver6v33100L18trti2_kernel_smallILi31EfPfEEv13rocblas_fill_17rocblas_diagonal_T1_iil
                                        ; -- End function
	.set _ZN9rocsolver6v33100L18trti2_kernel_smallILi31EfPfEEv13rocblas_fill_17rocblas_diagonal_T1_iil.num_vgpr, 145
	.set _ZN9rocsolver6v33100L18trti2_kernel_smallILi31EfPfEEv13rocblas_fill_17rocblas_diagonal_T1_iil.num_agpr, 0
	.set _ZN9rocsolver6v33100L18trti2_kernel_smallILi31EfPfEEv13rocblas_fill_17rocblas_diagonal_T1_iil.numbered_sgpr, 72
	.set _ZN9rocsolver6v33100L18trti2_kernel_smallILi31EfPfEEv13rocblas_fill_17rocblas_diagonal_T1_iil.num_named_barrier, 0
	.set _ZN9rocsolver6v33100L18trti2_kernel_smallILi31EfPfEEv13rocblas_fill_17rocblas_diagonal_T1_iil.private_seg_size, 0
	.set _ZN9rocsolver6v33100L18trti2_kernel_smallILi31EfPfEEv13rocblas_fill_17rocblas_diagonal_T1_iil.uses_vcc, 1
	.set _ZN9rocsolver6v33100L18trti2_kernel_smallILi31EfPfEEv13rocblas_fill_17rocblas_diagonal_T1_iil.uses_flat_scratch, 0
	.set _ZN9rocsolver6v33100L18trti2_kernel_smallILi31EfPfEEv13rocblas_fill_17rocblas_diagonal_T1_iil.has_dyn_sized_stack, 0
	.set _ZN9rocsolver6v33100L18trti2_kernel_smallILi31EfPfEEv13rocblas_fill_17rocblas_diagonal_T1_iil.has_recursion, 0
	.set _ZN9rocsolver6v33100L18trti2_kernel_smallILi31EfPfEEv13rocblas_fill_17rocblas_diagonal_T1_iil.has_indirect_call, 0
	.section	.AMDGPU.csdata,"",@progbits
; Kernel info:
; codeLenInByte = 53332
; TotalNumSgprs: 76
; NumVgprs: 145
; ScratchSize: 0
; MemoryBound: 0
; FloatMode: 240
; IeeeMode: 1
; LDSByteSize: 252 bytes/workgroup (compile time only)
; SGPRBlocks: 9
; VGPRBlocks: 36
; NumSGPRsForWavesPerEU: 76
; NumVGPRsForWavesPerEU: 145
; Occupancy: 1
; WaveLimiterHint : 0
; COMPUTE_PGM_RSRC2:SCRATCH_EN: 0
; COMPUTE_PGM_RSRC2:USER_SGPR: 6
; COMPUTE_PGM_RSRC2:TRAP_HANDLER: 0
; COMPUTE_PGM_RSRC2:TGID_X_EN: 1
; COMPUTE_PGM_RSRC2:TGID_Y_EN: 0
; COMPUTE_PGM_RSRC2:TGID_Z_EN: 0
; COMPUTE_PGM_RSRC2:TIDIG_COMP_CNT: 0
	.section	.text._ZN9rocsolver6v33100L18trti2_kernel_smallILi32EfPfEEv13rocblas_fill_17rocblas_diagonal_T1_iil,"axG",@progbits,_ZN9rocsolver6v33100L18trti2_kernel_smallILi32EfPfEEv13rocblas_fill_17rocblas_diagonal_T1_iil,comdat
	.globl	_ZN9rocsolver6v33100L18trti2_kernel_smallILi32EfPfEEv13rocblas_fill_17rocblas_diagonal_T1_iil ; -- Begin function _ZN9rocsolver6v33100L18trti2_kernel_smallILi32EfPfEEv13rocblas_fill_17rocblas_diagonal_T1_iil
	.p2align	8
	.type	_ZN9rocsolver6v33100L18trti2_kernel_smallILi32EfPfEEv13rocblas_fill_17rocblas_diagonal_T1_iil,@function
_ZN9rocsolver6v33100L18trti2_kernel_smallILi32EfPfEEv13rocblas_fill_17rocblas_diagonal_T1_iil: ; @_ZN9rocsolver6v33100L18trti2_kernel_smallILi32EfPfEEv13rocblas_fill_17rocblas_diagonal_T1_iil
; %bb.0:
	v_cmp_gt_u32_e32 vcc, 32, v0
	s_and_saveexec_b64 s[0:1], vcc
	s_cbranch_execz .LBB31_796
; %bb.1:
	s_load_dwordx8 s[68:75], s[4:5], 0x0
	s_ashr_i32 s2, s6, 31
	v_lshlrev_b32_e32 v34, 2, v0
	v_mov_b32_e32 v35, -1.0
	s_waitcnt lgkmcnt(0)
	s_mul_hi_u32 s3, s74, s6
	s_mul_i32 s2, s74, s2
	s_add_i32 s2, s3, s2
	s_mul_i32 s3, s75, s6
	s_add_i32 s3, s2, s3
	s_mul_i32 s2, s74, s6
	s_ashr_i32 s1, s72, 31
	s_lshl_b64 s[2:3], s[2:3], 2
	s_mov_b32 s0, s72
	s_add_u32 s2, s70, s2
	s_addc_u32 s3, s71, s3
	s_lshl_b64 s[0:1], s[0:1], 2
	s_add_u32 s0, s2, s0
	s_addc_u32 s1, s3, s1
	s_add_i32 s2, s73, s73
	v_add_u32_e32 v1, s2, v0
	v_ashrrev_i32_e32 v2, 31, v1
	v_lshlrev_b64 v[2:3], 2, v[1:2]
	v_add_u32_e32 v1, s73, v1
	v_mov_b32_e32 v4, s1
	v_add_co_u32_e32 v66, vcc, s0, v2
	v_ashrrev_i32_e32 v2, 31, v1
	v_addc_co_u32_e32 v67, vcc, v4, v3, vcc
	v_lshlrev_b64 v[2:3], 2, v[1:2]
	v_add_u32_e32 v1, s73, v1
	v_add_co_u32_e32 v68, vcc, s0, v2
	v_ashrrev_i32_e32 v2, 31, v1
	v_addc_co_u32_e32 v69, vcc, v4, v3, vcc
	v_lshlrev_b64 v[2:3], 2, v[1:2]
	v_add_u32_e32 v1, s73, v1
	;; [unrolled: 5-line block ×28, first 2 shown]
	v_add_co_u32_e32 v122, vcc, s0, v2
	v_ashrrev_i32_e32 v2, 31, v1
	v_lshlrev_b64 v[1:2], 2, v[1:2]
	v_addc_co_u32_e32 v123, vcc, v4, v3, vcc
	v_mov_b32_e32 v3, s1
	v_add_co_u32_e32 v124, vcc, s0, v1
	v_addc_co_u32_e32 v125, vcc, v3, v2, vcc
	v_mov_b32_e32 v1, s1
	v_add_co_u32_e32 v126, vcc, s0, v34
	s_ashr_i32 s3, s73, 31
	s_mov_b32 s2, s73
	v_addc_co_u32_e32 v127, vcc, 0, v1, vcc
	s_lshl_b64 s[2:3], s[2:3], 2
	v_mov_b32_e32 v1, s3
	v_add_co_u32_e32 v128, vcc, s2, v126
	v_addc_co_u32_e32 v129, vcc, v127, v1, vcc
	global_load_dword v3, v[128:129], off
	global_load_dword v4, v[66:67], off
	;; [unrolled: 1-line block ×24, first 2 shown]
	global_load_dword v2, v34, s[0:1]
	global_load_dword v27, v[112:113], off
	global_load_dword v28, v[114:115], off
	;; [unrolled: 1-line block ×5, first 2 shown]
                                        ; kill: killed $sgpr0 killed $sgpr1
	global_load_dword v32, v[122:123], off
	global_load_dword v33, v[124:125], off
	s_cmpk_lg_i32 s69, 0x84
	v_mov_b32_e32 v1, 0
	s_cselect_b64 s[66:67], -1, 0
	s_cmpk_eq_i32 s69, 0x84
	v_cmp_eq_u32_e64 s[0:1], 0, v0
	s_cbranch_scc1 .LBB31_3
; %bb.2:
	v_cmp_eq_u32_e64 s[2:3], 1, v0
	s_waitcnt vmcnt(7)
	v_cndmask_b32_e64 v35, v2, v3, s[2:3]
	v_cmp_eq_u32_e64 s[4:5], 2, v0
	v_cndmask_b32_e64 v35, v35, v4, s[4:5]
	v_cmp_eq_u32_e64 s[6:7], 3, v0
	;; [unrolled: 2-line block ×24, first 2 shown]
	s_waitcnt vmcnt(6)
	v_cndmask_b32_e64 v35, v35, v27, s[52:53]
	v_cmp_eq_u32_e64 s[54:55], 26, v0
	s_waitcnt vmcnt(5)
	v_cndmask_b32_e64 v35, v35, v28, s[54:55]
	v_cmp_eq_u32_e64 s[56:57], 27, v0
	;; [unrolled: 3-line block ×6, first 2 shown]
	s_waitcnt vmcnt(0)
	v_cndmask_b32_e64 v35, v35, v33, s[64:65]
	v_div_scale_f32 v36, s[70:71], v35, v35, 1.0
	v_div_scale_f32 v37, vcc, 1.0, v35, 1.0
	v_rcp_f32_e32 v38, v36
	v_fma_f32 v39, -v36, v38, 1.0
	v_fmac_f32_e32 v38, v39, v38
	v_mul_f32_e32 v39, v37, v38
	v_fma_f32 v40, -v36, v39, v37
	v_fmac_f32_e32 v39, v40, v38
	v_fma_f32 v36, -v36, v39, v37
	v_div_fmas_f32 v36, v36, v38, v39
	v_div_fixup_f32 v35, v36, v35, 1.0
	v_cndmask_b32_e64 v33, v33, v35, s[64:65]
	v_cndmask_b32_e64 v32, v32, v35, s[62:63]
	;; [unrolled: 1-line block ×32, first 2 shown]
	v_xor_b32_e32 v35, 0x80000000, v35
.LBB31_3:
	s_cmpk_eq_i32 s68, 0x79
	v_add_u32_e32 v130, 0x80, v34
	ds_write_b32 v34, v35
	s_cbranch_scc1 .LBB31_7
; %bb.4:
	s_waitcnt vmcnt(0)
	v_mov_b32_e32 v65, v33
	v_mov_b32_e32 v64, v32
	;; [unrolled: 1-line block ×32, first 2 shown]
	v_cmp_eq_u32_e64 s[0:1], 31, v0
	ds_write_b32 v130, v32
	s_waitcnt lgkmcnt(0)
	; wave barrier
	s_and_saveexec_b64 s[2:3], s[0:1]
	s_cbranch_execz .LBB31_11
; %bb.5:
	s_and_b64 vcc, exec, s[66:67]
	s_cbranch_vccz .LBB31_8
; %bb.6:
	v_cmp_eq_u32_e32 vcc, 1, v0
	v_cndmask_b32_e32 v34, v2, v3, vcc
	v_cmp_eq_u32_e32 vcc, 2, v0
	v_cndmask_b32_e32 v34, v34, v4, vcc
	;; [unrolled: 2-line block ×27, first 2 shown]
	v_cmp_eq_u32_e32 vcc, 28, v0
	ds_read_b32 v35, v130
	v_cndmask_b32_e32 v34, v34, v30, vcc
	v_cmp_eq_u32_e32 vcc, 29, v0
	v_cndmask_b32_e32 v34, v34, v31, vcc
	v_cmp_eq_u32_e32 vcc, 30, v0
	;; [unrolled: 2-line block ×3, first 2 shown]
	v_cndmask_b32_e32 v34, v34, v33, vcc
	s_waitcnt lgkmcnt(0)
	v_mul_f32_e32 v34, v34, v35
	s_cbranch_execz .LBB31_9
	s_branch .LBB31_10
.LBB31_7:
                                        ; implicit-def: $vgpr34_vgpr35_vgpr36_vgpr37_vgpr38_vgpr39_vgpr40_vgpr41_vgpr42_vgpr43_vgpr44_vgpr45_vgpr46_vgpr47_vgpr48_vgpr49_vgpr50_vgpr51_vgpr52_vgpr53_vgpr54_vgpr55_vgpr56_vgpr57_vgpr58_vgpr59_vgpr60_vgpr61_vgpr62_vgpr63_vgpr64_vgpr65
	s_cbranch_execnz .LBB31_482
	s_branch .LBB31_795
.LBB31_8:
                                        ; implicit-def: $vgpr34
.LBB31_9:
	ds_read_b32 v34, v130
.LBB31_10:
	v_mov_b32_e32 v35, 0
	ds_read_b32 v35, v35 offset:120
	s_waitcnt lgkmcnt(0)
	v_mul_f32_e32 v131, v34, v35
	v_mov_b32_e32 v65, v33
	v_mov_b32_e32 v64, v32
	;; [unrolled: 1-line block ×33, first 2 shown]
.LBB31_11:
	s_or_b64 exec, exec, s[2:3]
	v_cmp_lt_u32_e64 s[2:3], 29, v0
	ds_write_b32 v130, v63
	s_waitcnt lgkmcnt(0)
	; wave barrier
	s_and_saveexec_b64 s[4:5], s[2:3]
	s_cbranch_execz .LBB31_17
; %bb.12:
	s_andn2_b64 vcc, exec, s[66:67]
	s_cbranch_vccnz .LBB31_14
; %bb.13:
	v_cmp_eq_u32_e32 vcc, 1, v0
	v_cndmask_b32_e32 v131, v34, v35, vcc
	v_cmp_eq_u32_e32 vcc, 2, v0
	v_cndmask_b32_e32 v131, v131, v36, vcc
	;; [unrolled: 2-line block ×29, first 2 shown]
	ds_read_b32 v131, v130
	v_cmp_eq_u32_e32 vcc, 30, v0
	v_cndmask_b32_e32 v63, v63, v64, vcc
	v_cmp_eq_u32_e32 vcc, 31, v0
	v_cndmask_b32_e32 v63, v63, v65, vcc
	s_waitcnt lgkmcnt(0)
	v_mul_f32_e32 v63, v63, v131
	s_cbranch_execz .LBB31_15
	s_branch .LBB31_16
.LBB31_14:
                                        ; implicit-def: $vgpr63
.LBB31_15:
	ds_read_b32 v63, v130
.LBB31_16:
	v_mov_b32_e32 v131, 0
	ds_read2_b32 v[131:132], v131 offset0:29 offset1:62
	s_waitcnt lgkmcnt(0)
	v_fma_f32 v132, v64, v132, v63
	v_cndmask_b32_e64 v63, v63, v132, s[0:1]
	v_mul_f32_e32 v63, v63, v131
.LBB31_17:
	s_or_b64 exec, exec, s[4:5]
	v_cmp_lt_u32_e64 s[0:1], 28, v0
	ds_write_b32 v130, v62
	s_waitcnt lgkmcnt(0)
	; wave barrier
	s_and_saveexec_b64 s[4:5], s[0:1]
	s_cbranch_execz .LBB31_33
; %bb.18:
	s_andn2_b64 vcc, exec, s[66:67]
	s_cbranch_vccnz .LBB31_20
; %bb.19:
	v_cmp_eq_u32_e32 vcc, 1, v0
	v_cndmask_b32_e32 v131, v34, v35, vcc
	v_cmp_eq_u32_e32 vcc, 2, v0
	v_cndmask_b32_e32 v131, v131, v36, vcc
	;; [unrolled: 2-line block ×27, first 2 shown]
	v_cmp_eq_u32_e32 vcc, 28, v0
	ds_read_b32 v132, v130
	v_cndmask_b32_e32 v131, v131, v62, vcc
	v_cmp_eq_u32_e32 vcc, 29, v0
	v_cndmask_b32_e32 v131, v131, v63, vcc
	v_cmp_eq_u32_e32 vcc, 30, v0
	;; [unrolled: 2-line block ×3, first 2 shown]
	v_cndmask_b32_e32 v131, v131, v65, vcc
	s_waitcnt lgkmcnt(0)
	v_mul_f32_e32 v131, v131, v132
	s_cbranch_execz .LBB31_21
	s_branch .LBB31_22
.LBB31_20:
                                        ; implicit-def: $vgpr131
.LBB31_21:
	ds_read_b32 v131, v130
.LBB31_22:
	s_and_saveexec_b64 s[6:7], s[2:3]
	s_cbranch_execz .LBB31_32
; %bb.23:
	v_subrev_u32_e32 v134, 30, v0
	v_mov_b32_e32 v132, 29
	v_subrev_u32_e32 v133, 29, v0
	v_cmp_lt_u32_e32 vcc, 6, v134
	s_and_saveexec_b64 s[2:3], vcc
	s_cbranch_execz .LBB31_27
; %bb.24:
	v_and_b32_e32 v132, -8, v133
	v_sub_u32_e32 v134, 0, v132
	s_mov_b64 s[8:9], 36
	s_movk_i32 s12, 0xf4
	s_mov_b64 s[10:11], 0
.LBB31_25:                              ; =>This Inner Loop Header: Depth=1
	s_add_i32 s13, s8, -7
	v_mov_b32_e32 v132, s12
	s_add_i32 s14, s8, -6
	s_set_gpr_idx_on s13, gpr_idx(SRC0)
	v_mov_b32_e32 v141, v34
	s_set_gpr_idx_off
	ds_read2_b32 v[135:136], v132 offset1:1
	s_add_i32 s15, s8, -5
	s_set_gpr_idx_on s14, gpr_idx(SRC0)
	v_mov_b32_e32 v142, v34
	s_set_gpr_idx_off
	s_add_i32 s16, s8, -4
	s_set_gpr_idx_on s15, gpr_idx(SRC0)
	v_mov_b32_e32 v143, v34
	s_set_gpr_idx_off
	ds_read2_b32 v[137:138], v132 offset0:2 offset1:3
	s_add_i32 s17, s8, -3
	s_set_gpr_idx_on s16, gpr_idx(SRC0)
	v_mov_b32_e32 v144, v34
	s_set_gpr_idx_off
	s_add_i32 s18, s8, -2
	s_set_gpr_idx_on s17, gpr_idx(SRC0)
	v_mov_b32_e32 v145, v34
	s_set_gpr_idx_off
	ds_read2_b32 v[139:140], v132 offset0:4 offset1:5
	s_add_i32 s19, s8, -1
	s_waitcnt lgkmcnt(2)
	v_fmac_f32_e32 v131, v141, v135
	s_set_gpr_idx_on s18, gpr_idx(SRC0)
	v_mov_b32_e32 v141, v34
	s_set_gpr_idx_off
	v_fmac_f32_e32 v131, v142, v136
	s_set_gpr_idx_on s19, gpr_idx(SRC0)
	v_mov_b32_e32 v142, v34
	s_set_gpr_idx_off
	ds_read2_b32 v[135:136], v132 offset0:6 offset1:7
	s_waitcnt lgkmcnt(2)
	v_fmac_f32_e32 v131, v143, v137
	s_set_gpr_idx_on s8, gpr_idx(SRC0)
	v_mov_b32_e32 v137, v34
	s_set_gpr_idx_off
	v_fmac_f32_e32 v131, v144, v138
	s_add_u32 s8, s8, 8
	s_waitcnt lgkmcnt(1)
	v_fmac_f32_e32 v131, v145, v139
	v_add_u32_e32 v132, s8, v134
	v_fmac_f32_e32 v131, v141, v140
	s_addc_u32 s9, s9, 0
	s_add_i32 s12, s12, 32
	s_add_i32 s13, s8, -7
	v_cmp_eq_u32_e32 vcc, 36, v132
	s_waitcnt lgkmcnt(0)
	v_fmac_f32_e32 v131, v142, v135
	v_mov_b32_e32 v132, s13
	s_or_b64 s[10:11], vcc, s[10:11]
	v_fmac_f32_e32 v131, v137, v136
	s_andn2_b64 exec, exec, s[10:11]
	s_cbranch_execnz .LBB31_25
; %bb.26:
	s_or_b64 exec, exec, s[10:11]
.LBB31_27:
	s_or_b64 exec, exec, s[2:3]
	v_and_b32_e32 v133, 7, v133
	v_cmp_ne_u32_e32 vcc, 0, v133
	s_and_saveexec_b64 s[8:9], vcc
	s_cbranch_execz .LBB31_31
; %bb.28:
	v_mov_b32_e32 v134, 0x80
	v_lshl_add_u32 v134, v132, 2, v134
	v_mov_b32_e32 v135, 0
	s_mov_b64 s[10:11], 0
.LBB31_29:                              ; =>This Inner Loop Header: Depth=1
	v_cmp_eq_u32_e32 vcc, 1, v132
	v_cndmask_b32_e32 v136, v34, v35, vcc
	v_add_u32_e32 v133, -1, v133
	v_cmp_eq_u32_e32 vcc, 2, v132
	v_cndmask_b32_e32 v136, v136, v36, vcc
	v_cmp_eq_u32_e32 vcc, 0, v133
	v_cmp_eq_u32_e64 s[2:3], 3, v132
	v_cndmask_b32_e64 v136, v136, v37, s[2:3]
	s_or_b64 s[10:11], vcc, s[10:11]
	v_cmp_eq_u32_e32 vcc, 4, v132
	v_cndmask_b32_e32 v136, v136, v38, vcc
	v_cmp_eq_u32_e32 vcc, 5, v132
	v_cndmask_b32_e32 v136, v136, v39, vcc
	;; [unrolled: 2-line block ×23, first 2 shown]
	v_cmp_eq_u32_e32 vcc, 27, v132
	ds_read_b32 v137, v134
	v_cndmask_b32_e32 v136, v136, v61, vcc
	v_cmp_eq_u32_e32 vcc, 28, v132
	v_cndmask_b32_e32 v136, v136, v62, vcc
	v_cmp_eq_u32_e32 vcc, 29, v132
	;; [unrolled: 2-line block ×4, first 2 shown]
	v_add_co_u32_e64 v132, s[2:3], 1, v132
	v_cndmask_b32_e32 v136, v136, v65, vcc
	v_add_u32_e32 v134, 4, v134
	v_addc_co_u32_e64 v135, s[2:3], 0, v135, s[2:3]
	s_waitcnt lgkmcnt(0)
	v_fmac_f32_e32 v131, v136, v137
	s_andn2_b64 exec, exec, s[10:11]
	s_cbranch_execnz .LBB31_29
; %bb.30:
	s_or_b64 exec, exec, s[10:11]
.LBB31_31:
	s_or_b64 exec, exec, s[8:9]
.LBB31_32:
	s_or_b64 exec, exec, s[6:7]
	v_mov_b32_e32 v62, 0
	ds_read_b32 v62, v62 offset:112
	s_waitcnt lgkmcnt(0)
	v_mul_f32_e32 v62, v131, v62
.LBB31_33:
	s_or_b64 exec, exec, s[4:5]
	v_cmp_lt_u32_e64 s[2:3], 27, v0
	ds_write_b32 v130, v61
	s_waitcnt lgkmcnt(0)
	; wave barrier
	s_and_saveexec_b64 s[4:5], s[2:3]
	s_cbranch_execz .LBB31_49
; %bb.34:
	s_andn2_b64 vcc, exec, s[66:67]
	s_cbranch_vccnz .LBB31_36
; %bb.35:
	v_cmp_eq_u32_e32 vcc, 1, v0
	v_cndmask_b32_e32 v131, v34, v35, vcc
	v_cmp_eq_u32_e32 vcc, 2, v0
	v_cndmask_b32_e32 v131, v131, v36, vcc
	;; [unrolled: 2-line block ×27, first 2 shown]
	v_cmp_eq_u32_e32 vcc, 28, v0
	ds_read_b32 v132, v130
	v_cndmask_b32_e32 v131, v131, v62, vcc
	v_cmp_eq_u32_e32 vcc, 29, v0
	v_cndmask_b32_e32 v131, v131, v63, vcc
	v_cmp_eq_u32_e32 vcc, 30, v0
	;; [unrolled: 2-line block ×3, first 2 shown]
	v_cndmask_b32_e32 v131, v131, v65, vcc
	s_waitcnt lgkmcnt(0)
	v_mul_f32_e32 v131, v131, v132
	s_cbranch_execz .LBB31_37
	s_branch .LBB31_38
.LBB31_36:
                                        ; implicit-def: $vgpr131
.LBB31_37:
	ds_read_b32 v131, v130
.LBB31_38:
	s_and_saveexec_b64 s[6:7], s[0:1]
	s_cbranch_execz .LBB31_48
; %bb.39:
	v_subrev_u32_e32 v134, 29, v0
	v_mov_b32_e32 v132, 28
	v_subrev_u32_e32 v133, 28, v0
	v_cmp_lt_u32_e32 vcc, 6, v134
	s_and_saveexec_b64 s[0:1], vcc
	s_cbranch_execz .LBB31_43
; %bb.40:
	v_and_b32_e32 v132, -8, v133
	v_sub_u32_e32 v134, 0, v132
	s_mov_b64 s[8:9], 35
	s_movk_i32 s12, 0xf0
	s_mov_b64 s[10:11], 0
.LBB31_41:                              ; =>This Inner Loop Header: Depth=1
	s_add_i32 s13, s8, -7
	v_mov_b32_e32 v132, s12
	s_add_i32 s14, s8, -6
	s_set_gpr_idx_on s13, gpr_idx(SRC0)
	v_mov_b32_e32 v143, v34
	s_set_gpr_idx_off
	s_add_i32 s15, s8, -5
	ds_read_b128 v[135:138], v132
	ds_read_b128 v[139:142], v132 offset:16
	s_set_gpr_idx_on s14, gpr_idx(SRC0)
	v_mov_b32_e32 v132, v34
	s_set_gpr_idx_off
	s_add_i32 s16, s8, -4
	s_set_gpr_idx_on s15, gpr_idx(SRC0)
	v_mov_b32_e32 v144, v34
	s_set_gpr_idx_off
	s_add_i32 s17, s8, -3
	;; [unrolled: 4-line block ×4, first 2 shown]
	s_waitcnt lgkmcnt(1)
	v_fmac_f32_e32 v131, v143, v135
	s_set_gpr_idx_on s18, gpr_idx(SRC0)
	v_mov_b32_e32 v135, v34
	s_set_gpr_idx_off
	v_fmac_f32_e32 v131, v132, v136
	s_set_gpr_idx_on s19, gpr_idx(SRC0)
	v_mov_b32_e32 v136, v34
	s_set_gpr_idx_off
	;; [unrolled: 4-line block ×3, first 2 shown]
	v_fmac_f32_e32 v131, v145, v138
	s_add_u32 s8, s8, 8
	s_waitcnt lgkmcnt(0)
	v_fmac_f32_e32 v131, v146, v139
	v_add_u32_e32 v132, s8, v134
	v_fmac_f32_e32 v131, v135, v140
	s_addc_u32 s9, s9, 0
	s_add_i32 s12, s12, 32
	s_add_i32 s13, s8, -7
	v_cmp_eq_u32_e32 vcc, 35, v132
	v_fmac_f32_e32 v131, v136, v141
	v_mov_b32_e32 v132, s13
	s_or_b64 s[10:11], vcc, s[10:11]
	v_fmac_f32_e32 v131, v137, v142
	s_andn2_b64 exec, exec, s[10:11]
	s_cbranch_execnz .LBB31_41
; %bb.42:
	s_or_b64 exec, exec, s[10:11]
.LBB31_43:
	s_or_b64 exec, exec, s[0:1]
	v_and_b32_e32 v133, 7, v133
	v_cmp_ne_u32_e32 vcc, 0, v133
	s_and_saveexec_b64 s[8:9], vcc
	s_cbranch_execz .LBB31_47
; %bb.44:
	v_mov_b32_e32 v134, 0x80
	v_lshl_add_u32 v134, v132, 2, v134
	v_mov_b32_e32 v135, 0
	s_mov_b64 s[10:11], 0
.LBB31_45:                              ; =>This Inner Loop Header: Depth=1
	v_cmp_eq_u32_e32 vcc, 1, v132
	v_cndmask_b32_e32 v136, v34, v35, vcc
	v_add_u32_e32 v133, -1, v133
	v_cmp_eq_u32_e32 vcc, 2, v132
	v_cndmask_b32_e32 v136, v136, v36, vcc
	v_cmp_eq_u32_e32 vcc, 0, v133
	v_cmp_eq_u32_e64 s[0:1], 3, v132
	v_cndmask_b32_e64 v136, v136, v37, s[0:1]
	s_or_b64 s[10:11], vcc, s[10:11]
	v_cmp_eq_u32_e32 vcc, 4, v132
	v_cndmask_b32_e32 v136, v136, v38, vcc
	v_cmp_eq_u32_e32 vcc, 5, v132
	v_cndmask_b32_e32 v136, v136, v39, vcc
	;; [unrolled: 2-line block ×23, first 2 shown]
	v_cmp_eq_u32_e32 vcc, 27, v132
	ds_read_b32 v137, v134
	v_cndmask_b32_e32 v136, v136, v61, vcc
	v_cmp_eq_u32_e32 vcc, 28, v132
	v_cndmask_b32_e32 v136, v136, v62, vcc
	v_cmp_eq_u32_e32 vcc, 29, v132
	;; [unrolled: 2-line block ×4, first 2 shown]
	v_add_co_u32_e64 v132, s[0:1], 1, v132
	v_cndmask_b32_e32 v136, v136, v65, vcc
	v_add_u32_e32 v134, 4, v134
	v_addc_co_u32_e64 v135, s[0:1], 0, v135, s[0:1]
	s_waitcnt lgkmcnt(0)
	v_fmac_f32_e32 v131, v136, v137
	s_andn2_b64 exec, exec, s[10:11]
	s_cbranch_execnz .LBB31_45
; %bb.46:
	s_or_b64 exec, exec, s[10:11]
.LBB31_47:
	s_or_b64 exec, exec, s[8:9]
.LBB31_48:
	s_or_b64 exec, exec, s[6:7]
	v_mov_b32_e32 v61, 0
	ds_read_b32 v61, v61 offset:108
	s_waitcnt lgkmcnt(0)
	v_mul_f32_e32 v61, v131, v61
.LBB31_49:
	s_or_b64 exec, exec, s[4:5]
	v_cmp_lt_u32_e64 s[0:1], 26, v0
	ds_write_b32 v130, v60
	s_waitcnt lgkmcnt(0)
	; wave barrier
	s_and_saveexec_b64 s[4:5], s[0:1]
	s_cbranch_execz .LBB31_65
; %bb.50:
	s_andn2_b64 vcc, exec, s[66:67]
	s_cbranch_vccnz .LBB31_52
; %bb.51:
	v_cmp_eq_u32_e32 vcc, 1, v0
	v_cndmask_b32_e32 v131, v34, v35, vcc
	v_cmp_eq_u32_e32 vcc, 2, v0
	v_cndmask_b32_e32 v131, v131, v36, vcc
	;; [unrolled: 2-line block ×27, first 2 shown]
	v_cmp_eq_u32_e32 vcc, 28, v0
	ds_read_b32 v132, v130
	v_cndmask_b32_e32 v131, v131, v62, vcc
	v_cmp_eq_u32_e32 vcc, 29, v0
	v_cndmask_b32_e32 v131, v131, v63, vcc
	v_cmp_eq_u32_e32 vcc, 30, v0
	;; [unrolled: 2-line block ×3, first 2 shown]
	v_cndmask_b32_e32 v131, v131, v65, vcc
	s_waitcnt lgkmcnt(0)
	v_mul_f32_e32 v131, v131, v132
	s_cbranch_execz .LBB31_53
	s_branch .LBB31_54
.LBB31_52:
                                        ; implicit-def: $vgpr131
.LBB31_53:
	ds_read_b32 v131, v130
.LBB31_54:
	s_and_saveexec_b64 s[6:7], s[2:3]
	s_cbranch_execz .LBB31_64
; %bb.55:
	v_subrev_u32_e32 v134, 28, v0
	v_mov_b32_e32 v132, 27
	v_subrev_u32_e32 v133, 27, v0
	v_cmp_lt_u32_e32 vcc, 6, v134
	s_and_saveexec_b64 s[2:3], vcc
	s_cbranch_execz .LBB31_59
; %bb.56:
	v_and_b32_e32 v132, -8, v133
	v_sub_u32_e32 v134, 0, v132
	s_mov_b64 s[8:9], 34
	s_movk_i32 s12, 0xec
	s_mov_b64 s[10:11], 0
.LBB31_57:                              ; =>This Inner Loop Header: Depth=1
	s_add_i32 s13, s8, -7
	v_mov_b32_e32 v132, s12
	s_add_i32 s14, s8, -6
	s_set_gpr_idx_on s13, gpr_idx(SRC0)
	v_mov_b32_e32 v141, v34
	s_set_gpr_idx_off
	ds_read2_b32 v[135:136], v132 offset1:1
	s_add_i32 s15, s8, -5
	s_set_gpr_idx_on s14, gpr_idx(SRC0)
	v_mov_b32_e32 v142, v34
	s_set_gpr_idx_off
	s_add_i32 s16, s8, -4
	s_set_gpr_idx_on s15, gpr_idx(SRC0)
	v_mov_b32_e32 v143, v34
	s_set_gpr_idx_off
	ds_read2_b32 v[137:138], v132 offset0:2 offset1:3
	s_add_i32 s17, s8, -3
	s_set_gpr_idx_on s16, gpr_idx(SRC0)
	v_mov_b32_e32 v144, v34
	s_set_gpr_idx_off
	s_add_i32 s18, s8, -2
	s_set_gpr_idx_on s17, gpr_idx(SRC0)
	v_mov_b32_e32 v145, v34
	s_set_gpr_idx_off
	ds_read2_b32 v[139:140], v132 offset0:4 offset1:5
	s_add_i32 s19, s8, -1
	s_waitcnt lgkmcnt(2)
	v_fmac_f32_e32 v131, v141, v135
	s_set_gpr_idx_on s18, gpr_idx(SRC0)
	v_mov_b32_e32 v141, v34
	s_set_gpr_idx_off
	v_fmac_f32_e32 v131, v142, v136
	s_set_gpr_idx_on s19, gpr_idx(SRC0)
	v_mov_b32_e32 v142, v34
	s_set_gpr_idx_off
	ds_read2_b32 v[135:136], v132 offset0:6 offset1:7
	s_waitcnt lgkmcnt(2)
	v_fmac_f32_e32 v131, v143, v137
	s_set_gpr_idx_on s8, gpr_idx(SRC0)
	v_mov_b32_e32 v137, v34
	s_set_gpr_idx_off
	v_fmac_f32_e32 v131, v144, v138
	s_add_u32 s8, s8, 8
	s_waitcnt lgkmcnt(1)
	v_fmac_f32_e32 v131, v145, v139
	v_add_u32_e32 v132, s8, v134
	v_fmac_f32_e32 v131, v141, v140
	s_addc_u32 s9, s9, 0
	s_add_i32 s12, s12, 32
	s_add_i32 s13, s8, -7
	v_cmp_eq_u32_e32 vcc, 34, v132
	s_waitcnt lgkmcnt(0)
	v_fmac_f32_e32 v131, v142, v135
	v_mov_b32_e32 v132, s13
	s_or_b64 s[10:11], vcc, s[10:11]
	v_fmac_f32_e32 v131, v137, v136
	s_andn2_b64 exec, exec, s[10:11]
	s_cbranch_execnz .LBB31_57
; %bb.58:
	s_or_b64 exec, exec, s[10:11]
.LBB31_59:
	s_or_b64 exec, exec, s[2:3]
	v_and_b32_e32 v133, 7, v133
	v_cmp_ne_u32_e32 vcc, 0, v133
	s_and_saveexec_b64 s[8:9], vcc
	s_cbranch_execz .LBB31_63
; %bb.60:
	v_mov_b32_e32 v134, 0x80
	v_lshl_add_u32 v134, v132, 2, v134
	v_mov_b32_e32 v135, 0
	s_mov_b64 s[10:11], 0
.LBB31_61:                              ; =>This Inner Loop Header: Depth=1
	v_cmp_eq_u32_e32 vcc, 1, v132
	v_cndmask_b32_e32 v136, v34, v35, vcc
	v_add_u32_e32 v133, -1, v133
	v_cmp_eq_u32_e32 vcc, 2, v132
	v_cndmask_b32_e32 v136, v136, v36, vcc
	v_cmp_eq_u32_e32 vcc, 0, v133
	v_cmp_eq_u32_e64 s[2:3], 3, v132
	v_cndmask_b32_e64 v136, v136, v37, s[2:3]
	s_or_b64 s[10:11], vcc, s[10:11]
	v_cmp_eq_u32_e32 vcc, 4, v132
	v_cndmask_b32_e32 v136, v136, v38, vcc
	v_cmp_eq_u32_e32 vcc, 5, v132
	v_cndmask_b32_e32 v136, v136, v39, vcc
	;; [unrolled: 2-line block ×23, first 2 shown]
	v_cmp_eq_u32_e32 vcc, 27, v132
	ds_read_b32 v137, v134
	v_cndmask_b32_e32 v136, v136, v61, vcc
	v_cmp_eq_u32_e32 vcc, 28, v132
	v_cndmask_b32_e32 v136, v136, v62, vcc
	v_cmp_eq_u32_e32 vcc, 29, v132
	;; [unrolled: 2-line block ×4, first 2 shown]
	v_add_co_u32_e64 v132, s[2:3], 1, v132
	v_cndmask_b32_e32 v136, v136, v65, vcc
	v_add_u32_e32 v134, 4, v134
	v_addc_co_u32_e64 v135, s[2:3], 0, v135, s[2:3]
	s_waitcnt lgkmcnt(0)
	v_fmac_f32_e32 v131, v136, v137
	s_andn2_b64 exec, exec, s[10:11]
	s_cbranch_execnz .LBB31_61
; %bb.62:
	s_or_b64 exec, exec, s[10:11]
.LBB31_63:
	s_or_b64 exec, exec, s[8:9]
.LBB31_64:
	s_or_b64 exec, exec, s[6:7]
	v_mov_b32_e32 v60, 0
	ds_read_b32 v60, v60 offset:104
	s_waitcnt lgkmcnt(0)
	v_mul_f32_e32 v60, v131, v60
.LBB31_65:
	s_or_b64 exec, exec, s[4:5]
	v_cmp_lt_u32_e64 s[2:3], 25, v0
	ds_write_b32 v130, v59
	s_waitcnt lgkmcnt(0)
	; wave barrier
	s_and_saveexec_b64 s[4:5], s[2:3]
	s_cbranch_execz .LBB31_81
; %bb.66:
	s_andn2_b64 vcc, exec, s[66:67]
	s_cbranch_vccnz .LBB31_68
; %bb.67:
	v_cmp_eq_u32_e32 vcc, 1, v0
	v_cndmask_b32_e32 v131, v34, v35, vcc
	v_cmp_eq_u32_e32 vcc, 2, v0
	v_cndmask_b32_e32 v131, v131, v36, vcc
	;; [unrolled: 2-line block ×27, first 2 shown]
	v_cmp_eq_u32_e32 vcc, 28, v0
	ds_read_b32 v132, v130
	v_cndmask_b32_e32 v131, v131, v62, vcc
	v_cmp_eq_u32_e32 vcc, 29, v0
	v_cndmask_b32_e32 v131, v131, v63, vcc
	v_cmp_eq_u32_e32 vcc, 30, v0
	;; [unrolled: 2-line block ×3, first 2 shown]
	v_cndmask_b32_e32 v131, v131, v65, vcc
	s_waitcnt lgkmcnt(0)
	v_mul_f32_e32 v131, v131, v132
	s_cbranch_execz .LBB31_69
	s_branch .LBB31_70
.LBB31_68:
                                        ; implicit-def: $vgpr131
.LBB31_69:
	ds_read_b32 v131, v130
.LBB31_70:
	s_and_saveexec_b64 s[6:7], s[0:1]
	s_cbranch_execz .LBB31_80
; %bb.71:
	v_subrev_u32_e32 v134, 27, v0
	v_mov_b32_e32 v132, 26
	v_subrev_u32_e32 v133, 26, v0
	v_cmp_lt_u32_e32 vcc, 6, v134
	s_and_saveexec_b64 s[0:1], vcc
	s_cbranch_execz .LBB31_75
; %bb.72:
	v_and_b32_e32 v132, -8, v133
	v_sub_u32_e32 v134, 0, v132
	s_mov_b64 s[8:9], 33
	s_movk_i32 s12, 0xe8
	s_mov_b64 s[10:11], 0
.LBB31_73:                              ; =>This Inner Loop Header: Depth=1
	s_add_i32 s13, s8, -7
	v_mov_b32_e32 v132, s12
	s_add_i32 s14, s8, -6
	s_set_gpr_idx_on s13, gpr_idx(SRC0)
	v_mov_b32_e32 v143, v34
	s_set_gpr_idx_off
	ds_read2_b64 v[135:138], v132 offset1:1
	s_add_i32 s15, s8, -5
	s_set_gpr_idx_on s14, gpr_idx(SRC0)
	v_mov_b32_e32 v144, v34
	s_set_gpr_idx_off
	s_add_i32 s16, s8, -4
	s_set_gpr_idx_on s15, gpr_idx(SRC0)
	v_mov_b32_e32 v145, v34
	s_set_gpr_idx_off
	;; [unrolled: 4-line block ×4, first 2 shown]
	ds_read2_b64 v[139:142], v132 offset0:2 offset1:3
	s_add_i32 s19, s8, -1
	s_waitcnt lgkmcnt(1)
	v_fmac_f32_e32 v131, v143, v135
	s_set_gpr_idx_on s18, gpr_idx(SRC0)
	v_mov_b32_e32 v135, v34
	s_set_gpr_idx_off
	v_fmac_f32_e32 v131, v144, v136
	s_set_gpr_idx_on s19, gpr_idx(SRC0)
	v_mov_b32_e32 v136, v34
	s_set_gpr_idx_off
	;; [unrolled: 4-line block ×3, first 2 shown]
	v_fmac_f32_e32 v131, v146, v138
	s_add_u32 s8, s8, 8
	s_waitcnt lgkmcnt(0)
	v_fmac_f32_e32 v131, v147, v139
	v_add_u32_e32 v132, s8, v134
	v_fmac_f32_e32 v131, v135, v140
	s_addc_u32 s9, s9, 0
	s_add_i32 s12, s12, 32
	s_add_i32 s13, s8, -7
	v_cmp_eq_u32_e32 vcc, 33, v132
	v_fmac_f32_e32 v131, v136, v141
	v_mov_b32_e32 v132, s13
	s_or_b64 s[10:11], vcc, s[10:11]
	v_fmac_f32_e32 v131, v137, v142
	s_andn2_b64 exec, exec, s[10:11]
	s_cbranch_execnz .LBB31_73
; %bb.74:
	s_or_b64 exec, exec, s[10:11]
.LBB31_75:
	s_or_b64 exec, exec, s[0:1]
	v_and_b32_e32 v133, 7, v133
	v_cmp_ne_u32_e32 vcc, 0, v133
	s_and_saveexec_b64 s[8:9], vcc
	s_cbranch_execz .LBB31_79
; %bb.76:
	v_mov_b32_e32 v134, 0x80
	v_lshl_add_u32 v134, v132, 2, v134
	v_mov_b32_e32 v135, 0
	s_mov_b64 s[10:11], 0
.LBB31_77:                              ; =>This Inner Loop Header: Depth=1
	v_cmp_eq_u32_e32 vcc, 1, v132
	v_cndmask_b32_e32 v136, v34, v35, vcc
	v_add_u32_e32 v133, -1, v133
	v_cmp_eq_u32_e32 vcc, 2, v132
	v_cndmask_b32_e32 v136, v136, v36, vcc
	v_cmp_eq_u32_e32 vcc, 0, v133
	v_cmp_eq_u32_e64 s[0:1], 3, v132
	v_cndmask_b32_e64 v136, v136, v37, s[0:1]
	s_or_b64 s[10:11], vcc, s[10:11]
	v_cmp_eq_u32_e32 vcc, 4, v132
	v_cndmask_b32_e32 v136, v136, v38, vcc
	v_cmp_eq_u32_e32 vcc, 5, v132
	v_cndmask_b32_e32 v136, v136, v39, vcc
	;; [unrolled: 2-line block ×23, first 2 shown]
	v_cmp_eq_u32_e32 vcc, 27, v132
	ds_read_b32 v137, v134
	v_cndmask_b32_e32 v136, v136, v61, vcc
	v_cmp_eq_u32_e32 vcc, 28, v132
	v_cndmask_b32_e32 v136, v136, v62, vcc
	v_cmp_eq_u32_e32 vcc, 29, v132
	;; [unrolled: 2-line block ×4, first 2 shown]
	v_add_co_u32_e64 v132, s[0:1], 1, v132
	v_cndmask_b32_e32 v136, v136, v65, vcc
	v_add_u32_e32 v134, 4, v134
	v_addc_co_u32_e64 v135, s[0:1], 0, v135, s[0:1]
	s_waitcnt lgkmcnt(0)
	v_fmac_f32_e32 v131, v136, v137
	s_andn2_b64 exec, exec, s[10:11]
	s_cbranch_execnz .LBB31_77
; %bb.78:
	s_or_b64 exec, exec, s[10:11]
.LBB31_79:
	s_or_b64 exec, exec, s[8:9]
.LBB31_80:
	s_or_b64 exec, exec, s[6:7]
	v_mov_b32_e32 v59, 0
	ds_read_b32 v59, v59 offset:100
	s_waitcnt lgkmcnt(0)
	v_mul_f32_e32 v59, v131, v59
.LBB31_81:
	s_or_b64 exec, exec, s[4:5]
	v_cmp_lt_u32_e64 s[0:1], 24, v0
	ds_write_b32 v130, v58
	s_waitcnt lgkmcnt(0)
	; wave barrier
	s_and_saveexec_b64 s[4:5], s[0:1]
	s_cbranch_execz .LBB31_97
; %bb.82:
	s_andn2_b64 vcc, exec, s[66:67]
	s_cbranch_vccnz .LBB31_84
; %bb.83:
	v_cmp_eq_u32_e32 vcc, 1, v0
	v_cndmask_b32_e32 v131, v34, v35, vcc
	v_cmp_eq_u32_e32 vcc, 2, v0
	v_cndmask_b32_e32 v131, v131, v36, vcc
	;; [unrolled: 2-line block ×27, first 2 shown]
	v_cmp_eq_u32_e32 vcc, 28, v0
	ds_read_b32 v132, v130
	v_cndmask_b32_e32 v131, v131, v62, vcc
	v_cmp_eq_u32_e32 vcc, 29, v0
	v_cndmask_b32_e32 v131, v131, v63, vcc
	v_cmp_eq_u32_e32 vcc, 30, v0
	;; [unrolled: 2-line block ×3, first 2 shown]
	v_cndmask_b32_e32 v131, v131, v65, vcc
	s_waitcnt lgkmcnt(0)
	v_mul_f32_e32 v131, v131, v132
	s_cbranch_execz .LBB31_85
	s_branch .LBB31_86
.LBB31_84:
                                        ; implicit-def: $vgpr131
.LBB31_85:
	ds_read_b32 v131, v130
.LBB31_86:
	s_and_saveexec_b64 s[6:7], s[2:3]
	s_cbranch_execz .LBB31_96
; %bb.87:
	v_subrev_u32_e32 v134, 26, v0
	v_mov_b32_e32 v132, 25
	v_subrev_u32_e32 v133, 25, v0
	v_cmp_lt_u32_e32 vcc, 6, v134
	s_and_saveexec_b64 s[2:3], vcc
	s_cbranch_execz .LBB31_91
; %bb.88:
	v_and_b32_e32 v132, -8, v133
	v_sub_u32_e32 v134, 0, v132
	s_mov_b64 s[8:9], 32
	s_movk_i32 s12, 0xe4
	s_mov_b64 s[10:11], 0
.LBB31_89:                              ; =>This Inner Loop Header: Depth=1
	s_add_i32 s13, s8, -7
	v_mov_b32_e32 v132, s12
	s_add_i32 s14, s8, -6
	s_set_gpr_idx_on s13, gpr_idx(SRC0)
	v_mov_b32_e32 v141, v34
	s_set_gpr_idx_off
	ds_read2_b32 v[135:136], v132 offset1:1
	s_add_i32 s15, s8, -5
	s_set_gpr_idx_on s14, gpr_idx(SRC0)
	v_mov_b32_e32 v142, v34
	s_set_gpr_idx_off
	s_add_i32 s16, s8, -4
	s_set_gpr_idx_on s15, gpr_idx(SRC0)
	v_mov_b32_e32 v143, v34
	s_set_gpr_idx_off
	ds_read2_b32 v[137:138], v132 offset0:2 offset1:3
	s_add_i32 s17, s8, -3
	s_set_gpr_idx_on s16, gpr_idx(SRC0)
	v_mov_b32_e32 v144, v34
	s_set_gpr_idx_off
	s_add_i32 s18, s8, -2
	s_set_gpr_idx_on s17, gpr_idx(SRC0)
	v_mov_b32_e32 v145, v34
	s_set_gpr_idx_off
	ds_read2_b32 v[139:140], v132 offset0:4 offset1:5
	s_add_i32 s19, s8, -1
	s_waitcnt lgkmcnt(2)
	v_fmac_f32_e32 v131, v141, v135
	s_set_gpr_idx_on s18, gpr_idx(SRC0)
	v_mov_b32_e32 v141, v34
	s_set_gpr_idx_off
	v_fmac_f32_e32 v131, v142, v136
	s_set_gpr_idx_on s19, gpr_idx(SRC0)
	v_mov_b32_e32 v142, v34
	s_set_gpr_idx_off
	ds_read2_b32 v[135:136], v132 offset0:6 offset1:7
	s_waitcnt lgkmcnt(2)
	v_fmac_f32_e32 v131, v143, v137
	s_set_gpr_idx_on s8, gpr_idx(SRC0)
	v_mov_b32_e32 v137, v34
	s_set_gpr_idx_off
	v_fmac_f32_e32 v131, v144, v138
	s_add_u32 s8, s8, 8
	s_waitcnt lgkmcnt(1)
	v_fmac_f32_e32 v131, v145, v139
	v_add_u32_e32 v132, s8, v134
	v_fmac_f32_e32 v131, v141, v140
	s_addc_u32 s9, s9, 0
	s_add_i32 s12, s12, 32
	s_add_i32 s13, s8, -7
	v_cmp_eq_u32_e32 vcc, 32, v132
	s_waitcnt lgkmcnt(0)
	v_fmac_f32_e32 v131, v142, v135
	v_mov_b32_e32 v132, s13
	s_or_b64 s[10:11], vcc, s[10:11]
	v_fmac_f32_e32 v131, v137, v136
	s_andn2_b64 exec, exec, s[10:11]
	s_cbranch_execnz .LBB31_89
; %bb.90:
	s_or_b64 exec, exec, s[10:11]
.LBB31_91:
	s_or_b64 exec, exec, s[2:3]
	v_and_b32_e32 v133, 7, v133
	v_cmp_ne_u32_e32 vcc, 0, v133
	s_and_saveexec_b64 s[8:9], vcc
	s_cbranch_execz .LBB31_95
; %bb.92:
	v_mov_b32_e32 v134, 0x80
	v_lshl_add_u32 v134, v132, 2, v134
	v_mov_b32_e32 v135, 0
	s_mov_b64 s[10:11], 0
.LBB31_93:                              ; =>This Inner Loop Header: Depth=1
	v_cmp_eq_u32_e32 vcc, 1, v132
	v_cndmask_b32_e32 v136, v34, v35, vcc
	v_add_u32_e32 v133, -1, v133
	v_cmp_eq_u32_e32 vcc, 2, v132
	v_cndmask_b32_e32 v136, v136, v36, vcc
	v_cmp_eq_u32_e32 vcc, 0, v133
	v_cmp_eq_u32_e64 s[2:3], 3, v132
	v_cndmask_b32_e64 v136, v136, v37, s[2:3]
	s_or_b64 s[10:11], vcc, s[10:11]
	v_cmp_eq_u32_e32 vcc, 4, v132
	v_cndmask_b32_e32 v136, v136, v38, vcc
	v_cmp_eq_u32_e32 vcc, 5, v132
	v_cndmask_b32_e32 v136, v136, v39, vcc
	v_cmp_eq_u32_e32 vcc, 6, v132
	v_cndmask_b32_e32 v136, v136, v40, vcc
	v_cmp_eq_u32_e32 vcc, 7, v132
	v_cndmask_b32_e32 v136, v136, v41, vcc
	v_cmp_eq_u32_e32 vcc, 8, v132
	v_cndmask_b32_e32 v136, v136, v42, vcc
	v_cmp_eq_u32_e32 vcc, 9, v132
	v_cndmask_b32_e32 v136, v136, v43, vcc
	v_cmp_eq_u32_e32 vcc, 10, v132
	v_cndmask_b32_e32 v136, v136, v44, vcc
	v_cmp_eq_u32_e32 vcc, 11, v132
	v_cndmask_b32_e32 v136, v136, v45, vcc
	v_cmp_eq_u32_e32 vcc, 12, v132
	v_cndmask_b32_e32 v136, v136, v46, vcc
	v_cmp_eq_u32_e32 vcc, 13, v132
	v_cndmask_b32_e32 v136, v136, v47, vcc
	v_cmp_eq_u32_e32 vcc, 14, v132
	v_cndmask_b32_e32 v136, v136, v48, vcc
	v_cmp_eq_u32_e32 vcc, 15, v132
	v_cndmask_b32_e32 v136, v136, v49, vcc
	v_cmp_eq_u32_e32 vcc, 16, v132
	v_cndmask_b32_e32 v136, v136, v50, vcc
	v_cmp_eq_u32_e32 vcc, 17, v132
	v_cndmask_b32_e32 v136, v136, v51, vcc
	v_cmp_eq_u32_e32 vcc, 18, v132
	v_cndmask_b32_e32 v136, v136, v52, vcc
	v_cmp_eq_u32_e32 vcc, 19, v132
	v_cndmask_b32_e32 v136, v136, v53, vcc
	v_cmp_eq_u32_e32 vcc, 20, v132
	v_cndmask_b32_e32 v136, v136, v54, vcc
	v_cmp_eq_u32_e32 vcc, 21, v132
	v_cndmask_b32_e32 v136, v136, v55, vcc
	v_cmp_eq_u32_e32 vcc, 22, v132
	v_cndmask_b32_e32 v136, v136, v56, vcc
	v_cmp_eq_u32_e32 vcc, 23, v132
	v_cndmask_b32_e32 v136, v136, v57, vcc
	v_cmp_eq_u32_e32 vcc, 24, v132
	v_cndmask_b32_e32 v136, v136, v58, vcc
	v_cmp_eq_u32_e32 vcc, 25, v132
	v_cndmask_b32_e32 v136, v136, v59, vcc
	v_cmp_eq_u32_e32 vcc, 26, v132
	v_cndmask_b32_e32 v136, v136, v60, vcc
	v_cmp_eq_u32_e32 vcc, 27, v132
	ds_read_b32 v137, v134
	v_cndmask_b32_e32 v136, v136, v61, vcc
	v_cmp_eq_u32_e32 vcc, 28, v132
	v_cndmask_b32_e32 v136, v136, v62, vcc
	v_cmp_eq_u32_e32 vcc, 29, v132
	;; [unrolled: 2-line block ×4, first 2 shown]
	v_add_co_u32_e64 v132, s[2:3], 1, v132
	v_cndmask_b32_e32 v136, v136, v65, vcc
	v_add_u32_e32 v134, 4, v134
	v_addc_co_u32_e64 v135, s[2:3], 0, v135, s[2:3]
	s_waitcnt lgkmcnt(0)
	v_fmac_f32_e32 v131, v136, v137
	s_andn2_b64 exec, exec, s[10:11]
	s_cbranch_execnz .LBB31_93
; %bb.94:
	s_or_b64 exec, exec, s[10:11]
.LBB31_95:
	s_or_b64 exec, exec, s[8:9]
.LBB31_96:
	s_or_b64 exec, exec, s[6:7]
	v_mov_b32_e32 v58, 0
	ds_read_b32 v58, v58 offset:96
	s_waitcnt lgkmcnt(0)
	v_mul_f32_e32 v58, v131, v58
.LBB31_97:
	s_or_b64 exec, exec, s[4:5]
	v_cmp_lt_u32_e64 s[2:3], 23, v0
	ds_write_b32 v130, v57
	s_waitcnt lgkmcnt(0)
	; wave barrier
	s_and_saveexec_b64 s[4:5], s[2:3]
	s_cbranch_execz .LBB31_113
; %bb.98:
	s_andn2_b64 vcc, exec, s[66:67]
	s_cbranch_vccnz .LBB31_100
; %bb.99:
	v_cmp_eq_u32_e32 vcc, 1, v0
	v_cndmask_b32_e32 v131, v34, v35, vcc
	v_cmp_eq_u32_e32 vcc, 2, v0
	v_cndmask_b32_e32 v131, v131, v36, vcc
	;; [unrolled: 2-line block ×27, first 2 shown]
	v_cmp_eq_u32_e32 vcc, 28, v0
	ds_read_b32 v132, v130
	v_cndmask_b32_e32 v131, v131, v62, vcc
	v_cmp_eq_u32_e32 vcc, 29, v0
	v_cndmask_b32_e32 v131, v131, v63, vcc
	v_cmp_eq_u32_e32 vcc, 30, v0
	;; [unrolled: 2-line block ×3, first 2 shown]
	v_cndmask_b32_e32 v131, v131, v65, vcc
	s_waitcnt lgkmcnt(0)
	v_mul_f32_e32 v131, v131, v132
	s_cbranch_execz .LBB31_101
	s_branch .LBB31_102
.LBB31_100:
                                        ; implicit-def: $vgpr131
.LBB31_101:
	ds_read_b32 v131, v130
.LBB31_102:
	s_and_saveexec_b64 s[6:7], s[0:1]
	s_cbranch_execz .LBB31_112
; %bb.103:
	v_subrev_u32_e32 v132, 25, v0
	v_cmp_lt_u32_e32 vcc, 6, v132
	v_mov_b32_e32 v132, 24
	s_and_saveexec_b64 s[0:1], vcc
	s_cbranch_execz .LBB31_107
; %bb.104:
	v_and_b32_e32 v132, 24, v0
	v_sub_u32_e32 v133, 0, v132
	s_mov_b64 s[8:9], 31
	s_movk_i32 s12, 0xe0
	s_mov_b64 s[10:11], 0
.LBB31_105:                             ; =>This Inner Loop Header: Depth=1
	s_add_i32 s13, s8, -7
	v_mov_b32_e32 v132, s12
	s_add_i32 s14, s8, -6
	s_set_gpr_idx_on s13, gpr_idx(SRC0)
	v_mov_b32_e32 v142, v34
	s_set_gpr_idx_off
	s_add_i32 s15, s8, -5
	ds_read_b128 v[134:137], v132
	ds_read_b128 v[138:141], v132 offset:16
	s_set_gpr_idx_on s14, gpr_idx(SRC0)
	v_mov_b32_e32 v132, v34
	s_set_gpr_idx_off
	s_add_i32 s16, s8, -4
	s_set_gpr_idx_on s15, gpr_idx(SRC0)
	v_mov_b32_e32 v143, v34
	s_set_gpr_idx_off
	s_add_i32 s17, s8, -3
	s_set_gpr_idx_on s16, gpr_idx(SRC0)
	v_mov_b32_e32 v144, v34
	s_set_gpr_idx_off
	s_add_i32 s18, s8, -2
	s_set_gpr_idx_on s17, gpr_idx(SRC0)
	v_mov_b32_e32 v145, v34
	s_set_gpr_idx_off
	s_add_i32 s19, s8, -1
	s_waitcnt lgkmcnt(1)
	v_fmac_f32_e32 v131, v142, v134
	s_set_gpr_idx_on s18, gpr_idx(SRC0)
	v_mov_b32_e32 v134, v34
	s_set_gpr_idx_off
	v_fmac_f32_e32 v131, v132, v135
	s_set_gpr_idx_on s19, gpr_idx(SRC0)
	v_mov_b32_e32 v135, v34
	s_set_gpr_idx_off
	;; [unrolled: 4-line block ×3, first 2 shown]
	v_fmac_f32_e32 v131, v144, v137
	s_add_u32 s8, s8, 8
	s_waitcnt lgkmcnt(0)
	v_fmac_f32_e32 v131, v145, v138
	v_add_u32_e32 v132, s8, v133
	v_fmac_f32_e32 v131, v134, v139
	s_addc_u32 s9, s9, 0
	s_add_i32 s12, s12, 32
	s_add_i32 s13, s8, -7
	v_cmp_eq_u32_e32 vcc, 7, v132
	v_fmac_f32_e32 v131, v135, v140
	v_mov_b32_e32 v132, s13
	s_or_b64 s[10:11], vcc, s[10:11]
	v_fmac_f32_e32 v131, v136, v141
	s_andn2_b64 exec, exec, s[10:11]
	s_cbranch_execnz .LBB31_105
; %bb.106:
	s_or_b64 exec, exec, s[10:11]
.LBB31_107:
	s_or_b64 exec, exec, s[0:1]
	v_and_b32_e32 v133, 7, v0
	v_cmp_ne_u32_e32 vcc, 0, v133
	s_and_saveexec_b64 s[8:9], vcc
	s_cbranch_execz .LBB31_111
; %bb.108:
	v_mov_b32_e32 v134, 0x80
	v_lshl_add_u32 v134, v132, 2, v134
	v_mov_b32_e32 v135, 0
	s_mov_b64 s[10:11], 0
.LBB31_109:                             ; =>This Inner Loop Header: Depth=1
	v_cmp_eq_u32_e32 vcc, 1, v132
	v_cndmask_b32_e32 v136, v34, v35, vcc
	v_add_u32_e32 v133, -1, v133
	v_cmp_eq_u32_e32 vcc, 2, v132
	v_cndmask_b32_e32 v136, v136, v36, vcc
	v_cmp_eq_u32_e32 vcc, 0, v133
	v_cmp_eq_u32_e64 s[0:1], 3, v132
	v_cndmask_b32_e64 v136, v136, v37, s[0:1]
	s_or_b64 s[10:11], vcc, s[10:11]
	v_cmp_eq_u32_e32 vcc, 4, v132
	v_cndmask_b32_e32 v136, v136, v38, vcc
	v_cmp_eq_u32_e32 vcc, 5, v132
	v_cndmask_b32_e32 v136, v136, v39, vcc
	;; [unrolled: 2-line block ×23, first 2 shown]
	v_cmp_eq_u32_e32 vcc, 27, v132
	ds_read_b32 v137, v134
	v_cndmask_b32_e32 v136, v136, v61, vcc
	v_cmp_eq_u32_e32 vcc, 28, v132
	v_cndmask_b32_e32 v136, v136, v62, vcc
	v_cmp_eq_u32_e32 vcc, 29, v132
	;; [unrolled: 2-line block ×4, first 2 shown]
	v_add_co_u32_e64 v132, s[0:1], 1, v132
	v_cndmask_b32_e32 v136, v136, v65, vcc
	v_add_u32_e32 v134, 4, v134
	v_addc_co_u32_e64 v135, s[0:1], 0, v135, s[0:1]
	s_waitcnt lgkmcnt(0)
	v_fmac_f32_e32 v131, v136, v137
	s_andn2_b64 exec, exec, s[10:11]
	s_cbranch_execnz .LBB31_109
; %bb.110:
	s_or_b64 exec, exec, s[10:11]
.LBB31_111:
	s_or_b64 exec, exec, s[8:9]
.LBB31_112:
	s_or_b64 exec, exec, s[6:7]
	v_mov_b32_e32 v57, 0
	ds_read_b32 v57, v57 offset:92
	s_waitcnt lgkmcnt(0)
	v_mul_f32_e32 v57, v131, v57
.LBB31_113:
	s_or_b64 exec, exec, s[4:5]
	v_cmp_lt_u32_e64 s[0:1], 22, v0
	ds_write_b32 v130, v56
	s_waitcnt lgkmcnt(0)
	; wave barrier
	s_and_saveexec_b64 s[4:5], s[0:1]
	s_cbranch_execz .LBB31_129
; %bb.114:
	s_andn2_b64 vcc, exec, s[66:67]
	s_cbranch_vccnz .LBB31_116
; %bb.115:
	v_cmp_eq_u32_e32 vcc, 1, v0
	v_cndmask_b32_e32 v131, v34, v35, vcc
	v_cmp_eq_u32_e32 vcc, 2, v0
	v_cndmask_b32_e32 v131, v131, v36, vcc
	;; [unrolled: 2-line block ×27, first 2 shown]
	v_cmp_eq_u32_e32 vcc, 28, v0
	ds_read_b32 v132, v130
	v_cndmask_b32_e32 v131, v131, v62, vcc
	v_cmp_eq_u32_e32 vcc, 29, v0
	v_cndmask_b32_e32 v131, v131, v63, vcc
	v_cmp_eq_u32_e32 vcc, 30, v0
	;; [unrolled: 2-line block ×3, first 2 shown]
	v_cndmask_b32_e32 v131, v131, v65, vcc
	s_waitcnt lgkmcnt(0)
	v_mul_f32_e32 v131, v131, v132
	s_cbranch_execz .LBB31_117
	s_branch .LBB31_118
.LBB31_116:
                                        ; implicit-def: $vgpr131
.LBB31_117:
	ds_read_b32 v131, v130
.LBB31_118:
	s_and_saveexec_b64 s[6:7], s[2:3]
	s_cbranch_execz .LBB31_128
; %bb.119:
	v_subrev_u32_e32 v134, 24, v0
	v_mov_b32_e32 v132, 23
	v_subrev_u32_e32 v133, 23, v0
	v_cmp_lt_u32_e32 vcc, 6, v134
	s_and_saveexec_b64 s[2:3], vcc
	s_cbranch_execz .LBB31_123
; %bb.120:
	v_and_b32_e32 v132, -8, v133
	v_sub_u32_e32 v134, 0, v132
	s_mov_b64 s[8:9], 30
	s_movk_i32 s12, 0xdc
	s_mov_b64 s[10:11], 0
.LBB31_121:                             ; =>This Inner Loop Header: Depth=1
	s_add_i32 s13, s8, -7
	v_mov_b32_e32 v132, s12
	s_add_i32 s14, s8, -6
	s_set_gpr_idx_on s13, gpr_idx(SRC0)
	v_mov_b32_e32 v141, v34
	s_set_gpr_idx_off
	ds_read2_b32 v[135:136], v132 offset1:1
	s_add_i32 s15, s8, -5
	s_set_gpr_idx_on s14, gpr_idx(SRC0)
	v_mov_b32_e32 v142, v34
	s_set_gpr_idx_off
	s_add_i32 s16, s8, -4
	s_set_gpr_idx_on s15, gpr_idx(SRC0)
	v_mov_b32_e32 v143, v34
	s_set_gpr_idx_off
	ds_read2_b32 v[137:138], v132 offset0:2 offset1:3
	s_add_i32 s17, s8, -3
	s_set_gpr_idx_on s16, gpr_idx(SRC0)
	v_mov_b32_e32 v144, v34
	s_set_gpr_idx_off
	s_add_i32 s18, s8, -2
	s_set_gpr_idx_on s17, gpr_idx(SRC0)
	v_mov_b32_e32 v145, v34
	s_set_gpr_idx_off
	ds_read2_b32 v[139:140], v132 offset0:4 offset1:5
	s_add_i32 s19, s8, -1
	s_waitcnt lgkmcnt(2)
	v_fmac_f32_e32 v131, v141, v135
	s_set_gpr_idx_on s18, gpr_idx(SRC0)
	v_mov_b32_e32 v141, v34
	s_set_gpr_idx_off
	v_fmac_f32_e32 v131, v142, v136
	s_set_gpr_idx_on s19, gpr_idx(SRC0)
	v_mov_b32_e32 v142, v34
	s_set_gpr_idx_off
	ds_read2_b32 v[135:136], v132 offset0:6 offset1:7
	s_waitcnt lgkmcnt(2)
	v_fmac_f32_e32 v131, v143, v137
	s_set_gpr_idx_on s8, gpr_idx(SRC0)
	v_mov_b32_e32 v137, v34
	s_set_gpr_idx_off
	v_fmac_f32_e32 v131, v144, v138
	s_add_u32 s8, s8, 8
	s_waitcnt lgkmcnt(1)
	v_fmac_f32_e32 v131, v145, v139
	v_add_u32_e32 v132, s8, v134
	v_fmac_f32_e32 v131, v141, v140
	s_addc_u32 s9, s9, 0
	s_add_i32 s12, s12, 32
	s_add_i32 s13, s8, -7
	v_cmp_eq_u32_e32 vcc, 30, v132
	s_waitcnt lgkmcnt(0)
	v_fmac_f32_e32 v131, v142, v135
	v_mov_b32_e32 v132, s13
	s_or_b64 s[10:11], vcc, s[10:11]
	v_fmac_f32_e32 v131, v137, v136
	s_andn2_b64 exec, exec, s[10:11]
	s_cbranch_execnz .LBB31_121
; %bb.122:
	s_or_b64 exec, exec, s[10:11]
.LBB31_123:
	s_or_b64 exec, exec, s[2:3]
	v_and_b32_e32 v133, 7, v133
	v_cmp_ne_u32_e32 vcc, 0, v133
	s_and_saveexec_b64 s[8:9], vcc
	s_cbranch_execz .LBB31_127
; %bb.124:
	v_mov_b32_e32 v134, 0x80
	v_lshl_add_u32 v134, v132, 2, v134
	v_mov_b32_e32 v135, 0
	s_mov_b64 s[10:11], 0
.LBB31_125:                             ; =>This Inner Loop Header: Depth=1
	v_cmp_eq_u32_e32 vcc, 1, v132
	v_cndmask_b32_e32 v136, v34, v35, vcc
	v_add_u32_e32 v133, -1, v133
	v_cmp_eq_u32_e32 vcc, 2, v132
	v_cndmask_b32_e32 v136, v136, v36, vcc
	v_cmp_eq_u32_e32 vcc, 0, v133
	v_cmp_eq_u32_e64 s[2:3], 3, v132
	v_cndmask_b32_e64 v136, v136, v37, s[2:3]
	s_or_b64 s[10:11], vcc, s[10:11]
	v_cmp_eq_u32_e32 vcc, 4, v132
	v_cndmask_b32_e32 v136, v136, v38, vcc
	v_cmp_eq_u32_e32 vcc, 5, v132
	v_cndmask_b32_e32 v136, v136, v39, vcc
	;; [unrolled: 2-line block ×23, first 2 shown]
	v_cmp_eq_u32_e32 vcc, 27, v132
	ds_read_b32 v137, v134
	v_cndmask_b32_e32 v136, v136, v61, vcc
	v_cmp_eq_u32_e32 vcc, 28, v132
	v_cndmask_b32_e32 v136, v136, v62, vcc
	v_cmp_eq_u32_e32 vcc, 29, v132
	;; [unrolled: 2-line block ×4, first 2 shown]
	v_add_co_u32_e64 v132, s[2:3], 1, v132
	v_cndmask_b32_e32 v136, v136, v65, vcc
	v_add_u32_e32 v134, 4, v134
	v_addc_co_u32_e64 v135, s[2:3], 0, v135, s[2:3]
	s_waitcnt lgkmcnt(0)
	v_fmac_f32_e32 v131, v136, v137
	s_andn2_b64 exec, exec, s[10:11]
	s_cbranch_execnz .LBB31_125
; %bb.126:
	s_or_b64 exec, exec, s[10:11]
.LBB31_127:
	s_or_b64 exec, exec, s[8:9]
.LBB31_128:
	s_or_b64 exec, exec, s[6:7]
	v_mov_b32_e32 v56, 0
	ds_read_b32 v56, v56 offset:88
	s_waitcnt lgkmcnt(0)
	v_mul_f32_e32 v56, v131, v56
.LBB31_129:
	s_or_b64 exec, exec, s[4:5]
	v_cmp_lt_u32_e64 s[2:3], 21, v0
	ds_write_b32 v130, v55
	s_waitcnt lgkmcnt(0)
	; wave barrier
	s_and_saveexec_b64 s[4:5], s[2:3]
	s_cbranch_execz .LBB31_145
; %bb.130:
	s_andn2_b64 vcc, exec, s[66:67]
	s_cbranch_vccnz .LBB31_132
; %bb.131:
	v_cmp_eq_u32_e32 vcc, 1, v0
	v_cndmask_b32_e32 v131, v34, v35, vcc
	v_cmp_eq_u32_e32 vcc, 2, v0
	v_cndmask_b32_e32 v131, v131, v36, vcc
	;; [unrolled: 2-line block ×27, first 2 shown]
	v_cmp_eq_u32_e32 vcc, 28, v0
	ds_read_b32 v132, v130
	v_cndmask_b32_e32 v131, v131, v62, vcc
	v_cmp_eq_u32_e32 vcc, 29, v0
	v_cndmask_b32_e32 v131, v131, v63, vcc
	v_cmp_eq_u32_e32 vcc, 30, v0
	;; [unrolled: 2-line block ×3, first 2 shown]
	v_cndmask_b32_e32 v131, v131, v65, vcc
	s_waitcnt lgkmcnt(0)
	v_mul_f32_e32 v131, v131, v132
	s_cbranch_execz .LBB31_133
	s_branch .LBB31_134
.LBB31_132:
                                        ; implicit-def: $vgpr131
.LBB31_133:
	ds_read_b32 v131, v130
.LBB31_134:
	s_and_saveexec_b64 s[6:7], s[0:1]
	s_cbranch_execz .LBB31_144
; %bb.135:
	v_subrev_u32_e32 v134, 23, v0
	v_mov_b32_e32 v132, 22
	v_subrev_u32_e32 v133, 22, v0
	v_cmp_lt_u32_e32 vcc, 6, v134
	s_and_saveexec_b64 s[0:1], vcc
	s_cbranch_execz .LBB31_139
; %bb.136:
	v_and_b32_e32 v132, -8, v133
	v_sub_u32_e32 v134, 0, v132
	s_mov_b64 s[8:9], 29
	s_movk_i32 s12, 0xd8
	s_mov_b64 s[10:11], 0
.LBB31_137:                             ; =>This Inner Loop Header: Depth=1
	s_add_i32 s13, s8, -7
	v_mov_b32_e32 v132, s12
	s_add_i32 s14, s8, -6
	s_set_gpr_idx_on s13, gpr_idx(SRC0)
	v_mov_b32_e32 v143, v34
	s_set_gpr_idx_off
	ds_read2_b64 v[135:138], v132 offset1:1
	s_add_i32 s15, s8, -5
	s_set_gpr_idx_on s14, gpr_idx(SRC0)
	v_mov_b32_e32 v144, v34
	s_set_gpr_idx_off
	s_add_i32 s16, s8, -4
	s_set_gpr_idx_on s15, gpr_idx(SRC0)
	v_mov_b32_e32 v145, v34
	s_set_gpr_idx_off
	;; [unrolled: 4-line block ×4, first 2 shown]
	ds_read2_b64 v[139:142], v132 offset0:2 offset1:3
	s_add_i32 s19, s8, -1
	s_waitcnt lgkmcnt(1)
	v_fmac_f32_e32 v131, v143, v135
	s_set_gpr_idx_on s18, gpr_idx(SRC0)
	v_mov_b32_e32 v135, v34
	s_set_gpr_idx_off
	v_fmac_f32_e32 v131, v144, v136
	s_set_gpr_idx_on s19, gpr_idx(SRC0)
	v_mov_b32_e32 v136, v34
	s_set_gpr_idx_off
	;; [unrolled: 4-line block ×3, first 2 shown]
	v_fmac_f32_e32 v131, v146, v138
	s_add_u32 s8, s8, 8
	s_waitcnt lgkmcnt(0)
	v_fmac_f32_e32 v131, v147, v139
	v_add_u32_e32 v132, s8, v134
	v_fmac_f32_e32 v131, v135, v140
	s_addc_u32 s9, s9, 0
	s_add_i32 s12, s12, 32
	s_add_i32 s13, s8, -7
	v_cmp_eq_u32_e32 vcc, 29, v132
	v_fmac_f32_e32 v131, v136, v141
	v_mov_b32_e32 v132, s13
	s_or_b64 s[10:11], vcc, s[10:11]
	v_fmac_f32_e32 v131, v137, v142
	s_andn2_b64 exec, exec, s[10:11]
	s_cbranch_execnz .LBB31_137
; %bb.138:
	s_or_b64 exec, exec, s[10:11]
.LBB31_139:
	s_or_b64 exec, exec, s[0:1]
	v_and_b32_e32 v133, 7, v133
	v_cmp_ne_u32_e32 vcc, 0, v133
	s_and_saveexec_b64 s[8:9], vcc
	s_cbranch_execz .LBB31_143
; %bb.140:
	v_mov_b32_e32 v134, 0x80
	v_lshl_add_u32 v134, v132, 2, v134
	v_mov_b32_e32 v135, 0
	s_mov_b64 s[10:11], 0
.LBB31_141:                             ; =>This Inner Loop Header: Depth=1
	v_cmp_eq_u32_e32 vcc, 1, v132
	v_cndmask_b32_e32 v136, v34, v35, vcc
	v_add_u32_e32 v133, -1, v133
	v_cmp_eq_u32_e32 vcc, 2, v132
	v_cndmask_b32_e32 v136, v136, v36, vcc
	v_cmp_eq_u32_e32 vcc, 0, v133
	v_cmp_eq_u32_e64 s[0:1], 3, v132
	v_cndmask_b32_e64 v136, v136, v37, s[0:1]
	s_or_b64 s[10:11], vcc, s[10:11]
	v_cmp_eq_u32_e32 vcc, 4, v132
	v_cndmask_b32_e32 v136, v136, v38, vcc
	v_cmp_eq_u32_e32 vcc, 5, v132
	v_cndmask_b32_e32 v136, v136, v39, vcc
	v_cmp_eq_u32_e32 vcc, 6, v132
	v_cndmask_b32_e32 v136, v136, v40, vcc
	v_cmp_eq_u32_e32 vcc, 7, v132
	v_cndmask_b32_e32 v136, v136, v41, vcc
	v_cmp_eq_u32_e32 vcc, 8, v132
	v_cndmask_b32_e32 v136, v136, v42, vcc
	v_cmp_eq_u32_e32 vcc, 9, v132
	v_cndmask_b32_e32 v136, v136, v43, vcc
	v_cmp_eq_u32_e32 vcc, 10, v132
	v_cndmask_b32_e32 v136, v136, v44, vcc
	v_cmp_eq_u32_e32 vcc, 11, v132
	v_cndmask_b32_e32 v136, v136, v45, vcc
	v_cmp_eq_u32_e32 vcc, 12, v132
	v_cndmask_b32_e32 v136, v136, v46, vcc
	v_cmp_eq_u32_e32 vcc, 13, v132
	v_cndmask_b32_e32 v136, v136, v47, vcc
	v_cmp_eq_u32_e32 vcc, 14, v132
	v_cndmask_b32_e32 v136, v136, v48, vcc
	v_cmp_eq_u32_e32 vcc, 15, v132
	v_cndmask_b32_e32 v136, v136, v49, vcc
	v_cmp_eq_u32_e32 vcc, 16, v132
	v_cndmask_b32_e32 v136, v136, v50, vcc
	v_cmp_eq_u32_e32 vcc, 17, v132
	v_cndmask_b32_e32 v136, v136, v51, vcc
	v_cmp_eq_u32_e32 vcc, 18, v132
	v_cndmask_b32_e32 v136, v136, v52, vcc
	v_cmp_eq_u32_e32 vcc, 19, v132
	v_cndmask_b32_e32 v136, v136, v53, vcc
	v_cmp_eq_u32_e32 vcc, 20, v132
	v_cndmask_b32_e32 v136, v136, v54, vcc
	v_cmp_eq_u32_e32 vcc, 21, v132
	v_cndmask_b32_e32 v136, v136, v55, vcc
	v_cmp_eq_u32_e32 vcc, 22, v132
	v_cndmask_b32_e32 v136, v136, v56, vcc
	v_cmp_eq_u32_e32 vcc, 23, v132
	v_cndmask_b32_e32 v136, v136, v57, vcc
	v_cmp_eq_u32_e32 vcc, 24, v132
	v_cndmask_b32_e32 v136, v136, v58, vcc
	v_cmp_eq_u32_e32 vcc, 25, v132
	v_cndmask_b32_e32 v136, v136, v59, vcc
	v_cmp_eq_u32_e32 vcc, 26, v132
	v_cndmask_b32_e32 v136, v136, v60, vcc
	v_cmp_eq_u32_e32 vcc, 27, v132
	ds_read_b32 v137, v134
	v_cndmask_b32_e32 v136, v136, v61, vcc
	v_cmp_eq_u32_e32 vcc, 28, v132
	v_cndmask_b32_e32 v136, v136, v62, vcc
	v_cmp_eq_u32_e32 vcc, 29, v132
	;; [unrolled: 2-line block ×4, first 2 shown]
	v_add_co_u32_e64 v132, s[0:1], 1, v132
	v_cndmask_b32_e32 v136, v136, v65, vcc
	v_add_u32_e32 v134, 4, v134
	v_addc_co_u32_e64 v135, s[0:1], 0, v135, s[0:1]
	s_waitcnt lgkmcnt(0)
	v_fmac_f32_e32 v131, v136, v137
	s_andn2_b64 exec, exec, s[10:11]
	s_cbranch_execnz .LBB31_141
; %bb.142:
	s_or_b64 exec, exec, s[10:11]
.LBB31_143:
	s_or_b64 exec, exec, s[8:9]
.LBB31_144:
	s_or_b64 exec, exec, s[6:7]
	v_mov_b32_e32 v55, 0
	ds_read_b32 v55, v55 offset:84
	s_waitcnt lgkmcnt(0)
	v_mul_f32_e32 v55, v131, v55
.LBB31_145:
	s_or_b64 exec, exec, s[4:5]
	v_cmp_lt_u32_e64 s[0:1], 20, v0
	ds_write_b32 v130, v54
	s_waitcnt lgkmcnt(0)
	; wave barrier
	s_and_saveexec_b64 s[4:5], s[0:1]
	s_cbranch_execz .LBB31_161
; %bb.146:
	s_andn2_b64 vcc, exec, s[66:67]
	s_cbranch_vccnz .LBB31_148
; %bb.147:
	v_cmp_eq_u32_e32 vcc, 1, v0
	v_cndmask_b32_e32 v131, v34, v35, vcc
	v_cmp_eq_u32_e32 vcc, 2, v0
	v_cndmask_b32_e32 v131, v131, v36, vcc
	;; [unrolled: 2-line block ×27, first 2 shown]
	v_cmp_eq_u32_e32 vcc, 28, v0
	ds_read_b32 v132, v130
	v_cndmask_b32_e32 v131, v131, v62, vcc
	v_cmp_eq_u32_e32 vcc, 29, v0
	v_cndmask_b32_e32 v131, v131, v63, vcc
	v_cmp_eq_u32_e32 vcc, 30, v0
	;; [unrolled: 2-line block ×3, first 2 shown]
	v_cndmask_b32_e32 v131, v131, v65, vcc
	s_waitcnt lgkmcnt(0)
	v_mul_f32_e32 v131, v131, v132
	s_cbranch_execz .LBB31_149
	s_branch .LBB31_150
.LBB31_148:
                                        ; implicit-def: $vgpr131
.LBB31_149:
	ds_read_b32 v131, v130
.LBB31_150:
	s_and_saveexec_b64 s[6:7], s[2:3]
	s_cbranch_execz .LBB31_160
; %bb.151:
	v_subrev_u32_e32 v134, 22, v0
	v_mov_b32_e32 v132, 21
	v_subrev_u32_e32 v133, 21, v0
	v_cmp_lt_u32_e32 vcc, 6, v134
	s_and_saveexec_b64 s[2:3], vcc
	s_cbranch_execz .LBB31_155
; %bb.152:
	v_and_b32_e32 v132, -8, v133
	v_sub_u32_e32 v134, 0, v132
	s_mov_b64 s[8:9], 28
	s_movk_i32 s12, 0xd4
	s_mov_b64 s[10:11], 0
.LBB31_153:                             ; =>This Inner Loop Header: Depth=1
	s_add_i32 s13, s8, -7
	v_mov_b32_e32 v132, s12
	s_add_i32 s14, s8, -6
	s_set_gpr_idx_on s13, gpr_idx(SRC0)
	v_mov_b32_e32 v141, v34
	s_set_gpr_idx_off
	ds_read2_b32 v[135:136], v132 offset1:1
	s_add_i32 s15, s8, -5
	s_set_gpr_idx_on s14, gpr_idx(SRC0)
	v_mov_b32_e32 v142, v34
	s_set_gpr_idx_off
	s_add_i32 s16, s8, -4
	s_set_gpr_idx_on s15, gpr_idx(SRC0)
	v_mov_b32_e32 v143, v34
	s_set_gpr_idx_off
	ds_read2_b32 v[137:138], v132 offset0:2 offset1:3
	s_add_i32 s17, s8, -3
	s_set_gpr_idx_on s16, gpr_idx(SRC0)
	v_mov_b32_e32 v144, v34
	s_set_gpr_idx_off
	s_add_i32 s18, s8, -2
	s_set_gpr_idx_on s17, gpr_idx(SRC0)
	v_mov_b32_e32 v145, v34
	s_set_gpr_idx_off
	ds_read2_b32 v[139:140], v132 offset0:4 offset1:5
	s_add_i32 s19, s8, -1
	s_waitcnt lgkmcnt(2)
	v_fmac_f32_e32 v131, v141, v135
	s_set_gpr_idx_on s18, gpr_idx(SRC0)
	v_mov_b32_e32 v141, v34
	s_set_gpr_idx_off
	v_fmac_f32_e32 v131, v142, v136
	s_set_gpr_idx_on s19, gpr_idx(SRC0)
	v_mov_b32_e32 v142, v34
	s_set_gpr_idx_off
	ds_read2_b32 v[135:136], v132 offset0:6 offset1:7
	s_waitcnt lgkmcnt(2)
	v_fmac_f32_e32 v131, v143, v137
	s_set_gpr_idx_on s8, gpr_idx(SRC0)
	v_mov_b32_e32 v137, v34
	s_set_gpr_idx_off
	v_fmac_f32_e32 v131, v144, v138
	s_add_u32 s8, s8, 8
	s_waitcnt lgkmcnt(1)
	v_fmac_f32_e32 v131, v145, v139
	v_add_u32_e32 v132, s8, v134
	v_fmac_f32_e32 v131, v141, v140
	s_addc_u32 s9, s9, 0
	s_add_i32 s12, s12, 32
	s_add_i32 s13, s8, -7
	v_cmp_eq_u32_e32 vcc, 28, v132
	s_waitcnt lgkmcnt(0)
	v_fmac_f32_e32 v131, v142, v135
	v_mov_b32_e32 v132, s13
	s_or_b64 s[10:11], vcc, s[10:11]
	v_fmac_f32_e32 v131, v137, v136
	s_andn2_b64 exec, exec, s[10:11]
	s_cbranch_execnz .LBB31_153
; %bb.154:
	s_or_b64 exec, exec, s[10:11]
.LBB31_155:
	s_or_b64 exec, exec, s[2:3]
	v_and_b32_e32 v133, 7, v133
	v_cmp_ne_u32_e32 vcc, 0, v133
	s_and_saveexec_b64 s[8:9], vcc
	s_cbranch_execz .LBB31_159
; %bb.156:
	v_mov_b32_e32 v134, 0x80
	v_lshl_add_u32 v134, v132, 2, v134
	v_mov_b32_e32 v135, 0
	s_mov_b64 s[10:11], 0
.LBB31_157:                             ; =>This Inner Loop Header: Depth=1
	v_cmp_eq_u32_e32 vcc, 1, v132
	v_cndmask_b32_e32 v136, v34, v35, vcc
	v_add_u32_e32 v133, -1, v133
	v_cmp_eq_u32_e32 vcc, 2, v132
	v_cndmask_b32_e32 v136, v136, v36, vcc
	v_cmp_eq_u32_e32 vcc, 0, v133
	v_cmp_eq_u32_e64 s[2:3], 3, v132
	v_cndmask_b32_e64 v136, v136, v37, s[2:3]
	s_or_b64 s[10:11], vcc, s[10:11]
	v_cmp_eq_u32_e32 vcc, 4, v132
	v_cndmask_b32_e32 v136, v136, v38, vcc
	v_cmp_eq_u32_e32 vcc, 5, v132
	v_cndmask_b32_e32 v136, v136, v39, vcc
	;; [unrolled: 2-line block ×23, first 2 shown]
	v_cmp_eq_u32_e32 vcc, 27, v132
	ds_read_b32 v137, v134
	v_cndmask_b32_e32 v136, v136, v61, vcc
	v_cmp_eq_u32_e32 vcc, 28, v132
	v_cndmask_b32_e32 v136, v136, v62, vcc
	v_cmp_eq_u32_e32 vcc, 29, v132
	;; [unrolled: 2-line block ×4, first 2 shown]
	v_add_co_u32_e64 v132, s[2:3], 1, v132
	v_cndmask_b32_e32 v136, v136, v65, vcc
	v_add_u32_e32 v134, 4, v134
	v_addc_co_u32_e64 v135, s[2:3], 0, v135, s[2:3]
	s_waitcnt lgkmcnt(0)
	v_fmac_f32_e32 v131, v136, v137
	s_andn2_b64 exec, exec, s[10:11]
	s_cbranch_execnz .LBB31_157
; %bb.158:
	s_or_b64 exec, exec, s[10:11]
.LBB31_159:
	s_or_b64 exec, exec, s[8:9]
.LBB31_160:
	s_or_b64 exec, exec, s[6:7]
	v_mov_b32_e32 v54, 0
	ds_read_b32 v54, v54 offset:80
	s_waitcnt lgkmcnt(0)
	v_mul_f32_e32 v54, v131, v54
.LBB31_161:
	s_or_b64 exec, exec, s[4:5]
	v_cmp_lt_u32_e64 s[2:3], 19, v0
	ds_write_b32 v130, v53
	s_waitcnt lgkmcnt(0)
	; wave barrier
	s_and_saveexec_b64 s[4:5], s[2:3]
	s_cbranch_execz .LBB31_177
; %bb.162:
	s_andn2_b64 vcc, exec, s[66:67]
	s_cbranch_vccnz .LBB31_164
; %bb.163:
	v_cmp_eq_u32_e32 vcc, 1, v0
	v_cndmask_b32_e32 v131, v34, v35, vcc
	v_cmp_eq_u32_e32 vcc, 2, v0
	v_cndmask_b32_e32 v131, v131, v36, vcc
	;; [unrolled: 2-line block ×27, first 2 shown]
	v_cmp_eq_u32_e32 vcc, 28, v0
	ds_read_b32 v132, v130
	v_cndmask_b32_e32 v131, v131, v62, vcc
	v_cmp_eq_u32_e32 vcc, 29, v0
	v_cndmask_b32_e32 v131, v131, v63, vcc
	v_cmp_eq_u32_e32 vcc, 30, v0
	;; [unrolled: 2-line block ×3, first 2 shown]
	v_cndmask_b32_e32 v131, v131, v65, vcc
	s_waitcnt lgkmcnt(0)
	v_mul_f32_e32 v131, v131, v132
	s_cbranch_execz .LBB31_165
	s_branch .LBB31_166
.LBB31_164:
                                        ; implicit-def: $vgpr131
.LBB31_165:
	ds_read_b32 v131, v130
.LBB31_166:
	s_and_saveexec_b64 s[6:7], s[0:1]
	s_cbranch_execz .LBB31_176
; %bb.167:
	v_subrev_u32_e32 v134, 21, v0
	v_mov_b32_e32 v132, 20
	v_subrev_u32_e32 v133, 20, v0
	v_cmp_lt_u32_e32 vcc, 6, v134
	s_and_saveexec_b64 s[0:1], vcc
	s_cbranch_execz .LBB31_171
; %bb.168:
	v_and_b32_e32 v132, -8, v133
	v_sub_u32_e32 v134, 0, v132
	s_mov_b64 s[8:9], 27
	s_movk_i32 s12, 0xd0
	s_mov_b64 s[10:11], 0
.LBB31_169:                             ; =>This Inner Loop Header: Depth=1
	s_add_i32 s13, s8, -7
	v_mov_b32_e32 v132, s12
	s_add_i32 s14, s8, -6
	s_set_gpr_idx_on s13, gpr_idx(SRC0)
	v_mov_b32_e32 v143, v34
	s_set_gpr_idx_off
	s_add_i32 s15, s8, -5
	ds_read_b128 v[135:138], v132
	ds_read_b128 v[139:142], v132 offset:16
	s_set_gpr_idx_on s14, gpr_idx(SRC0)
	v_mov_b32_e32 v132, v34
	s_set_gpr_idx_off
	s_add_i32 s16, s8, -4
	s_set_gpr_idx_on s15, gpr_idx(SRC0)
	v_mov_b32_e32 v144, v34
	s_set_gpr_idx_off
	s_add_i32 s17, s8, -3
	s_set_gpr_idx_on s16, gpr_idx(SRC0)
	v_mov_b32_e32 v145, v34
	s_set_gpr_idx_off
	s_add_i32 s18, s8, -2
	s_set_gpr_idx_on s17, gpr_idx(SRC0)
	v_mov_b32_e32 v146, v34
	s_set_gpr_idx_off
	s_add_i32 s19, s8, -1
	s_waitcnt lgkmcnt(1)
	v_fmac_f32_e32 v131, v143, v135
	s_set_gpr_idx_on s18, gpr_idx(SRC0)
	v_mov_b32_e32 v135, v34
	s_set_gpr_idx_off
	v_fmac_f32_e32 v131, v132, v136
	s_set_gpr_idx_on s19, gpr_idx(SRC0)
	v_mov_b32_e32 v136, v34
	s_set_gpr_idx_off
	;; [unrolled: 4-line block ×3, first 2 shown]
	v_fmac_f32_e32 v131, v145, v138
	s_add_u32 s8, s8, 8
	s_waitcnt lgkmcnt(0)
	v_fmac_f32_e32 v131, v146, v139
	v_add_u32_e32 v132, s8, v134
	v_fmac_f32_e32 v131, v135, v140
	s_addc_u32 s9, s9, 0
	s_add_i32 s12, s12, 32
	s_add_i32 s13, s8, -7
	v_cmp_eq_u32_e32 vcc, 27, v132
	v_fmac_f32_e32 v131, v136, v141
	v_mov_b32_e32 v132, s13
	s_or_b64 s[10:11], vcc, s[10:11]
	v_fmac_f32_e32 v131, v137, v142
	s_andn2_b64 exec, exec, s[10:11]
	s_cbranch_execnz .LBB31_169
; %bb.170:
	s_or_b64 exec, exec, s[10:11]
.LBB31_171:
	s_or_b64 exec, exec, s[0:1]
	v_and_b32_e32 v133, 7, v133
	v_cmp_ne_u32_e32 vcc, 0, v133
	s_and_saveexec_b64 s[8:9], vcc
	s_cbranch_execz .LBB31_175
; %bb.172:
	v_mov_b32_e32 v134, 0x80
	v_lshl_add_u32 v134, v132, 2, v134
	v_mov_b32_e32 v135, 0
	s_mov_b64 s[10:11], 0
.LBB31_173:                             ; =>This Inner Loop Header: Depth=1
	v_cmp_eq_u32_e32 vcc, 1, v132
	v_cndmask_b32_e32 v136, v34, v35, vcc
	v_add_u32_e32 v133, -1, v133
	v_cmp_eq_u32_e32 vcc, 2, v132
	v_cndmask_b32_e32 v136, v136, v36, vcc
	v_cmp_eq_u32_e32 vcc, 0, v133
	v_cmp_eq_u32_e64 s[0:1], 3, v132
	v_cndmask_b32_e64 v136, v136, v37, s[0:1]
	s_or_b64 s[10:11], vcc, s[10:11]
	v_cmp_eq_u32_e32 vcc, 4, v132
	v_cndmask_b32_e32 v136, v136, v38, vcc
	v_cmp_eq_u32_e32 vcc, 5, v132
	v_cndmask_b32_e32 v136, v136, v39, vcc
	;; [unrolled: 2-line block ×23, first 2 shown]
	v_cmp_eq_u32_e32 vcc, 27, v132
	ds_read_b32 v137, v134
	v_cndmask_b32_e32 v136, v136, v61, vcc
	v_cmp_eq_u32_e32 vcc, 28, v132
	v_cndmask_b32_e32 v136, v136, v62, vcc
	v_cmp_eq_u32_e32 vcc, 29, v132
	;; [unrolled: 2-line block ×4, first 2 shown]
	v_add_co_u32_e64 v132, s[0:1], 1, v132
	v_cndmask_b32_e32 v136, v136, v65, vcc
	v_add_u32_e32 v134, 4, v134
	v_addc_co_u32_e64 v135, s[0:1], 0, v135, s[0:1]
	s_waitcnt lgkmcnt(0)
	v_fmac_f32_e32 v131, v136, v137
	s_andn2_b64 exec, exec, s[10:11]
	s_cbranch_execnz .LBB31_173
; %bb.174:
	s_or_b64 exec, exec, s[10:11]
.LBB31_175:
	s_or_b64 exec, exec, s[8:9]
.LBB31_176:
	s_or_b64 exec, exec, s[6:7]
	v_mov_b32_e32 v53, 0
	ds_read_b32 v53, v53 offset:76
	s_waitcnt lgkmcnt(0)
	v_mul_f32_e32 v53, v131, v53
.LBB31_177:
	s_or_b64 exec, exec, s[4:5]
	v_cmp_lt_u32_e64 s[0:1], 18, v0
	ds_write_b32 v130, v52
	s_waitcnt lgkmcnt(0)
	; wave barrier
	s_and_saveexec_b64 s[4:5], s[0:1]
	s_cbranch_execz .LBB31_193
; %bb.178:
	s_andn2_b64 vcc, exec, s[66:67]
	s_cbranch_vccnz .LBB31_180
; %bb.179:
	v_cmp_eq_u32_e32 vcc, 1, v0
	v_cndmask_b32_e32 v131, v34, v35, vcc
	v_cmp_eq_u32_e32 vcc, 2, v0
	v_cndmask_b32_e32 v131, v131, v36, vcc
	;; [unrolled: 2-line block ×27, first 2 shown]
	v_cmp_eq_u32_e32 vcc, 28, v0
	ds_read_b32 v132, v130
	v_cndmask_b32_e32 v131, v131, v62, vcc
	v_cmp_eq_u32_e32 vcc, 29, v0
	v_cndmask_b32_e32 v131, v131, v63, vcc
	v_cmp_eq_u32_e32 vcc, 30, v0
	;; [unrolled: 2-line block ×3, first 2 shown]
	v_cndmask_b32_e32 v131, v131, v65, vcc
	s_waitcnt lgkmcnt(0)
	v_mul_f32_e32 v131, v131, v132
	s_cbranch_execz .LBB31_181
	s_branch .LBB31_182
.LBB31_180:
                                        ; implicit-def: $vgpr131
.LBB31_181:
	ds_read_b32 v131, v130
.LBB31_182:
	s_and_saveexec_b64 s[6:7], s[2:3]
	s_cbranch_execz .LBB31_192
; %bb.183:
	v_subrev_u32_e32 v134, 20, v0
	v_mov_b32_e32 v132, 19
	v_subrev_u32_e32 v133, 19, v0
	v_cmp_lt_u32_e32 vcc, 6, v134
	s_and_saveexec_b64 s[2:3], vcc
	s_cbranch_execz .LBB31_187
; %bb.184:
	v_and_b32_e32 v132, -8, v133
	v_sub_u32_e32 v134, 0, v132
	s_mov_b64 s[8:9], 26
	s_movk_i32 s12, 0xcc
	s_mov_b64 s[10:11], 0
.LBB31_185:                             ; =>This Inner Loop Header: Depth=1
	s_add_i32 s13, s8, -7
	v_mov_b32_e32 v132, s12
	s_add_i32 s14, s8, -6
	s_set_gpr_idx_on s13, gpr_idx(SRC0)
	v_mov_b32_e32 v141, v34
	s_set_gpr_idx_off
	ds_read2_b32 v[135:136], v132 offset1:1
	s_add_i32 s15, s8, -5
	s_set_gpr_idx_on s14, gpr_idx(SRC0)
	v_mov_b32_e32 v142, v34
	s_set_gpr_idx_off
	s_add_i32 s16, s8, -4
	s_set_gpr_idx_on s15, gpr_idx(SRC0)
	v_mov_b32_e32 v143, v34
	s_set_gpr_idx_off
	ds_read2_b32 v[137:138], v132 offset0:2 offset1:3
	s_add_i32 s17, s8, -3
	s_set_gpr_idx_on s16, gpr_idx(SRC0)
	v_mov_b32_e32 v144, v34
	s_set_gpr_idx_off
	s_add_i32 s18, s8, -2
	s_set_gpr_idx_on s17, gpr_idx(SRC0)
	v_mov_b32_e32 v145, v34
	s_set_gpr_idx_off
	ds_read2_b32 v[139:140], v132 offset0:4 offset1:5
	s_add_i32 s19, s8, -1
	s_waitcnt lgkmcnt(2)
	v_fmac_f32_e32 v131, v141, v135
	s_set_gpr_idx_on s18, gpr_idx(SRC0)
	v_mov_b32_e32 v141, v34
	s_set_gpr_idx_off
	v_fmac_f32_e32 v131, v142, v136
	s_set_gpr_idx_on s19, gpr_idx(SRC0)
	v_mov_b32_e32 v142, v34
	s_set_gpr_idx_off
	ds_read2_b32 v[135:136], v132 offset0:6 offset1:7
	s_waitcnt lgkmcnt(2)
	v_fmac_f32_e32 v131, v143, v137
	s_set_gpr_idx_on s8, gpr_idx(SRC0)
	v_mov_b32_e32 v137, v34
	s_set_gpr_idx_off
	v_fmac_f32_e32 v131, v144, v138
	s_add_u32 s8, s8, 8
	s_waitcnt lgkmcnt(1)
	v_fmac_f32_e32 v131, v145, v139
	v_add_u32_e32 v132, s8, v134
	v_fmac_f32_e32 v131, v141, v140
	s_addc_u32 s9, s9, 0
	s_add_i32 s12, s12, 32
	s_add_i32 s13, s8, -7
	v_cmp_eq_u32_e32 vcc, 26, v132
	s_waitcnt lgkmcnt(0)
	v_fmac_f32_e32 v131, v142, v135
	v_mov_b32_e32 v132, s13
	s_or_b64 s[10:11], vcc, s[10:11]
	v_fmac_f32_e32 v131, v137, v136
	s_andn2_b64 exec, exec, s[10:11]
	s_cbranch_execnz .LBB31_185
; %bb.186:
	s_or_b64 exec, exec, s[10:11]
.LBB31_187:
	s_or_b64 exec, exec, s[2:3]
	v_and_b32_e32 v133, 7, v133
	v_cmp_ne_u32_e32 vcc, 0, v133
	s_and_saveexec_b64 s[8:9], vcc
	s_cbranch_execz .LBB31_191
; %bb.188:
	v_mov_b32_e32 v134, 0x80
	v_lshl_add_u32 v134, v132, 2, v134
	v_mov_b32_e32 v135, 0
	s_mov_b64 s[10:11], 0
.LBB31_189:                             ; =>This Inner Loop Header: Depth=1
	v_cmp_eq_u32_e32 vcc, 1, v132
	v_cndmask_b32_e32 v136, v34, v35, vcc
	v_add_u32_e32 v133, -1, v133
	v_cmp_eq_u32_e32 vcc, 2, v132
	v_cndmask_b32_e32 v136, v136, v36, vcc
	v_cmp_eq_u32_e32 vcc, 0, v133
	v_cmp_eq_u32_e64 s[2:3], 3, v132
	v_cndmask_b32_e64 v136, v136, v37, s[2:3]
	s_or_b64 s[10:11], vcc, s[10:11]
	v_cmp_eq_u32_e32 vcc, 4, v132
	v_cndmask_b32_e32 v136, v136, v38, vcc
	v_cmp_eq_u32_e32 vcc, 5, v132
	v_cndmask_b32_e32 v136, v136, v39, vcc
	;; [unrolled: 2-line block ×23, first 2 shown]
	v_cmp_eq_u32_e32 vcc, 27, v132
	ds_read_b32 v137, v134
	v_cndmask_b32_e32 v136, v136, v61, vcc
	v_cmp_eq_u32_e32 vcc, 28, v132
	v_cndmask_b32_e32 v136, v136, v62, vcc
	v_cmp_eq_u32_e32 vcc, 29, v132
	;; [unrolled: 2-line block ×4, first 2 shown]
	v_add_co_u32_e64 v132, s[2:3], 1, v132
	v_cndmask_b32_e32 v136, v136, v65, vcc
	v_add_u32_e32 v134, 4, v134
	v_addc_co_u32_e64 v135, s[2:3], 0, v135, s[2:3]
	s_waitcnt lgkmcnt(0)
	v_fmac_f32_e32 v131, v136, v137
	s_andn2_b64 exec, exec, s[10:11]
	s_cbranch_execnz .LBB31_189
; %bb.190:
	s_or_b64 exec, exec, s[10:11]
.LBB31_191:
	s_or_b64 exec, exec, s[8:9]
.LBB31_192:
	s_or_b64 exec, exec, s[6:7]
	v_mov_b32_e32 v52, 0
	ds_read_b32 v52, v52 offset:72
	s_waitcnt lgkmcnt(0)
	v_mul_f32_e32 v52, v131, v52
.LBB31_193:
	s_or_b64 exec, exec, s[4:5]
	v_cmp_lt_u32_e64 s[2:3], 17, v0
	ds_write_b32 v130, v51
	s_waitcnt lgkmcnt(0)
	; wave barrier
	s_and_saveexec_b64 s[4:5], s[2:3]
	s_cbranch_execz .LBB31_209
; %bb.194:
	s_andn2_b64 vcc, exec, s[66:67]
	s_cbranch_vccnz .LBB31_196
; %bb.195:
	v_cmp_eq_u32_e32 vcc, 1, v0
	v_cndmask_b32_e32 v131, v34, v35, vcc
	v_cmp_eq_u32_e32 vcc, 2, v0
	v_cndmask_b32_e32 v131, v131, v36, vcc
	;; [unrolled: 2-line block ×27, first 2 shown]
	v_cmp_eq_u32_e32 vcc, 28, v0
	ds_read_b32 v132, v130
	v_cndmask_b32_e32 v131, v131, v62, vcc
	v_cmp_eq_u32_e32 vcc, 29, v0
	v_cndmask_b32_e32 v131, v131, v63, vcc
	v_cmp_eq_u32_e32 vcc, 30, v0
	v_cndmask_b32_e32 v131, v131, v64, vcc
	v_cmp_eq_u32_e32 vcc, 31, v0
	v_cndmask_b32_e32 v131, v131, v65, vcc
	s_waitcnt lgkmcnt(0)
	v_mul_f32_e32 v131, v131, v132
	s_cbranch_execz .LBB31_197
	s_branch .LBB31_198
.LBB31_196:
                                        ; implicit-def: $vgpr131
.LBB31_197:
	ds_read_b32 v131, v130
.LBB31_198:
	s_and_saveexec_b64 s[6:7], s[0:1]
	s_cbranch_execz .LBB31_208
; %bb.199:
	v_subrev_u32_e32 v134, 19, v0
	v_mov_b32_e32 v132, 18
	v_subrev_u32_e32 v133, 18, v0
	v_cmp_lt_u32_e32 vcc, 6, v134
	s_and_saveexec_b64 s[0:1], vcc
	s_cbranch_execz .LBB31_203
; %bb.200:
	v_and_b32_e32 v132, -8, v133
	v_sub_u32_e32 v134, 0, v132
	s_mov_b64 s[8:9], 25
	s_movk_i32 s12, 0xc8
	s_mov_b64 s[10:11], 0
.LBB31_201:                             ; =>This Inner Loop Header: Depth=1
	s_add_i32 s13, s8, -7
	v_mov_b32_e32 v132, s12
	s_add_i32 s14, s8, -6
	s_set_gpr_idx_on s13, gpr_idx(SRC0)
	v_mov_b32_e32 v143, v34
	s_set_gpr_idx_off
	ds_read2_b64 v[135:138], v132 offset1:1
	s_add_i32 s15, s8, -5
	s_set_gpr_idx_on s14, gpr_idx(SRC0)
	v_mov_b32_e32 v144, v34
	s_set_gpr_idx_off
	s_add_i32 s16, s8, -4
	s_set_gpr_idx_on s15, gpr_idx(SRC0)
	v_mov_b32_e32 v145, v34
	s_set_gpr_idx_off
	;; [unrolled: 4-line block ×4, first 2 shown]
	ds_read2_b64 v[139:142], v132 offset0:2 offset1:3
	s_add_i32 s19, s8, -1
	s_waitcnt lgkmcnt(1)
	v_fmac_f32_e32 v131, v143, v135
	s_set_gpr_idx_on s18, gpr_idx(SRC0)
	v_mov_b32_e32 v135, v34
	s_set_gpr_idx_off
	v_fmac_f32_e32 v131, v144, v136
	s_set_gpr_idx_on s19, gpr_idx(SRC0)
	v_mov_b32_e32 v136, v34
	s_set_gpr_idx_off
	;; [unrolled: 4-line block ×3, first 2 shown]
	v_fmac_f32_e32 v131, v146, v138
	s_add_u32 s8, s8, 8
	s_waitcnt lgkmcnt(0)
	v_fmac_f32_e32 v131, v147, v139
	v_add_u32_e32 v132, s8, v134
	v_fmac_f32_e32 v131, v135, v140
	s_addc_u32 s9, s9, 0
	s_add_i32 s12, s12, 32
	s_add_i32 s13, s8, -7
	v_cmp_eq_u32_e32 vcc, 25, v132
	v_fmac_f32_e32 v131, v136, v141
	v_mov_b32_e32 v132, s13
	s_or_b64 s[10:11], vcc, s[10:11]
	v_fmac_f32_e32 v131, v137, v142
	s_andn2_b64 exec, exec, s[10:11]
	s_cbranch_execnz .LBB31_201
; %bb.202:
	s_or_b64 exec, exec, s[10:11]
.LBB31_203:
	s_or_b64 exec, exec, s[0:1]
	v_and_b32_e32 v133, 7, v133
	v_cmp_ne_u32_e32 vcc, 0, v133
	s_and_saveexec_b64 s[8:9], vcc
	s_cbranch_execz .LBB31_207
; %bb.204:
	v_mov_b32_e32 v134, 0x80
	v_lshl_add_u32 v134, v132, 2, v134
	v_mov_b32_e32 v135, 0
	s_mov_b64 s[10:11], 0
.LBB31_205:                             ; =>This Inner Loop Header: Depth=1
	v_cmp_eq_u32_e32 vcc, 1, v132
	v_cndmask_b32_e32 v136, v34, v35, vcc
	v_add_u32_e32 v133, -1, v133
	v_cmp_eq_u32_e32 vcc, 2, v132
	v_cndmask_b32_e32 v136, v136, v36, vcc
	v_cmp_eq_u32_e32 vcc, 0, v133
	v_cmp_eq_u32_e64 s[0:1], 3, v132
	v_cndmask_b32_e64 v136, v136, v37, s[0:1]
	s_or_b64 s[10:11], vcc, s[10:11]
	v_cmp_eq_u32_e32 vcc, 4, v132
	v_cndmask_b32_e32 v136, v136, v38, vcc
	v_cmp_eq_u32_e32 vcc, 5, v132
	v_cndmask_b32_e32 v136, v136, v39, vcc
	;; [unrolled: 2-line block ×23, first 2 shown]
	v_cmp_eq_u32_e32 vcc, 27, v132
	ds_read_b32 v137, v134
	v_cndmask_b32_e32 v136, v136, v61, vcc
	v_cmp_eq_u32_e32 vcc, 28, v132
	v_cndmask_b32_e32 v136, v136, v62, vcc
	v_cmp_eq_u32_e32 vcc, 29, v132
	;; [unrolled: 2-line block ×4, first 2 shown]
	v_add_co_u32_e64 v132, s[0:1], 1, v132
	v_cndmask_b32_e32 v136, v136, v65, vcc
	v_add_u32_e32 v134, 4, v134
	v_addc_co_u32_e64 v135, s[0:1], 0, v135, s[0:1]
	s_waitcnt lgkmcnt(0)
	v_fmac_f32_e32 v131, v136, v137
	s_andn2_b64 exec, exec, s[10:11]
	s_cbranch_execnz .LBB31_205
; %bb.206:
	s_or_b64 exec, exec, s[10:11]
.LBB31_207:
	s_or_b64 exec, exec, s[8:9]
.LBB31_208:
	s_or_b64 exec, exec, s[6:7]
	v_mov_b32_e32 v51, 0
	ds_read_b32 v51, v51 offset:68
	s_waitcnt lgkmcnt(0)
	v_mul_f32_e32 v51, v131, v51
.LBB31_209:
	s_or_b64 exec, exec, s[4:5]
	v_cmp_lt_u32_e64 s[0:1], 16, v0
	ds_write_b32 v130, v50
	s_waitcnt lgkmcnt(0)
	; wave barrier
	s_and_saveexec_b64 s[4:5], s[0:1]
	s_cbranch_execz .LBB31_225
; %bb.210:
	s_andn2_b64 vcc, exec, s[66:67]
	s_cbranch_vccnz .LBB31_212
; %bb.211:
	v_cmp_eq_u32_e32 vcc, 1, v0
	v_cndmask_b32_e32 v131, v34, v35, vcc
	v_cmp_eq_u32_e32 vcc, 2, v0
	v_cndmask_b32_e32 v131, v131, v36, vcc
	;; [unrolled: 2-line block ×27, first 2 shown]
	v_cmp_eq_u32_e32 vcc, 28, v0
	ds_read_b32 v132, v130
	v_cndmask_b32_e32 v131, v131, v62, vcc
	v_cmp_eq_u32_e32 vcc, 29, v0
	v_cndmask_b32_e32 v131, v131, v63, vcc
	v_cmp_eq_u32_e32 vcc, 30, v0
	;; [unrolled: 2-line block ×3, first 2 shown]
	v_cndmask_b32_e32 v131, v131, v65, vcc
	s_waitcnt lgkmcnt(0)
	v_mul_f32_e32 v131, v131, v132
	s_cbranch_execz .LBB31_213
	s_branch .LBB31_214
.LBB31_212:
                                        ; implicit-def: $vgpr131
.LBB31_213:
	ds_read_b32 v131, v130
.LBB31_214:
	s_and_saveexec_b64 s[6:7], s[2:3]
	s_cbranch_execz .LBB31_224
; %bb.215:
	v_subrev_u32_e32 v134, 18, v0
	v_mov_b32_e32 v132, 17
	v_subrev_u32_e32 v133, 17, v0
	v_cmp_lt_u32_e32 vcc, 6, v134
	s_and_saveexec_b64 s[2:3], vcc
	s_cbranch_execz .LBB31_219
; %bb.216:
	v_and_b32_e32 v132, -8, v133
	v_sub_u32_e32 v134, 0, v132
	s_mov_b64 s[8:9], 24
	s_movk_i32 s12, 0xc4
	s_mov_b64 s[10:11], 0
.LBB31_217:                             ; =>This Inner Loop Header: Depth=1
	s_add_i32 s13, s8, -7
	v_mov_b32_e32 v132, s12
	s_add_i32 s14, s8, -6
	s_set_gpr_idx_on s13, gpr_idx(SRC0)
	v_mov_b32_e32 v141, v34
	s_set_gpr_idx_off
	ds_read2_b32 v[135:136], v132 offset1:1
	s_add_i32 s15, s8, -5
	s_set_gpr_idx_on s14, gpr_idx(SRC0)
	v_mov_b32_e32 v142, v34
	s_set_gpr_idx_off
	s_add_i32 s16, s8, -4
	s_set_gpr_idx_on s15, gpr_idx(SRC0)
	v_mov_b32_e32 v143, v34
	s_set_gpr_idx_off
	ds_read2_b32 v[137:138], v132 offset0:2 offset1:3
	s_add_i32 s17, s8, -3
	s_set_gpr_idx_on s16, gpr_idx(SRC0)
	v_mov_b32_e32 v144, v34
	s_set_gpr_idx_off
	s_add_i32 s18, s8, -2
	s_set_gpr_idx_on s17, gpr_idx(SRC0)
	v_mov_b32_e32 v145, v34
	s_set_gpr_idx_off
	ds_read2_b32 v[139:140], v132 offset0:4 offset1:5
	s_add_i32 s19, s8, -1
	s_waitcnt lgkmcnt(2)
	v_fmac_f32_e32 v131, v141, v135
	s_set_gpr_idx_on s18, gpr_idx(SRC0)
	v_mov_b32_e32 v141, v34
	s_set_gpr_idx_off
	v_fmac_f32_e32 v131, v142, v136
	s_set_gpr_idx_on s19, gpr_idx(SRC0)
	v_mov_b32_e32 v142, v34
	s_set_gpr_idx_off
	ds_read2_b32 v[135:136], v132 offset0:6 offset1:7
	s_waitcnt lgkmcnt(2)
	v_fmac_f32_e32 v131, v143, v137
	s_set_gpr_idx_on s8, gpr_idx(SRC0)
	v_mov_b32_e32 v137, v34
	s_set_gpr_idx_off
	v_fmac_f32_e32 v131, v144, v138
	s_add_u32 s8, s8, 8
	s_waitcnt lgkmcnt(1)
	v_fmac_f32_e32 v131, v145, v139
	v_add_u32_e32 v132, s8, v134
	v_fmac_f32_e32 v131, v141, v140
	s_addc_u32 s9, s9, 0
	s_add_i32 s12, s12, 32
	s_add_i32 s13, s8, -7
	v_cmp_eq_u32_e32 vcc, 24, v132
	s_waitcnt lgkmcnt(0)
	v_fmac_f32_e32 v131, v142, v135
	v_mov_b32_e32 v132, s13
	s_or_b64 s[10:11], vcc, s[10:11]
	v_fmac_f32_e32 v131, v137, v136
	s_andn2_b64 exec, exec, s[10:11]
	s_cbranch_execnz .LBB31_217
; %bb.218:
	s_or_b64 exec, exec, s[10:11]
.LBB31_219:
	s_or_b64 exec, exec, s[2:3]
	v_and_b32_e32 v133, 7, v133
	v_cmp_ne_u32_e32 vcc, 0, v133
	s_and_saveexec_b64 s[8:9], vcc
	s_cbranch_execz .LBB31_223
; %bb.220:
	v_mov_b32_e32 v134, 0x80
	v_lshl_add_u32 v134, v132, 2, v134
	v_mov_b32_e32 v135, 0
	s_mov_b64 s[10:11], 0
.LBB31_221:                             ; =>This Inner Loop Header: Depth=1
	v_cmp_eq_u32_e32 vcc, 1, v132
	v_cndmask_b32_e32 v136, v34, v35, vcc
	v_add_u32_e32 v133, -1, v133
	v_cmp_eq_u32_e32 vcc, 2, v132
	v_cndmask_b32_e32 v136, v136, v36, vcc
	v_cmp_eq_u32_e32 vcc, 0, v133
	v_cmp_eq_u32_e64 s[2:3], 3, v132
	v_cndmask_b32_e64 v136, v136, v37, s[2:3]
	s_or_b64 s[10:11], vcc, s[10:11]
	v_cmp_eq_u32_e32 vcc, 4, v132
	v_cndmask_b32_e32 v136, v136, v38, vcc
	v_cmp_eq_u32_e32 vcc, 5, v132
	v_cndmask_b32_e32 v136, v136, v39, vcc
	;; [unrolled: 2-line block ×23, first 2 shown]
	v_cmp_eq_u32_e32 vcc, 27, v132
	ds_read_b32 v137, v134
	v_cndmask_b32_e32 v136, v136, v61, vcc
	v_cmp_eq_u32_e32 vcc, 28, v132
	v_cndmask_b32_e32 v136, v136, v62, vcc
	v_cmp_eq_u32_e32 vcc, 29, v132
	;; [unrolled: 2-line block ×4, first 2 shown]
	v_add_co_u32_e64 v132, s[2:3], 1, v132
	v_cndmask_b32_e32 v136, v136, v65, vcc
	v_add_u32_e32 v134, 4, v134
	v_addc_co_u32_e64 v135, s[2:3], 0, v135, s[2:3]
	s_waitcnt lgkmcnt(0)
	v_fmac_f32_e32 v131, v136, v137
	s_andn2_b64 exec, exec, s[10:11]
	s_cbranch_execnz .LBB31_221
; %bb.222:
	s_or_b64 exec, exec, s[10:11]
.LBB31_223:
	s_or_b64 exec, exec, s[8:9]
.LBB31_224:
	s_or_b64 exec, exec, s[6:7]
	v_mov_b32_e32 v50, 0
	ds_read_b32 v50, v50 offset:64
	s_waitcnt lgkmcnt(0)
	v_mul_f32_e32 v50, v131, v50
.LBB31_225:
	s_or_b64 exec, exec, s[4:5]
	v_cmp_lt_u32_e64 s[2:3], 15, v0
	ds_write_b32 v130, v49
	s_waitcnt lgkmcnt(0)
	; wave barrier
	s_and_saveexec_b64 s[4:5], s[2:3]
	s_cbranch_execz .LBB31_241
; %bb.226:
	s_andn2_b64 vcc, exec, s[66:67]
	s_cbranch_vccnz .LBB31_228
; %bb.227:
	v_cmp_eq_u32_e32 vcc, 1, v0
	v_cndmask_b32_e32 v131, v34, v35, vcc
	v_cmp_eq_u32_e32 vcc, 2, v0
	v_cndmask_b32_e32 v131, v131, v36, vcc
	;; [unrolled: 2-line block ×27, first 2 shown]
	v_cmp_eq_u32_e32 vcc, 28, v0
	ds_read_b32 v132, v130
	v_cndmask_b32_e32 v131, v131, v62, vcc
	v_cmp_eq_u32_e32 vcc, 29, v0
	v_cndmask_b32_e32 v131, v131, v63, vcc
	v_cmp_eq_u32_e32 vcc, 30, v0
	;; [unrolled: 2-line block ×3, first 2 shown]
	v_cndmask_b32_e32 v131, v131, v65, vcc
	s_waitcnt lgkmcnt(0)
	v_mul_f32_e32 v131, v131, v132
	s_cbranch_execz .LBB31_229
	s_branch .LBB31_230
.LBB31_228:
                                        ; implicit-def: $vgpr131
.LBB31_229:
	ds_read_b32 v131, v130
.LBB31_230:
	s_and_saveexec_b64 s[6:7], s[0:1]
	s_cbranch_execz .LBB31_240
; %bb.231:
	v_subrev_u32_e32 v132, 17, v0
	v_cmp_lt_u32_e32 vcc, 6, v132
	v_mov_b32_e32 v132, 16
	s_and_saveexec_b64 s[0:1], vcc
	s_cbranch_execz .LBB31_235
; %bb.232:
	v_and_b32_e32 v132, 24, v0
	v_sub_u32_e32 v133, 0, v132
	s_mov_b64 s[8:9], 23
	s_movk_i32 s12, 0xc0
	s_mov_b64 s[10:11], 0
.LBB31_233:                             ; =>This Inner Loop Header: Depth=1
	s_add_i32 s13, s8, -7
	v_mov_b32_e32 v132, s12
	s_add_i32 s14, s8, -6
	s_set_gpr_idx_on s13, gpr_idx(SRC0)
	v_mov_b32_e32 v142, v34
	s_set_gpr_idx_off
	s_add_i32 s15, s8, -5
	ds_read_b128 v[134:137], v132
	ds_read_b128 v[138:141], v132 offset:16
	s_set_gpr_idx_on s14, gpr_idx(SRC0)
	v_mov_b32_e32 v132, v34
	s_set_gpr_idx_off
	s_add_i32 s16, s8, -4
	s_set_gpr_idx_on s15, gpr_idx(SRC0)
	v_mov_b32_e32 v143, v34
	s_set_gpr_idx_off
	s_add_i32 s17, s8, -3
	;; [unrolled: 4-line block ×4, first 2 shown]
	s_waitcnt lgkmcnt(1)
	v_fmac_f32_e32 v131, v142, v134
	s_set_gpr_idx_on s18, gpr_idx(SRC0)
	v_mov_b32_e32 v134, v34
	s_set_gpr_idx_off
	v_fmac_f32_e32 v131, v132, v135
	s_set_gpr_idx_on s19, gpr_idx(SRC0)
	v_mov_b32_e32 v135, v34
	s_set_gpr_idx_off
	;; [unrolled: 4-line block ×3, first 2 shown]
	v_fmac_f32_e32 v131, v144, v137
	s_add_u32 s8, s8, 8
	s_waitcnt lgkmcnt(0)
	v_fmac_f32_e32 v131, v145, v138
	v_add_u32_e32 v132, s8, v133
	v_fmac_f32_e32 v131, v134, v139
	s_addc_u32 s9, s9, 0
	s_add_i32 s12, s12, 32
	s_add_i32 s13, s8, -7
	v_cmp_eq_u32_e32 vcc, 7, v132
	v_fmac_f32_e32 v131, v135, v140
	v_mov_b32_e32 v132, s13
	s_or_b64 s[10:11], vcc, s[10:11]
	v_fmac_f32_e32 v131, v136, v141
	s_andn2_b64 exec, exec, s[10:11]
	s_cbranch_execnz .LBB31_233
; %bb.234:
	s_or_b64 exec, exec, s[10:11]
.LBB31_235:
	s_or_b64 exec, exec, s[0:1]
	v_and_b32_e32 v133, 7, v0
	v_cmp_ne_u32_e32 vcc, 0, v133
	s_and_saveexec_b64 s[8:9], vcc
	s_cbranch_execz .LBB31_239
; %bb.236:
	v_mov_b32_e32 v134, 0x80
	v_lshl_add_u32 v134, v132, 2, v134
	v_mov_b32_e32 v135, 0
	s_mov_b64 s[10:11], 0
.LBB31_237:                             ; =>This Inner Loop Header: Depth=1
	v_cmp_eq_u32_e32 vcc, 1, v132
	v_cndmask_b32_e32 v136, v34, v35, vcc
	v_add_u32_e32 v133, -1, v133
	v_cmp_eq_u32_e32 vcc, 2, v132
	v_cndmask_b32_e32 v136, v136, v36, vcc
	v_cmp_eq_u32_e32 vcc, 0, v133
	v_cmp_eq_u32_e64 s[0:1], 3, v132
	v_cndmask_b32_e64 v136, v136, v37, s[0:1]
	s_or_b64 s[10:11], vcc, s[10:11]
	v_cmp_eq_u32_e32 vcc, 4, v132
	v_cndmask_b32_e32 v136, v136, v38, vcc
	v_cmp_eq_u32_e32 vcc, 5, v132
	v_cndmask_b32_e32 v136, v136, v39, vcc
	;; [unrolled: 2-line block ×23, first 2 shown]
	v_cmp_eq_u32_e32 vcc, 27, v132
	ds_read_b32 v137, v134
	v_cndmask_b32_e32 v136, v136, v61, vcc
	v_cmp_eq_u32_e32 vcc, 28, v132
	v_cndmask_b32_e32 v136, v136, v62, vcc
	v_cmp_eq_u32_e32 vcc, 29, v132
	;; [unrolled: 2-line block ×4, first 2 shown]
	v_add_co_u32_e64 v132, s[0:1], 1, v132
	v_cndmask_b32_e32 v136, v136, v65, vcc
	v_add_u32_e32 v134, 4, v134
	v_addc_co_u32_e64 v135, s[0:1], 0, v135, s[0:1]
	s_waitcnt lgkmcnt(0)
	v_fmac_f32_e32 v131, v136, v137
	s_andn2_b64 exec, exec, s[10:11]
	s_cbranch_execnz .LBB31_237
; %bb.238:
	s_or_b64 exec, exec, s[10:11]
.LBB31_239:
	s_or_b64 exec, exec, s[8:9]
.LBB31_240:
	s_or_b64 exec, exec, s[6:7]
	v_mov_b32_e32 v49, 0
	ds_read_b32 v49, v49 offset:60
	s_waitcnt lgkmcnt(0)
	v_mul_f32_e32 v49, v131, v49
.LBB31_241:
	s_or_b64 exec, exec, s[4:5]
	v_cmp_lt_u32_e64 s[0:1], 14, v0
	ds_write_b32 v130, v48
	s_waitcnt lgkmcnt(0)
	; wave barrier
	s_and_saveexec_b64 s[4:5], s[0:1]
	s_cbranch_execz .LBB31_257
; %bb.242:
	s_andn2_b64 vcc, exec, s[66:67]
	s_cbranch_vccnz .LBB31_244
; %bb.243:
	v_cmp_eq_u32_e32 vcc, 1, v0
	v_cndmask_b32_e32 v131, v34, v35, vcc
	v_cmp_eq_u32_e32 vcc, 2, v0
	v_cndmask_b32_e32 v131, v131, v36, vcc
	;; [unrolled: 2-line block ×27, first 2 shown]
	v_cmp_eq_u32_e32 vcc, 28, v0
	ds_read_b32 v132, v130
	v_cndmask_b32_e32 v131, v131, v62, vcc
	v_cmp_eq_u32_e32 vcc, 29, v0
	v_cndmask_b32_e32 v131, v131, v63, vcc
	v_cmp_eq_u32_e32 vcc, 30, v0
	;; [unrolled: 2-line block ×3, first 2 shown]
	v_cndmask_b32_e32 v131, v131, v65, vcc
	s_waitcnt lgkmcnt(0)
	v_mul_f32_e32 v131, v131, v132
	s_cbranch_execz .LBB31_245
	s_branch .LBB31_246
.LBB31_244:
                                        ; implicit-def: $vgpr131
.LBB31_245:
	ds_read_b32 v131, v130
.LBB31_246:
	s_and_saveexec_b64 s[6:7], s[2:3]
	s_cbranch_execz .LBB31_256
; %bb.247:
	v_add_u32_e32 v132, -16, v0
	v_add_u32_e32 v133, -15, v0
	v_cmp_lt_u32_e32 vcc, 6, v132
	v_mov_b32_e32 v132, 15
	s_and_saveexec_b64 s[2:3], vcc
	s_cbranch_execz .LBB31_251
; %bb.248:
	v_and_b32_e32 v132, -8, v133
	v_sub_u32_e32 v134, 0, v132
	s_mov_b64 s[8:9], 22
	s_movk_i32 s12, 0xbc
	s_mov_b64 s[10:11], 0
.LBB31_249:                             ; =>This Inner Loop Header: Depth=1
	s_add_i32 s13, s8, -7
	v_mov_b32_e32 v132, s12
	s_add_i32 s14, s8, -6
	s_set_gpr_idx_on s13, gpr_idx(SRC0)
	v_mov_b32_e32 v141, v34
	s_set_gpr_idx_off
	ds_read2_b32 v[135:136], v132 offset1:1
	s_add_i32 s15, s8, -5
	s_set_gpr_idx_on s14, gpr_idx(SRC0)
	v_mov_b32_e32 v142, v34
	s_set_gpr_idx_off
	s_add_i32 s16, s8, -4
	s_set_gpr_idx_on s15, gpr_idx(SRC0)
	v_mov_b32_e32 v143, v34
	s_set_gpr_idx_off
	ds_read2_b32 v[137:138], v132 offset0:2 offset1:3
	s_add_i32 s17, s8, -3
	s_set_gpr_idx_on s16, gpr_idx(SRC0)
	v_mov_b32_e32 v144, v34
	s_set_gpr_idx_off
	s_add_i32 s18, s8, -2
	s_set_gpr_idx_on s17, gpr_idx(SRC0)
	v_mov_b32_e32 v145, v34
	s_set_gpr_idx_off
	ds_read2_b32 v[139:140], v132 offset0:4 offset1:5
	s_add_i32 s19, s8, -1
	s_waitcnt lgkmcnt(2)
	v_fmac_f32_e32 v131, v141, v135
	s_set_gpr_idx_on s18, gpr_idx(SRC0)
	v_mov_b32_e32 v141, v34
	s_set_gpr_idx_off
	v_fmac_f32_e32 v131, v142, v136
	s_set_gpr_idx_on s19, gpr_idx(SRC0)
	v_mov_b32_e32 v142, v34
	s_set_gpr_idx_off
	ds_read2_b32 v[135:136], v132 offset0:6 offset1:7
	s_waitcnt lgkmcnt(2)
	v_fmac_f32_e32 v131, v143, v137
	s_set_gpr_idx_on s8, gpr_idx(SRC0)
	v_mov_b32_e32 v137, v34
	s_set_gpr_idx_off
	v_fmac_f32_e32 v131, v144, v138
	s_add_u32 s8, s8, 8
	s_waitcnt lgkmcnt(1)
	v_fmac_f32_e32 v131, v145, v139
	v_add_u32_e32 v132, s8, v134
	v_fmac_f32_e32 v131, v141, v140
	s_addc_u32 s9, s9, 0
	s_add_i32 s12, s12, 32
	s_add_i32 s13, s8, -7
	v_cmp_eq_u32_e32 vcc, 22, v132
	s_waitcnt lgkmcnt(0)
	v_fmac_f32_e32 v131, v142, v135
	v_mov_b32_e32 v132, s13
	s_or_b64 s[10:11], vcc, s[10:11]
	v_fmac_f32_e32 v131, v137, v136
	s_andn2_b64 exec, exec, s[10:11]
	s_cbranch_execnz .LBB31_249
; %bb.250:
	s_or_b64 exec, exec, s[10:11]
.LBB31_251:
	s_or_b64 exec, exec, s[2:3]
	v_and_b32_e32 v133, 7, v133
	v_cmp_ne_u32_e32 vcc, 0, v133
	s_and_saveexec_b64 s[8:9], vcc
	s_cbranch_execz .LBB31_255
; %bb.252:
	v_mov_b32_e32 v134, 0x80
	v_lshl_add_u32 v134, v132, 2, v134
	v_mov_b32_e32 v135, 0
	s_mov_b64 s[10:11], 0
.LBB31_253:                             ; =>This Inner Loop Header: Depth=1
	v_cmp_eq_u32_e32 vcc, 1, v132
	v_cndmask_b32_e32 v136, v34, v35, vcc
	v_add_u32_e32 v133, -1, v133
	v_cmp_eq_u32_e32 vcc, 2, v132
	v_cndmask_b32_e32 v136, v136, v36, vcc
	v_cmp_eq_u32_e32 vcc, 0, v133
	v_cmp_eq_u32_e64 s[2:3], 3, v132
	v_cndmask_b32_e64 v136, v136, v37, s[2:3]
	s_or_b64 s[10:11], vcc, s[10:11]
	v_cmp_eq_u32_e32 vcc, 4, v132
	v_cndmask_b32_e32 v136, v136, v38, vcc
	v_cmp_eq_u32_e32 vcc, 5, v132
	v_cndmask_b32_e32 v136, v136, v39, vcc
	;; [unrolled: 2-line block ×23, first 2 shown]
	v_cmp_eq_u32_e32 vcc, 27, v132
	ds_read_b32 v137, v134
	v_cndmask_b32_e32 v136, v136, v61, vcc
	v_cmp_eq_u32_e32 vcc, 28, v132
	v_cndmask_b32_e32 v136, v136, v62, vcc
	v_cmp_eq_u32_e32 vcc, 29, v132
	;; [unrolled: 2-line block ×4, first 2 shown]
	v_add_co_u32_e64 v132, s[2:3], 1, v132
	v_cndmask_b32_e32 v136, v136, v65, vcc
	v_add_u32_e32 v134, 4, v134
	v_addc_co_u32_e64 v135, s[2:3], 0, v135, s[2:3]
	s_waitcnt lgkmcnt(0)
	v_fmac_f32_e32 v131, v136, v137
	s_andn2_b64 exec, exec, s[10:11]
	s_cbranch_execnz .LBB31_253
; %bb.254:
	s_or_b64 exec, exec, s[10:11]
.LBB31_255:
	s_or_b64 exec, exec, s[8:9]
.LBB31_256:
	s_or_b64 exec, exec, s[6:7]
	v_mov_b32_e32 v48, 0
	ds_read_b32 v48, v48 offset:56
	s_waitcnt lgkmcnt(0)
	v_mul_f32_e32 v48, v131, v48
.LBB31_257:
	s_or_b64 exec, exec, s[4:5]
	v_cmp_lt_u32_e64 s[2:3], 13, v0
	ds_write_b32 v130, v47
	s_waitcnt lgkmcnt(0)
	; wave barrier
	s_and_saveexec_b64 s[4:5], s[2:3]
	s_cbranch_execz .LBB31_273
; %bb.258:
	s_andn2_b64 vcc, exec, s[66:67]
	s_cbranch_vccnz .LBB31_260
; %bb.259:
	v_cmp_eq_u32_e32 vcc, 1, v0
	v_cndmask_b32_e32 v131, v34, v35, vcc
	v_cmp_eq_u32_e32 vcc, 2, v0
	v_cndmask_b32_e32 v131, v131, v36, vcc
	v_cmp_eq_u32_e32 vcc, 3, v0
	v_cndmask_b32_e32 v131, v131, v37, vcc
	v_cmp_eq_u32_e32 vcc, 4, v0
	v_cndmask_b32_e32 v131, v131, v38, vcc
	v_cmp_eq_u32_e32 vcc, 5, v0
	v_cndmask_b32_e32 v131, v131, v39, vcc
	v_cmp_eq_u32_e32 vcc, 6, v0
	v_cndmask_b32_e32 v131, v131, v40, vcc
	v_cmp_eq_u32_e32 vcc, 7, v0
	v_cndmask_b32_e32 v131, v131, v41, vcc
	v_cmp_eq_u32_e32 vcc, 8, v0
	v_cndmask_b32_e32 v131, v131, v42, vcc
	v_cmp_eq_u32_e32 vcc, 9, v0
	v_cndmask_b32_e32 v131, v131, v43, vcc
	v_cmp_eq_u32_e32 vcc, 10, v0
	v_cndmask_b32_e32 v131, v131, v44, vcc
	v_cmp_eq_u32_e32 vcc, 11, v0
	v_cndmask_b32_e32 v131, v131, v45, vcc
	v_cmp_eq_u32_e32 vcc, 12, v0
	v_cndmask_b32_e32 v131, v131, v46, vcc
	v_cmp_eq_u32_e32 vcc, 13, v0
	v_cndmask_b32_e32 v131, v131, v47, vcc
	v_cmp_eq_u32_e32 vcc, 14, v0
	v_cndmask_b32_e32 v131, v131, v48, vcc
	v_cmp_eq_u32_e32 vcc, 15, v0
	v_cndmask_b32_e32 v131, v131, v49, vcc
	v_cmp_eq_u32_e32 vcc, 16, v0
	v_cndmask_b32_e32 v131, v131, v50, vcc
	v_cmp_eq_u32_e32 vcc, 17, v0
	v_cndmask_b32_e32 v131, v131, v51, vcc
	v_cmp_eq_u32_e32 vcc, 18, v0
	v_cndmask_b32_e32 v131, v131, v52, vcc
	v_cmp_eq_u32_e32 vcc, 19, v0
	v_cndmask_b32_e32 v131, v131, v53, vcc
	v_cmp_eq_u32_e32 vcc, 20, v0
	v_cndmask_b32_e32 v131, v131, v54, vcc
	v_cmp_eq_u32_e32 vcc, 21, v0
	v_cndmask_b32_e32 v131, v131, v55, vcc
	v_cmp_eq_u32_e32 vcc, 22, v0
	v_cndmask_b32_e32 v131, v131, v56, vcc
	v_cmp_eq_u32_e32 vcc, 23, v0
	v_cndmask_b32_e32 v131, v131, v57, vcc
	v_cmp_eq_u32_e32 vcc, 24, v0
	v_cndmask_b32_e32 v131, v131, v58, vcc
	v_cmp_eq_u32_e32 vcc, 25, v0
	v_cndmask_b32_e32 v131, v131, v59, vcc
	v_cmp_eq_u32_e32 vcc, 26, v0
	v_cndmask_b32_e32 v131, v131, v60, vcc
	v_cmp_eq_u32_e32 vcc, 27, v0
	v_cndmask_b32_e32 v131, v131, v61, vcc
	v_cmp_eq_u32_e32 vcc, 28, v0
	ds_read_b32 v132, v130
	v_cndmask_b32_e32 v131, v131, v62, vcc
	v_cmp_eq_u32_e32 vcc, 29, v0
	v_cndmask_b32_e32 v131, v131, v63, vcc
	v_cmp_eq_u32_e32 vcc, 30, v0
	;; [unrolled: 2-line block ×3, first 2 shown]
	v_cndmask_b32_e32 v131, v131, v65, vcc
	s_waitcnt lgkmcnt(0)
	v_mul_f32_e32 v131, v131, v132
	s_cbranch_execz .LBB31_261
	s_branch .LBB31_262
.LBB31_260:
                                        ; implicit-def: $vgpr131
.LBB31_261:
	ds_read_b32 v131, v130
.LBB31_262:
	s_and_saveexec_b64 s[6:7], s[0:1]
	s_cbranch_execz .LBB31_272
; %bb.263:
	v_add_u32_e32 v132, -15, v0
	v_add_u32_e32 v133, -14, v0
	v_cmp_lt_u32_e32 vcc, 6, v132
	v_mov_b32_e32 v132, 14
	s_and_saveexec_b64 s[0:1], vcc
	s_cbranch_execz .LBB31_267
; %bb.264:
	v_and_b32_e32 v132, -8, v133
	v_sub_u32_e32 v134, 0, v132
	s_mov_b64 s[8:9], 21
	s_movk_i32 s12, 0xb8
	s_mov_b64 s[10:11], 0
.LBB31_265:                             ; =>This Inner Loop Header: Depth=1
	s_add_i32 s13, s8, -7
	v_mov_b32_e32 v132, s12
	s_add_i32 s14, s8, -6
	s_set_gpr_idx_on s13, gpr_idx(SRC0)
	v_mov_b32_e32 v143, v34
	s_set_gpr_idx_off
	ds_read2_b64 v[135:138], v132 offset1:1
	s_add_i32 s15, s8, -5
	s_set_gpr_idx_on s14, gpr_idx(SRC0)
	v_mov_b32_e32 v144, v34
	s_set_gpr_idx_off
	s_add_i32 s16, s8, -4
	s_set_gpr_idx_on s15, gpr_idx(SRC0)
	v_mov_b32_e32 v145, v34
	s_set_gpr_idx_off
	;; [unrolled: 4-line block ×4, first 2 shown]
	ds_read2_b64 v[139:142], v132 offset0:2 offset1:3
	s_add_i32 s19, s8, -1
	s_waitcnt lgkmcnt(1)
	v_fmac_f32_e32 v131, v143, v135
	s_set_gpr_idx_on s18, gpr_idx(SRC0)
	v_mov_b32_e32 v135, v34
	s_set_gpr_idx_off
	v_fmac_f32_e32 v131, v144, v136
	s_set_gpr_idx_on s19, gpr_idx(SRC0)
	v_mov_b32_e32 v136, v34
	s_set_gpr_idx_off
	;; [unrolled: 4-line block ×3, first 2 shown]
	v_fmac_f32_e32 v131, v146, v138
	s_add_u32 s8, s8, 8
	s_waitcnt lgkmcnt(0)
	v_fmac_f32_e32 v131, v147, v139
	v_add_u32_e32 v132, s8, v134
	v_fmac_f32_e32 v131, v135, v140
	s_addc_u32 s9, s9, 0
	s_add_i32 s12, s12, 32
	s_add_i32 s13, s8, -7
	v_cmp_eq_u32_e32 vcc, 21, v132
	v_fmac_f32_e32 v131, v136, v141
	v_mov_b32_e32 v132, s13
	s_or_b64 s[10:11], vcc, s[10:11]
	v_fmac_f32_e32 v131, v137, v142
	s_andn2_b64 exec, exec, s[10:11]
	s_cbranch_execnz .LBB31_265
; %bb.266:
	s_or_b64 exec, exec, s[10:11]
.LBB31_267:
	s_or_b64 exec, exec, s[0:1]
	v_and_b32_e32 v133, 7, v133
	v_cmp_ne_u32_e32 vcc, 0, v133
	s_and_saveexec_b64 s[8:9], vcc
	s_cbranch_execz .LBB31_271
; %bb.268:
	v_mov_b32_e32 v134, 0x80
	v_lshl_add_u32 v134, v132, 2, v134
	v_mov_b32_e32 v135, 0
	s_mov_b64 s[10:11], 0
.LBB31_269:                             ; =>This Inner Loop Header: Depth=1
	v_cmp_eq_u32_e32 vcc, 1, v132
	v_cndmask_b32_e32 v136, v34, v35, vcc
	v_add_u32_e32 v133, -1, v133
	v_cmp_eq_u32_e32 vcc, 2, v132
	v_cndmask_b32_e32 v136, v136, v36, vcc
	v_cmp_eq_u32_e32 vcc, 0, v133
	v_cmp_eq_u32_e64 s[0:1], 3, v132
	v_cndmask_b32_e64 v136, v136, v37, s[0:1]
	s_or_b64 s[10:11], vcc, s[10:11]
	v_cmp_eq_u32_e32 vcc, 4, v132
	v_cndmask_b32_e32 v136, v136, v38, vcc
	v_cmp_eq_u32_e32 vcc, 5, v132
	v_cndmask_b32_e32 v136, v136, v39, vcc
	;; [unrolled: 2-line block ×23, first 2 shown]
	v_cmp_eq_u32_e32 vcc, 27, v132
	ds_read_b32 v137, v134
	v_cndmask_b32_e32 v136, v136, v61, vcc
	v_cmp_eq_u32_e32 vcc, 28, v132
	v_cndmask_b32_e32 v136, v136, v62, vcc
	v_cmp_eq_u32_e32 vcc, 29, v132
	;; [unrolled: 2-line block ×4, first 2 shown]
	v_add_co_u32_e64 v132, s[0:1], 1, v132
	v_cndmask_b32_e32 v136, v136, v65, vcc
	v_add_u32_e32 v134, 4, v134
	v_addc_co_u32_e64 v135, s[0:1], 0, v135, s[0:1]
	s_waitcnt lgkmcnt(0)
	v_fmac_f32_e32 v131, v136, v137
	s_andn2_b64 exec, exec, s[10:11]
	s_cbranch_execnz .LBB31_269
; %bb.270:
	s_or_b64 exec, exec, s[10:11]
.LBB31_271:
	s_or_b64 exec, exec, s[8:9]
.LBB31_272:
	s_or_b64 exec, exec, s[6:7]
	v_mov_b32_e32 v47, 0
	ds_read_b32 v47, v47 offset:52
	s_waitcnt lgkmcnt(0)
	v_mul_f32_e32 v47, v131, v47
.LBB31_273:
	s_or_b64 exec, exec, s[4:5]
	v_cmp_lt_u32_e64 s[0:1], 12, v0
	ds_write_b32 v130, v46
	s_waitcnt lgkmcnt(0)
	; wave barrier
	s_and_saveexec_b64 s[4:5], s[0:1]
	s_cbranch_execz .LBB31_289
; %bb.274:
	s_andn2_b64 vcc, exec, s[66:67]
	s_cbranch_vccnz .LBB31_276
; %bb.275:
	v_cmp_eq_u32_e32 vcc, 1, v0
	v_cndmask_b32_e32 v131, v34, v35, vcc
	v_cmp_eq_u32_e32 vcc, 2, v0
	v_cndmask_b32_e32 v131, v131, v36, vcc
	;; [unrolled: 2-line block ×27, first 2 shown]
	v_cmp_eq_u32_e32 vcc, 28, v0
	ds_read_b32 v132, v130
	v_cndmask_b32_e32 v131, v131, v62, vcc
	v_cmp_eq_u32_e32 vcc, 29, v0
	v_cndmask_b32_e32 v131, v131, v63, vcc
	v_cmp_eq_u32_e32 vcc, 30, v0
	;; [unrolled: 2-line block ×3, first 2 shown]
	v_cndmask_b32_e32 v131, v131, v65, vcc
	s_waitcnt lgkmcnt(0)
	v_mul_f32_e32 v131, v131, v132
	s_cbranch_execz .LBB31_277
	s_branch .LBB31_278
.LBB31_276:
                                        ; implicit-def: $vgpr131
.LBB31_277:
	ds_read_b32 v131, v130
.LBB31_278:
	s_and_saveexec_b64 s[6:7], s[2:3]
	s_cbranch_execz .LBB31_288
; %bb.279:
	v_add_u32_e32 v132, -14, v0
	v_add_u32_e32 v133, -13, v0
	v_cmp_lt_u32_e32 vcc, 6, v132
	v_mov_b32_e32 v132, 13
	s_and_saveexec_b64 s[2:3], vcc
	s_cbranch_execz .LBB31_283
; %bb.280:
	v_and_b32_e32 v132, -8, v133
	v_sub_u32_e32 v134, 0, v132
	s_mov_b64 s[8:9], 20
	s_movk_i32 s12, 0xb4
	s_mov_b64 s[10:11], 0
.LBB31_281:                             ; =>This Inner Loop Header: Depth=1
	s_add_i32 s13, s8, -7
	v_mov_b32_e32 v132, s12
	s_add_i32 s14, s8, -6
	s_set_gpr_idx_on s13, gpr_idx(SRC0)
	v_mov_b32_e32 v141, v34
	s_set_gpr_idx_off
	ds_read2_b32 v[135:136], v132 offset1:1
	s_add_i32 s15, s8, -5
	s_set_gpr_idx_on s14, gpr_idx(SRC0)
	v_mov_b32_e32 v142, v34
	s_set_gpr_idx_off
	s_add_i32 s16, s8, -4
	s_set_gpr_idx_on s15, gpr_idx(SRC0)
	v_mov_b32_e32 v143, v34
	s_set_gpr_idx_off
	ds_read2_b32 v[137:138], v132 offset0:2 offset1:3
	s_add_i32 s17, s8, -3
	s_set_gpr_idx_on s16, gpr_idx(SRC0)
	v_mov_b32_e32 v144, v34
	s_set_gpr_idx_off
	s_add_i32 s18, s8, -2
	s_set_gpr_idx_on s17, gpr_idx(SRC0)
	v_mov_b32_e32 v145, v34
	s_set_gpr_idx_off
	ds_read2_b32 v[139:140], v132 offset0:4 offset1:5
	s_add_i32 s19, s8, -1
	s_waitcnt lgkmcnt(2)
	v_fmac_f32_e32 v131, v141, v135
	s_set_gpr_idx_on s18, gpr_idx(SRC0)
	v_mov_b32_e32 v141, v34
	s_set_gpr_idx_off
	v_fmac_f32_e32 v131, v142, v136
	s_set_gpr_idx_on s19, gpr_idx(SRC0)
	v_mov_b32_e32 v142, v34
	s_set_gpr_idx_off
	ds_read2_b32 v[135:136], v132 offset0:6 offset1:7
	s_waitcnt lgkmcnt(2)
	v_fmac_f32_e32 v131, v143, v137
	s_set_gpr_idx_on s8, gpr_idx(SRC0)
	v_mov_b32_e32 v137, v34
	s_set_gpr_idx_off
	v_fmac_f32_e32 v131, v144, v138
	s_add_u32 s8, s8, 8
	s_waitcnt lgkmcnt(1)
	v_fmac_f32_e32 v131, v145, v139
	v_add_u32_e32 v132, s8, v134
	v_fmac_f32_e32 v131, v141, v140
	s_addc_u32 s9, s9, 0
	s_add_i32 s12, s12, 32
	s_add_i32 s13, s8, -7
	v_cmp_eq_u32_e32 vcc, 20, v132
	s_waitcnt lgkmcnt(0)
	v_fmac_f32_e32 v131, v142, v135
	v_mov_b32_e32 v132, s13
	s_or_b64 s[10:11], vcc, s[10:11]
	v_fmac_f32_e32 v131, v137, v136
	s_andn2_b64 exec, exec, s[10:11]
	s_cbranch_execnz .LBB31_281
; %bb.282:
	s_or_b64 exec, exec, s[10:11]
.LBB31_283:
	s_or_b64 exec, exec, s[2:3]
	v_and_b32_e32 v133, 7, v133
	v_cmp_ne_u32_e32 vcc, 0, v133
	s_and_saveexec_b64 s[8:9], vcc
	s_cbranch_execz .LBB31_287
; %bb.284:
	v_mov_b32_e32 v134, 0x80
	v_lshl_add_u32 v134, v132, 2, v134
	v_mov_b32_e32 v135, 0
	s_mov_b64 s[10:11], 0
.LBB31_285:                             ; =>This Inner Loop Header: Depth=1
	v_cmp_eq_u32_e32 vcc, 1, v132
	v_cndmask_b32_e32 v136, v34, v35, vcc
	v_add_u32_e32 v133, -1, v133
	v_cmp_eq_u32_e32 vcc, 2, v132
	v_cndmask_b32_e32 v136, v136, v36, vcc
	v_cmp_eq_u32_e32 vcc, 0, v133
	v_cmp_eq_u32_e64 s[2:3], 3, v132
	v_cndmask_b32_e64 v136, v136, v37, s[2:3]
	s_or_b64 s[10:11], vcc, s[10:11]
	v_cmp_eq_u32_e32 vcc, 4, v132
	v_cndmask_b32_e32 v136, v136, v38, vcc
	v_cmp_eq_u32_e32 vcc, 5, v132
	v_cndmask_b32_e32 v136, v136, v39, vcc
	;; [unrolled: 2-line block ×23, first 2 shown]
	v_cmp_eq_u32_e32 vcc, 27, v132
	ds_read_b32 v137, v134
	v_cndmask_b32_e32 v136, v136, v61, vcc
	v_cmp_eq_u32_e32 vcc, 28, v132
	v_cndmask_b32_e32 v136, v136, v62, vcc
	v_cmp_eq_u32_e32 vcc, 29, v132
	;; [unrolled: 2-line block ×4, first 2 shown]
	v_add_co_u32_e64 v132, s[2:3], 1, v132
	v_cndmask_b32_e32 v136, v136, v65, vcc
	v_add_u32_e32 v134, 4, v134
	v_addc_co_u32_e64 v135, s[2:3], 0, v135, s[2:3]
	s_waitcnt lgkmcnt(0)
	v_fmac_f32_e32 v131, v136, v137
	s_andn2_b64 exec, exec, s[10:11]
	s_cbranch_execnz .LBB31_285
; %bb.286:
	s_or_b64 exec, exec, s[10:11]
.LBB31_287:
	s_or_b64 exec, exec, s[8:9]
.LBB31_288:
	s_or_b64 exec, exec, s[6:7]
	v_mov_b32_e32 v46, 0
	ds_read_b32 v46, v46 offset:48
	s_waitcnt lgkmcnt(0)
	v_mul_f32_e32 v46, v131, v46
.LBB31_289:
	s_or_b64 exec, exec, s[4:5]
	v_cmp_lt_u32_e64 s[2:3], 11, v0
	ds_write_b32 v130, v45
	s_waitcnt lgkmcnt(0)
	; wave barrier
	s_and_saveexec_b64 s[4:5], s[2:3]
	s_cbranch_execz .LBB31_305
; %bb.290:
	s_andn2_b64 vcc, exec, s[66:67]
	s_cbranch_vccnz .LBB31_292
; %bb.291:
	v_cmp_eq_u32_e32 vcc, 1, v0
	v_cndmask_b32_e32 v131, v34, v35, vcc
	v_cmp_eq_u32_e32 vcc, 2, v0
	v_cndmask_b32_e32 v131, v131, v36, vcc
	;; [unrolled: 2-line block ×27, first 2 shown]
	v_cmp_eq_u32_e32 vcc, 28, v0
	ds_read_b32 v132, v130
	v_cndmask_b32_e32 v131, v131, v62, vcc
	v_cmp_eq_u32_e32 vcc, 29, v0
	v_cndmask_b32_e32 v131, v131, v63, vcc
	v_cmp_eq_u32_e32 vcc, 30, v0
	;; [unrolled: 2-line block ×3, first 2 shown]
	v_cndmask_b32_e32 v131, v131, v65, vcc
	s_waitcnt lgkmcnt(0)
	v_mul_f32_e32 v131, v131, v132
	s_cbranch_execz .LBB31_293
	s_branch .LBB31_294
.LBB31_292:
                                        ; implicit-def: $vgpr131
.LBB31_293:
	ds_read_b32 v131, v130
.LBB31_294:
	s_and_saveexec_b64 s[6:7], s[0:1]
	s_cbranch_execz .LBB31_304
; %bb.295:
	v_add_u32_e32 v132, -13, v0
	v_add_u32_e32 v133, -12, v0
	v_cmp_lt_u32_e32 vcc, 6, v132
	v_mov_b32_e32 v132, 12
	s_and_saveexec_b64 s[0:1], vcc
	s_cbranch_execz .LBB31_299
; %bb.296:
	v_and_b32_e32 v132, -8, v133
	v_sub_u32_e32 v134, 0, v132
	s_mov_b64 s[8:9], 19
	s_movk_i32 s12, 0xb0
	s_mov_b64 s[10:11], 0
.LBB31_297:                             ; =>This Inner Loop Header: Depth=1
	s_add_i32 s13, s8, -7
	v_mov_b32_e32 v132, s12
	s_add_i32 s14, s8, -6
	s_set_gpr_idx_on s13, gpr_idx(SRC0)
	v_mov_b32_e32 v143, v34
	s_set_gpr_idx_off
	s_add_i32 s15, s8, -5
	ds_read_b128 v[135:138], v132
	ds_read_b128 v[139:142], v132 offset:16
	s_set_gpr_idx_on s14, gpr_idx(SRC0)
	v_mov_b32_e32 v132, v34
	s_set_gpr_idx_off
	s_add_i32 s16, s8, -4
	s_set_gpr_idx_on s15, gpr_idx(SRC0)
	v_mov_b32_e32 v144, v34
	s_set_gpr_idx_off
	s_add_i32 s17, s8, -3
	;; [unrolled: 4-line block ×4, first 2 shown]
	s_waitcnt lgkmcnt(1)
	v_fmac_f32_e32 v131, v143, v135
	s_set_gpr_idx_on s18, gpr_idx(SRC0)
	v_mov_b32_e32 v135, v34
	s_set_gpr_idx_off
	v_fmac_f32_e32 v131, v132, v136
	s_set_gpr_idx_on s19, gpr_idx(SRC0)
	v_mov_b32_e32 v136, v34
	s_set_gpr_idx_off
	;; [unrolled: 4-line block ×3, first 2 shown]
	v_fmac_f32_e32 v131, v145, v138
	s_add_u32 s8, s8, 8
	s_waitcnt lgkmcnt(0)
	v_fmac_f32_e32 v131, v146, v139
	v_add_u32_e32 v132, s8, v134
	v_fmac_f32_e32 v131, v135, v140
	s_addc_u32 s9, s9, 0
	s_add_i32 s12, s12, 32
	s_add_i32 s13, s8, -7
	v_cmp_eq_u32_e32 vcc, 19, v132
	v_fmac_f32_e32 v131, v136, v141
	v_mov_b32_e32 v132, s13
	s_or_b64 s[10:11], vcc, s[10:11]
	v_fmac_f32_e32 v131, v137, v142
	s_andn2_b64 exec, exec, s[10:11]
	s_cbranch_execnz .LBB31_297
; %bb.298:
	s_or_b64 exec, exec, s[10:11]
.LBB31_299:
	s_or_b64 exec, exec, s[0:1]
	v_and_b32_e32 v133, 7, v133
	v_cmp_ne_u32_e32 vcc, 0, v133
	s_and_saveexec_b64 s[8:9], vcc
	s_cbranch_execz .LBB31_303
; %bb.300:
	v_mov_b32_e32 v134, 0x80
	v_lshl_add_u32 v134, v132, 2, v134
	v_mov_b32_e32 v135, 0
	s_mov_b64 s[10:11], 0
.LBB31_301:                             ; =>This Inner Loop Header: Depth=1
	v_cmp_eq_u32_e32 vcc, 1, v132
	v_cndmask_b32_e32 v136, v34, v35, vcc
	v_add_u32_e32 v133, -1, v133
	v_cmp_eq_u32_e32 vcc, 2, v132
	v_cndmask_b32_e32 v136, v136, v36, vcc
	v_cmp_eq_u32_e32 vcc, 0, v133
	v_cmp_eq_u32_e64 s[0:1], 3, v132
	v_cndmask_b32_e64 v136, v136, v37, s[0:1]
	s_or_b64 s[10:11], vcc, s[10:11]
	v_cmp_eq_u32_e32 vcc, 4, v132
	v_cndmask_b32_e32 v136, v136, v38, vcc
	v_cmp_eq_u32_e32 vcc, 5, v132
	v_cndmask_b32_e32 v136, v136, v39, vcc
	;; [unrolled: 2-line block ×23, first 2 shown]
	v_cmp_eq_u32_e32 vcc, 27, v132
	ds_read_b32 v137, v134
	v_cndmask_b32_e32 v136, v136, v61, vcc
	v_cmp_eq_u32_e32 vcc, 28, v132
	v_cndmask_b32_e32 v136, v136, v62, vcc
	v_cmp_eq_u32_e32 vcc, 29, v132
	;; [unrolled: 2-line block ×4, first 2 shown]
	v_add_co_u32_e64 v132, s[0:1], 1, v132
	v_cndmask_b32_e32 v136, v136, v65, vcc
	v_add_u32_e32 v134, 4, v134
	v_addc_co_u32_e64 v135, s[0:1], 0, v135, s[0:1]
	s_waitcnt lgkmcnt(0)
	v_fmac_f32_e32 v131, v136, v137
	s_andn2_b64 exec, exec, s[10:11]
	s_cbranch_execnz .LBB31_301
; %bb.302:
	s_or_b64 exec, exec, s[10:11]
.LBB31_303:
	s_or_b64 exec, exec, s[8:9]
.LBB31_304:
	s_or_b64 exec, exec, s[6:7]
	v_mov_b32_e32 v45, 0
	ds_read_b32 v45, v45 offset:44
	s_waitcnt lgkmcnt(0)
	v_mul_f32_e32 v45, v131, v45
.LBB31_305:
	s_or_b64 exec, exec, s[4:5]
	v_cmp_lt_u32_e64 s[0:1], 10, v0
	ds_write_b32 v130, v44
	s_waitcnt lgkmcnt(0)
	; wave barrier
	s_and_saveexec_b64 s[4:5], s[0:1]
	s_cbranch_execz .LBB31_321
; %bb.306:
	s_andn2_b64 vcc, exec, s[66:67]
	s_cbranch_vccnz .LBB31_308
; %bb.307:
	v_cmp_eq_u32_e32 vcc, 1, v0
	v_cndmask_b32_e32 v131, v34, v35, vcc
	v_cmp_eq_u32_e32 vcc, 2, v0
	v_cndmask_b32_e32 v131, v131, v36, vcc
	v_cmp_eq_u32_e32 vcc, 3, v0
	v_cndmask_b32_e32 v131, v131, v37, vcc
	v_cmp_eq_u32_e32 vcc, 4, v0
	v_cndmask_b32_e32 v131, v131, v38, vcc
	v_cmp_eq_u32_e32 vcc, 5, v0
	v_cndmask_b32_e32 v131, v131, v39, vcc
	v_cmp_eq_u32_e32 vcc, 6, v0
	v_cndmask_b32_e32 v131, v131, v40, vcc
	v_cmp_eq_u32_e32 vcc, 7, v0
	v_cndmask_b32_e32 v131, v131, v41, vcc
	v_cmp_eq_u32_e32 vcc, 8, v0
	v_cndmask_b32_e32 v131, v131, v42, vcc
	v_cmp_eq_u32_e32 vcc, 9, v0
	v_cndmask_b32_e32 v131, v131, v43, vcc
	v_cmp_eq_u32_e32 vcc, 10, v0
	v_cndmask_b32_e32 v131, v131, v44, vcc
	v_cmp_eq_u32_e32 vcc, 11, v0
	v_cndmask_b32_e32 v131, v131, v45, vcc
	v_cmp_eq_u32_e32 vcc, 12, v0
	v_cndmask_b32_e32 v131, v131, v46, vcc
	v_cmp_eq_u32_e32 vcc, 13, v0
	v_cndmask_b32_e32 v131, v131, v47, vcc
	v_cmp_eq_u32_e32 vcc, 14, v0
	v_cndmask_b32_e32 v131, v131, v48, vcc
	v_cmp_eq_u32_e32 vcc, 15, v0
	v_cndmask_b32_e32 v131, v131, v49, vcc
	v_cmp_eq_u32_e32 vcc, 16, v0
	v_cndmask_b32_e32 v131, v131, v50, vcc
	v_cmp_eq_u32_e32 vcc, 17, v0
	v_cndmask_b32_e32 v131, v131, v51, vcc
	v_cmp_eq_u32_e32 vcc, 18, v0
	v_cndmask_b32_e32 v131, v131, v52, vcc
	v_cmp_eq_u32_e32 vcc, 19, v0
	v_cndmask_b32_e32 v131, v131, v53, vcc
	v_cmp_eq_u32_e32 vcc, 20, v0
	v_cndmask_b32_e32 v131, v131, v54, vcc
	v_cmp_eq_u32_e32 vcc, 21, v0
	v_cndmask_b32_e32 v131, v131, v55, vcc
	v_cmp_eq_u32_e32 vcc, 22, v0
	v_cndmask_b32_e32 v131, v131, v56, vcc
	v_cmp_eq_u32_e32 vcc, 23, v0
	v_cndmask_b32_e32 v131, v131, v57, vcc
	v_cmp_eq_u32_e32 vcc, 24, v0
	v_cndmask_b32_e32 v131, v131, v58, vcc
	v_cmp_eq_u32_e32 vcc, 25, v0
	v_cndmask_b32_e32 v131, v131, v59, vcc
	v_cmp_eq_u32_e32 vcc, 26, v0
	v_cndmask_b32_e32 v131, v131, v60, vcc
	v_cmp_eq_u32_e32 vcc, 27, v0
	v_cndmask_b32_e32 v131, v131, v61, vcc
	v_cmp_eq_u32_e32 vcc, 28, v0
	ds_read_b32 v132, v130
	v_cndmask_b32_e32 v131, v131, v62, vcc
	v_cmp_eq_u32_e32 vcc, 29, v0
	v_cndmask_b32_e32 v131, v131, v63, vcc
	v_cmp_eq_u32_e32 vcc, 30, v0
	;; [unrolled: 2-line block ×3, first 2 shown]
	v_cndmask_b32_e32 v131, v131, v65, vcc
	s_waitcnt lgkmcnt(0)
	v_mul_f32_e32 v131, v131, v132
	s_cbranch_execz .LBB31_309
	s_branch .LBB31_310
.LBB31_308:
                                        ; implicit-def: $vgpr131
.LBB31_309:
	ds_read_b32 v131, v130
.LBB31_310:
	s_and_saveexec_b64 s[6:7], s[2:3]
	s_cbranch_execz .LBB31_320
; %bb.311:
	v_add_u32_e32 v132, -12, v0
	v_add_u32_e32 v133, -11, v0
	v_cmp_lt_u32_e32 vcc, 6, v132
	v_mov_b32_e32 v132, 11
	s_and_saveexec_b64 s[2:3], vcc
	s_cbranch_execz .LBB31_315
; %bb.312:
	v_and_b32_e32 v132, -8, v133
	v_sub_u32_e32 v134, 0, v132
	s_mov_b64 s[8:9], 18
	s_movk_i32 s12, 0xac
	s_mov_b64 s[10:11], 0
.LBB31_313:                             ; =>This Inner Loop Header: Depth=1
	s_add_i32 s13, s8, -7
	v_mov_b32_e32 v132, s12
	s_add_i32 s14, s8, -6
	s_set_gpr_idx_on s13, gpr_idx(SRC0)
	v_mov_b32_e32 v141, v34
	s_set_gpr_idx_off
	ds_read2_b32 v[135:136], v132 offset1:1
	s_add_i32 s15, s8, -5
	s_set_gpr_idx_on s14, gpr_idx(SRC0)
	v_mov_b32_e32 v142, v34
	s_set_gpr_idx_off
	s_add_i32 s16, s8, -4
	s_set_gpr_idx_on s15, gpr_idx(SRC0)
	v_mov_b32_e32 v143, v34
	s_set_gpr_idx_off
	ds_read2_b32 v[137:138], v132 offset0:2 offset1:3
	s_add_i32 s17, s8, -3
	s_set_gpr_idx_on s16, gpr_idx(SRC0)
	v_mov_b32_e32 v144, v34
	s_set_gpr_idx_off
	s_add_i32 s18, s8, -2
	s_set_gpr_idx_on s17, gpr_idx(SRC0)
	v_mov_b32_e32 v145, v34
	s_set_gpr_idx_off
	ds_read2_b32 v[139:140], v132 offset0:4 offset1:5
	s_add_i32 s19, s8, -1
	s_waitcnt lgkmcnt(2)
	v_fmac_f32_e32 v131, v141, v135
	s_set_gpr_idx_on s18, gpr_idx(SRC0)
	v_mov_b32_e32 v141, v34
	s_set_gpr_idx_off
	v_fmac_f32_e32 v131, v142, v136
	s_set_gpr_idx_on s19, gpr_idx(SRC0)
	v_mov_b32_e32 v142, v34
	s_set_gpr_idx_off
	ds_read2_b32 v[135:136], v132 offset0:6 offset1:7
	s_waitcnt lgkmcnt(2)
	v_fmac_f32_e32 v131, v143, v137
	s_set_gpr_idx_on s8, gpr_idx(SRC0)
	v_mov_b32_e32 v137, v34
	s_set_gpr_idx_off
	v_fmac_f32_e32 v131, v144, v138
	s_add_u32 s8, s8, 8
	s_waitcnt lgkmcnt(1)
	v_fmac_f32_e32 v131, v145, v139
	v_add_u32_e32 v132, s8, v134
	v_fmac_f32_e32 v131, v141, v140
	s_addc_u32 s9, s9, 0
	s_add_i32 s12, s12, 32
	s_add_i32 s13, s8, -7
	v_cmp_eq_u32_e32 vcc, 18, v132
	s_waitcnt lgkmcnt(0)
	v_fmac_f32_e32 v131, v142, v135
	v_mov_b32_e32 v132, s13
	s_or_b64 s[10:11], vcc, s[10:11]
	v_fmac_f32_e32 v131, v137, v136
	s_andn2_b64 exec, exec, s[10:11]
	s_cbranch_execnz .LBB31_313
; %bb.314:
	s_or_b64 exec, exec, s[10:11]
.LBB31_315:
	s_or_b64 exec, exec, s[2:3]
	v_and_b32_e32 v133, 7, v133
	v_cmp_ne_u32_e32 vcc, 0, v133
	s_and_saveexec_b64 s[8:9], vcc
	s_cbranch_execz .LBB31_319
; %bb.316:
	v_mov_b32_e32 v134, 0x80
	v_lshl_add_u32 v134, v132, 2, v134
	v_mov_b32_e32 v135, 0
	s_mov_b64 s[10:11], 0
.LBB31_317:                             ; =>This Inner Loop Header: Depth=1
	v_cmp_eq_u32_e32 vcc, 1, v132
	v_cndmask_b32_e32 v136, v34, v35, vcc
	v_add_u32_e32 v133, -1, v133
	v_cmp_eq_u32_e32 vcc, 2, v132
	v_cndmask_b32_e32 v136, v136, v36, vcc
	v_cmp_eq_u32_e32 vcc, 0, v133
	v_cmp_eq_u32_e64 s[2:3], 3, v132
	v_cndmask_b32_e64 v136, v136, v37, s[2:3]
	s_or_b64 s[10:11], vcc, s[10:11]
	v_cmp_eq_u32_e32 vcc, 4, v132
	v_cndmask_b32_e32 v136, v136, v38, vcc
	v_cmp_eq_u32_e32 vcc, 5, v132
	v_cndmask_b32_e32 v136, v136, v39, vcc
	;; [unrolled: 2-line block ×23, first 2 shown]
	v_cmp_eq_u32_e32 vcc, 27, v132
	ds_read_b32 v137, v134
	v_cndmask_b32_e32 v136, v136, v61, vcc
	v_cmp_eq_u32_e32 vcc, 28, v132
	v_cndmask_b32_e32 v136, v136, v62, vcc
	v_cmp_eq_u32_e32 vcc, 29, v132
	;; [unrolled: 2-line block ×4, first 2 shown]
	v_add_co_u32_e64 v132, s[2:3], 1, v132
	v_cndmask_b32_e32 v136, v136, v65, vcc
	v_add_u32_e32 v134, 4, v134
	v_addc_co_u32_e64 v135, s[2:3], 0, v135, s[2:3]
	s_waitcnt lgkmcnt(0)
	v_fmac_f32_e32 v131, v136, v137
	s_andn2_b64 exec, exec, s[10:11]
	s_cbranch_execnz .LBB31_317
; %bb.318:
	s_or_b64 exec, exec, s[10:11]
.LBB31_319:
	s_or_b64 exec, exec, s[8:9]
.LBB31_320:
	s_or_b64 exec, exec, s[6:7]
	v_mov_b32_e32 v44, 0
	ds_read_b32 v44, v44 offset:40
	s_waitcnt lgkmcnt(0)
	v_mul_f32_e32 v44, v131, v44
.LBB31_321:
	s_or_b64 exec, exec, s[4:5]
	v_cmp_lt_u32_e64 s[2:3], 9, v0
	ds_write_b32 v130, v43
	s_waitcnt lgkmcnt(0)
	; wave barrier
	s_and_saveexec_b64 s[4:5], s[2:3]
	s_cbranch_execz .LBB31_337
; %bb.322:
	s_andn2_b64 vcc, exec, s[66:67]
	s_cbranch_vccnz .LBB31_324
; %bb.323:
	v_cmp_eq_u32_e32 vcc, 1, v0
	v_cndmask_b32_e32 v131, v34, v35, vcc
	v_cmp_eq_u32_e32 vcc, 2, v0
	v_cndmask_b32_e32 v131, v131, v36, vcc
	v_cmp_eq_u32_e32 vcc, 3, v0
	v_cndmask_b32_e32 v131, v131, v37, vcc
	v_cmp_eq_u32_e32 vcc, 4, v0
	v_cndmask_b32_e32 v131, v131, v38, vcc
	v_cmp_eq_u32_e32 vcc, 5, v0
	v_cndmask_b32_e32 v131, v131, v39, vcc
	v_cmp_eq_u32_e32 vcc, 6, v0
	v_cndmask_b32_e32 v131, v131, v40, vcc
	v_cmp_eq_u32_e32 vcc, 7, v0
	v_cndmask_b32_e32 v131, v131, v41, vcc
	v_cmp_eq_u32_e32 vcc, 8, v0
	v_cndmask_b32_e32 v131, v131, v42, vcc
	v_cmp_eq_u32_e32 vcc, 9, v0
	v_cndmask_b32_e32 v131, v131, v43, vcc
	v_cmp_eq_u32_e32 vcc, 10, v0
	v_cndmask_b32_e32 v131, v131, v44, vcc
	v_cmp_eq_u32_e32 vcc, 11, v0
	v_cndmask_b32_e32 v131, v131, v45, vcc
	v_cmp_eq_u32_e32 vcc, 12, v0
	v_cndmask_b32_e32 v131, v131, v46, vcc
	v_cmp_eq_u32_e32 vcc, 13, v0
	v_cndmask_b32_e32 v131, v131, v47, vcc
	v_cmp_eq_u32_e32 vcc, 14, v0
	v_cndmask_b32_e32 v131, v131, v48, vcc
	v_cmp_eq_u32_e32 vcc, 15, v0
	v_cndmask_b32_e32 v131, v131, v49, vcc
	v_cmp_eq_u32_e32 vcc, 16, v0
	v_cndmask_b32_e32 v131, v131, v50, vcc
	v_cmp_eq_u32_e32 vcc, 17, v0
	v_cndmask_b32_e32 v131, v131, v51, vcc
	v_cmp_eq_u32_e32 vcc, 18, v0
	v_cndmask_b32_e32 v131, v131, v52, vcc
	v_cmp_eq_u32_e32 vcc, 19, v0
	v_cndmask_b32_e32 v131, v131, v53, vcc
	v_cmp_eq_u32_e32 vcc, 20, v0
	v_cndmask_b32_e32 v131, v131, v54, vcc
	v_cmp_eq_u32_e32 vcc, 21, v0
	v_cndmask_b32_e32 v131, v131, v55, vcc
	v_cmp_eq_u32_e32 vcc, 22, v0
	v_cndmask_b32_e32 v131, v131, v56, vcc
	v_cmp_eq_u32_e32 vcc, 23, v0
	v_cndmask_b32_e32 v131, v131, v57, vcc
	v_cmp_eq_u32_e32 vcc, 24, v0
	v_cndmask_b32_e32 v131, v131, v58, vcc
	v_cmp_eq_u32_e32 vcc, 25, v0
	v_cndmask_b32_e32 v131, v131, v59, vcc
	v_cmp_eq_u32_e32 vcc, 26, v0
	v_cndmask_b32_e32 v131, v131, v60, vcc
	v_cmp_eq_u32_e32 vcc, 27, v0
	v_cndmask_b32_e32 v131, v131, v61, vcc
	v_cmp_eq_u32_e32 vcc, 28, v0
	ds_read_b32 v132, v130
	v_cndmask_b32_e32 v131, v131, v62, vcc
	v_cmp_eq_u32_e32 vcc, 29, v0
	v_cndmask_b32_e32 v131, v131, v63, vcc
	v_cmp_eq_u32_e32 vcc, 30, v0
	;; [unrolled: 2-line block ×3, first 2 shown]
	v_cndmask_b32_e32 v131, v131, v65, vcc
	s_waitcnt lgkmcnt(0)
	v_mul_f32_e32 v131, v131, v132
	s_cbranch_execz .LBB31_325
	s_branch .LBB31_326
.LBB31_324:
                                        ; implicit-def: $vgpr131
.LBB31_325:
	ds_read_b32 v131, v130
.LBB31_326:
	s_and_saveexec_b64 s[6:7], s[0:1]
	s_cbranch_execz .LBB31_336
; %bb.327:
	v_add_u32_e32 v132, -11, v0
	v_add_u32_e32 v133, -10, v0
	v_cmp_lt_u32_e32 vcc, 6, v132
	v_mov_b32_e32 v132, 10
	s_and_saveexec_b64 s[0:1], vcc
	s_cbranch_execz .LBB31_331
; %bb.328:
	v_and_b32_e32 v132, -8, v133
	v_sub_u32_e32 v134, 0, v132
	s_mov_b64 s[8:9], 17
	s_movk_i32 s12, 0xa8
	s_mov_b64 s[10:11], 0
.LBB31_329:                             ; =>This Inner Loop Header: Depth=1
	s_add_i32 s13, s8, -7
	v_mov_b32_e32 v132, s12
	s_add_i32 s14, s8, -6
	s_set_gpr_idx_on s13, gpr_idx(SRC0)
	v_mov_b32_e32 v143, v34
	s_set_gpr_idx_off
	ds_read2_b64 v[135:138], v132 offset1:1
	s_add_i32 s15, s8, -5
	s_set_gpr_idx_on s14, gpr_idx(SRC0)
	v_mov_b32_e32 v144, v34
	s_set_gpr_idx_off
	s_add_i32 s16, s8, -4
	s_set_gpr_idx_on s15, gpr_idx(SRC0)
	v_mov_b32_e32 v145, v34
	s_set_gpr_idx_off
	;; [unrolled: 4-line block ×4, first 2 shown]
	ds_read2_b64 v[139:142], v132 offset0:2 offset1:3
	s_add_i32 s19, s8, -1
	s_waitcnt lgkmcnt(1)
	v_fmac_f32_e32 v131, v143, v135
	s_set_gpr_idx_on s18, gpr_idx(SRC0)
	v_mov_b32_e32 v135, v34
	s_set_gpr_idx_off
	v_fmac_f32_e32 v131, v144, v136
	s_set_gpr_idx_on s19, gpr_idx(SRC0)
	v_mov_b32_e32 v136, v34
	s_set_gpr_idx_off
	v_fmac_f32_e32 v131, v145, v137
	s_set_gpr_idx_on s8, gpr_idx(SRC0)
	v_mov_b32_e32 v137, v34
	s_set_gpr_idx_off
	v_fmac_f32_e32 v131, v146, v138
	s_add_u32 s8, s8, 8
	s_waitcnt lgkmcnt(0)
	v_fmac_f32_e32 v131, v147, v139
	v_add_u32_e32 v132, s8, v134
	v_fmac_f32_e32 v131, v135, v140
	s_addc_u32 s9, s9, 0
	s_add_i32 s12, s12, 32
	s_add_i32 s13, s8, -7
	v_cmp_eq_u32_e32 vcc, 17, v132
	v_fmac_f32_e32 v131, v136, v141
	v_mov_b32_e32 v132, s13
	s_or_b64 s[10:11], vcc, s[10:11]
	v_fmac_f32_e32 v131, v137, v142
	s_andn2_b64 exec, exec, s[10:11]
	s_cbranch_execnz .LBB31_329
; %bb.330:
	s_or_b64 exec, exec, s[10:11]
.LBB31_331:
	s_or_b64 exec, exec, s[0:1]
	v_and_b32_e32 v133, 7, v133
	v_cmp_ne_u32_e32 vcc, 0, v133
	s_and_saveexec_b64 s[8:9], vcc
	s_cbranch_execz .LBB31_335
; %bb.332:
	v_mov_b32_e32 v134, 0x80
	v_lshl_add_u32 v134, v132, 2, v134
	v_mov_b32_e32 v135, 0
	s_mov_b64 s[10:11], 0
.LBB31_333:                             ; =>This Inner Loop Header: Depth=1
	v_cmp_eq_u32_e32 vcc, 1, v132
	v_cndmask_b32_e32 v136, v34, v35, vcc
	v_add_u32_e32 v133, -1, v133
	v_cmp_eq_u32_e32 vcc, 2, v132
	v_cndmask_b32_e32 v136, v136, v36, vcc
	v_cmp_eq_u32_e32 vcc, 0, v133
	v_cmp_eq_u32_e64 s[0:1], 3, v132
	v_cndmask_b32_e64 v136, v136, v37, s[0:1]
	s_or_b64 s[10:11], vcc, s[10:11]
	v_cmp_eq_u32_e32 vcc, 4, v132
	v_cndmask_b32_e32 v136, v136, v38, vcc
	v_cmp_eq_u32_e32 vcc, 5, v132
	v_cndmask_b32_e32 v136, v136, v39, vcc
	;; [unrolled: 2-line block ×23, first 2 shown]
	v_cmp_eq_u32_e32 vcc, 27, v132
	ds_read_b32 v137, v134
	v_cndmask_b32_e32 v136, v136, v61, vcc
	v_cmp_eq_u32_e32 vcc, 28, v132
	v_cndmask_b32_e32 v136, v136, v62, vcc
	v_cmp_eq_u32_e32 vcc, 29, v132
	;; [unrolled: 2-line block ×4, first 2 shown]
	v_add_co_u32_e64 v132, s[0:1], 1, v132
	v_cndmask_b32_e32 v136, v136, v65, vcc
	v_add_u32_e32 v134, 4, v134
	v_addc_co_u32_e64 v135, s[0:1], 0, v135, s[0:1]
	s_waitcnt lgkmcnt(0)
	v_fmac_f32_e32 v131, v136, v137
	s_andn2_b64 exec, exec, s[10:11]
	s_cbranch_execnz .LBB31_333
; %bb.334:
	s_or_b64 exec, exec, s[10:11]
.LBB31_335:
	s_or_b64 exec, exec, s[8:9]
.LBB31_336:
	s_or_b64 exec, exec, s[6:7]
	v_mov_b32_e32 v43, 0
	ds_read_b32 v43, v43 offset:36
	s_waitcnt lgkmcnt(0)
	v_mul_f32_e32 v43, v131, v43
.LBB31_337:
	s_or_b64 exec, exec, s[4:5]
	v_cmp_lt_u32_e64 s[0:1], 8, v0
	ds_write_b32 v130, v42
	s_waitcnt lgkmcnt(0)
	; wave barrier
	s_and_saveexec_b64 s[4:5], s[0:1]
	s_cbranch_execz .LBB31_353
; %bb.338:
	s_andn2_b64 vcc, exec, s[66:67]
	s_cbranch_vccnz .LBB31_340
; %bb.339:
	v_cmp_eq_u32_e32 vcc, 1, v0
	v_cndmask_b32_e32 v131, v34, v35, vcc
	v_cmp_eq_u32_e32 vcc, 2, v0
	v_cndmask_b32_e32 v131, v131, v36, vcc
	;; [unrolled: 2-line block ×27, first 2 shown]
	v_cmp_eq_u32_e32 vcc, 28, v0
	ds_read_b32 v132, v130
	v_cndmask_b32_e32 v131, v131, v62, vcc
	v_cmp_eq_u32_e32 vcc, 29, v0
	v_cndmask_b32_e32 v131, v131, v63, vcc
	v_cmp_eq_u32_e32 vcc, 30, v0
	;; [unrolled: 2-line block ×3, first 2 shown]
	v_cndmask_b32_e32 v131, v131, v65, vcc
	s_waitcnt lgkmcnt(0)
	v_mul_f32_e32 v131, v131, v132
	s_cbranch_execz .LBB31_341
	s_branch .LBB31_342
.LBB31_340:
                                        ; implicit-def: $vgpr131
.LBB31_341:
	ds_read_b32 v131, v130
.LBB31_342:
	s_and_saveexec_b64 s[6:7], s[2:3]
	s_cbranch_execz .LBB31_352
; %bb.343:
	v_add_u32_e32 v132, -10, v0
	v_add_u32_e32 v133, -9, v0
	v_cmp_lt_u32_e32 vcc, 6, v132
	v_mov_b32_e32 v132, 9
	s_and_saveexec_b64 s[2:3], vcc
	s_cbranch_execz .LBB31_347
; %bb.344:
	v_and_b32_e32 v132, -8, v133
	v_sub_u32_e32 v134, 0, v132
	s_mov_b64 s[8:9], 16
	s_movk_i32 s12, 0xa4
	s_mov_b64 s[10:11], 0
.LBB31_345:                             ; =>This Inner Loop Header: Depth=1
	s_add_i32 s13, s8, -7
	v_mov_b32_e32 v132, s12
	s_add_i32 s14, s8, -6
	s_set_gpr_idx_on s13, gpr_idx(SRC0)
	v_mov_b32_e32 v141, v34
	s_set_gpr_idx_off
	ds_read2_b32 v[135:136], v132 offset1:1
	s_add_i32 s15, s8, -5
	s_set_gpr_idx_on s14, gpr_idx(SRC0)
	v_mov_b32_e32 v142, v34
	s_set_gpr_idx_off
	s_add_i32 s16, s8, -4
	s_set_gpr_idx_on s15, gpr_idx(SRC0)
	v_mov_b32_e32 v143, v34
	s_set_gpr_idx_off
	ds_read2_b32 v[137:138], v132 offset0:2 offset1:3
	s_add_i32 s17, s8, -3
	s_set_gpr_idx_on s16, gpr_idx(SRC0)
	v_mov_b32_e32 v144, v34
	s_set_gpr_idx_off
	s_add_i32 s18, s8, -2
	s_set_gpr_idx_on s17, gpr_idx(SRC0)
	v_mov_b32_e32 v145, v34
	s_set_gpr_idx_off
	ds_read2_b32 v[139:140], v132 offset0:4 offset1:5
	s_add_i32 s19, s8, -1
	s_waitcnt lgkmcnt(2)
	v_fmac_f32_e32 v131, v141, v135
	s_set_gpr_idx_on s18, gpr_idx(SRC0)
	v_mov_b32_e32 v141, v34
	s_set_gpr_idx_off
	v_fmac_f32_e32 v131, v142, v136
	s_set_gpr_idx_on s19, gpr_idx(SRC0)
	v_mov_b32_e32 v142, v34
	s_set_gpr_idx_off
	ds_read2_b32 v[135:136], v132 offset0:6 offset1:7
	s_waitcnt lgkmcnt(2)
	v_fmac_f32_e32 v131, v143, v137
	s_set_gpr_idx_on s8, gpr_idx(SRC0)
	v_mov_b32_e32 v137, v34
	s_set_gpr_idx_off
	v_fmac_f32_e32 v131, v144, v138
	s_add_u32 s8, s8, 8
	s_waitcnt lgkmcnt(1)
	v_fmac_f32_e32 v131, v145, v139
	v_add_u32_e32 v132, s8, v134
	v_fmac_f32_e32 v131, v141, v140
	s_addc_u32 s9, s9, 0
	s_add_i32 s12, s12, 32
	s_add_i32 s13, s8, -7
	v_cmp_eq_u32_e32 vcc, 16, v132
	s_waitcnt lgkmcnt(0)
	v_fmac_f32_e32 v131, v142, v135
	v_mov_b32_e32 v132, s13
	s_or_b64 s[10:11], vcc, s[10:11]
	v_fmac_f32_e32 v131, v137, v136
	s_andn2_b64 exec, exec, s[10:11]
	s_cbranch_execnz .LBB31_345
; %bb.346:
	s_or_b64 exec, exec, s[10:11]
.LBB31_347:
	s_or_b64 exec, exec, s[2:3]
	v_and_b32_e32 v133, 7, v133
	v_cmp_ne_u32_e32 vcc, 0, v133
	s_and_saveexec_b64 s[8:9], vcc
	s_cbranch_execz .LBB31_351
; %bb.348:
	v_mov_b32_e32 v134, 0x80
	v_lshl_add_u32 v134, v132, 2, v134
	v_mov_b32_e32 v135, 0
	s_mov_b64 s[10:11], 0
.LBB31_349:                             ; =>This Inner Loop Header: Depth=1
	v_cmp_eq_u32_e32 vcc, 1, v132
	v_cndmask_b32_e32 v136, v34, v35, vcc
	v_add_u32_e32 v133, -1, v133
	v_cmp_eq_u32_e32 vcc, 2, v132
	v_cndmask_b32_e32 v136, v136, v36, vcc
	v_cmp_eq_u32_e32 vcc, 0, v133
	v_cmp_eq_u32_e64 s[2:3], 3, v132
	v_cndmask_b32_e64 v136, v136, v37, s[2:3]
	s_or_b64 s[10:11], vcc, s[10:11]
	v_cmp_eq_u32_e32 vcc, 4, v132
	v_cndmask_b32_e32 v136, v136, v38, vcc
	v_cmp_eq_u32_e32 vcc, 5, v132
	v_cndmask_b32_e32 v136, v136, v39, vcc
	v_cmp_eq_u32_e32 vcc, 6, v132
	v_cndmask_b32_e32 v136, v136, v40, vcc
	v_cmp_eq_u32_e32 vcc, 7, v132
	v_cndmask_b32_e32 v136, v136, v41, vcc
	v_cmp_eq_u32_e32 vcc, 8, v132
	v_cndmask_b32_e32 v136, v136, v42, vcc
	v_cmp_eq_u32_e32 vcc, 9, v132
	v_cndmask_b32_e32 v136, v136, v43, vcc
	v_cmp_eq_u32_e32 vcc, 10, v132
	v_cndmask_b32_e32 v136, v136, v44, vcc
	v_cmp_eq_u32_e32 vcc, 11, v132
	v_cndmask_b32_e32 v136, v136, v45, vcc
	v_cmp_eq_u32_e32 vcc, 12, v132
	v_cndmask_b32_e32 v136, v136, v46, vcc
	v_cmp_eq_u32_e32 vcc, 13, v132
	v_cndmask_b32_e32 v136, v136, v47, vcc
	v_cmp_eq_u32_e32 vcc, 14, v132
	v_cndmask_b32_e32 v136, v136, v48, vcc
	v_cmp_eq_u32_e32 vcc, 15, v132
	v_cndmask_b32_e32 v136, v136, v49, vcc
	v_cmp_eq_u32_e32 vcc, 16, v132
	v_cndmask_b32_e32 v136, v136, v50, vcc
	v_cmp_eq_u32_e32 vcc, 17, v132
	v_cndmask_b32_e32 v136, v136, v51, vcc
	v_cmp_eq_u32_e32 vcc, 18, v132
	v_cndmask_b32_e32 v136, v136, v52, vcc
	v_cmp_eq_u32_e32 vcc, 19, v132
	v_cndmask_b32_e32 v136, v136, v53, vcc
	v_cmp_eq_u32_e32 vcc, 20, v132
	v_cndmask_b32_e32 v136, v136, v54, vcc
	v_cmp_eq_u32_e32 vcc, 21, v132
	v_cndmask_b32_e32 v136, v136, v55, vcc
	v_cmp_eq_u32_e32 vcc, 22, v132
	v_cndmask_b32_e32 v136, v136, v56, vcc
	v_cmp_eq_u32_e32 vcc, 23, v132
	v_cndmask_b32_e32 v136, v136, v57, vcc
	v_cmp_eq_u32_e32 vcc, 24, v132
	v_cndmask_b32_e32 v136, v136, v58, vcc
	v_cmp_eq_u32_e32 vcc, 25, v132
	v_cndmask_b32_e32 v136, v136, v59, vcc
	v_cmp_eq_u32_e32 vcc, 26, v132
	v_cndmask_b32_e32 v136, v136, v60, vcc
	v_cmp_eq_u32_e32 vcc, 27, v132
	ds_read_b32 v137, v134
	v_cndmask_b32_e32 v136, v136, v61, vcc
	v_cmp_eq_u32_e32 vcc, 28, v132
	v_cndmask_b32_e32 v136, v136, v62, vcc
	v_cmp_eq_u32_e32 vcc, 29, v132
	;; [unrolled: 2-line block ×4, first 2 shown]
	v_add_co_u32_e64 v132, s[2:3], 1, v132
	v_cndmask_b32_e32 v136, v136, v65, vcc
	v_add_u32_e32 v134, 4, v134
	v_addc_co_u32_e64 v135, s[2:3], 0, v135, s[2:3]
	s_waitcnt lgkmcnt(0)
	v_fmac_f32_e32 v131, v136, v137
	s_andn2_b64 exec, exec, s[10:11]
	s_cbranch_execnz .LBB31_349
; %bb.350:
	s_or_b64 exec, exec, s[10:11]
.LBB31_351:
	s_or_b64 exec, exec, s[8:9]
.LBB31_352:
	s_or_b64 exec, exec, s[6:7]
	v_mov_b32_e32 v42, 0
	ds_read_b32 v42, v42 offset:32
	s_waitcnt lgkmcnt(0)
	v_mul_f32_e32 v42, v131, v42
.LBB31_353:
	s_or_b64 exec, exec, s[4:5]
	v_cmp_lt_u32_e64 s[2:3], 7, v0
	ds_write_b32 v130, v41
	s_waitcnt lgkmcnt(0)
	; wave barrier
	s_and_saveexec_b64 s[4:5], s[2:3]
	s_cbranch_execz .LBB31_369
; %bb.354:
	s_andn2_b64 vcc, exec, s[66:67]
	s_cbranch_vccnz .LBB31_356
; %bb.355:
	v_cmp_eq_u32_e32 vcc, 1, v0
	v_cndmask_b32_e32 v131, v34, v35, vcc
	v_cmp_eq_u32_e32 vcc, 2, v0
	v_cndmask_b32_e32 v131, v131, v36, vcc
	;; [unrolled: 2-line block ×27, first 2 shown]
	v_cmp_eq_u32_e32 vcc, 28, v0
	ds_read_b32 v132, v130
	v_cndmask_b32_e32 v131, v131, v62, vcc
	v_cmp_eq_u32_e32 vcc, 29, v0
	v_cndmask_b32_e32 v131, v131, v63, vcc
	v_cmp_eq_u32_e32 vcc, 30, v0
	;; [unrolled: 2-line block ×3, first 2 shown]
	v_cndmask_b32_e32 v131, v131, v65, vcc
	s_waitcnt lgkmcnt(0)
	v_mul_f32_e32 v131, v131, v132
	s_cbranch_execz .LBB31_357
	s_branch .LBB31_358
.LBB31_356:
                                        ; implicit-def: $vgpr131
.LBB31_357:
	ds_read_b32 v131, v130
.LBB31_358:
	s_and_saveexec_b64 s[6:7], s[0:1]
	s_cbranch_execz .LBB31_368
; %bb.359:
	v_add_u32_e32 v132, -9, v0
	v_cmp_lt_u32_e32 vcc, 6, v132
	v_mov_b32_e32 v132, 8
	s_and_saveexec_b64 s[0:1], vcc
	s_cbranch_execz .LBB31_363
; %bb.360:
	v_and_b32_e32 v132, 24, v0
	v_sub_u32_e32 v133, 0, v132
	s_mov_b64 s[8:9], 15
	s_movk_i32 s12, 0xa0
	s_mov_b64 s[10:11], 0
.LBB31_361:                             ; =>This Inner Loop Header: Depth=1
	s_add_i32 s13, s8, -7
	v_mov_b32_e32 v132, s12
	s_add_i32 s14, s8, -6
	s_set_gpr_idx_on s13, gpr_idx(SRC0)
	v_mov_b32_e32 v142, v34
	s_set_gpr_idx_off
	s_add_i32 s15, s8, -5
	ds_read_b128 v[134:137], v132
	ds_read_b128 v[138:141], v132 offset:16
	s_set_gpr_idx_on s14, gpr_idx(SRC0)
	v_mov_b32_e32 v132, v34
	s_set_gpr_idx_off
	s_add_i32 s16, s8, -4
	s_set_gpr_idx_on s15, gpr_idx(SRC0)
	v_mov_b32_e32 v143, v34
	s_set_gpr_idx_off
	s_add_i32 s17, s8, -3
	s_set_gpr_idx_on s16, gpr_idx(SRC0)
	v_mov_b32_e32 v144, v34
	s_set_gpr_idx_off
	s_add_i32 s18, s8, -2
	s_set_gpr_idx_on s17, gpr_idx(SRC0)
	v_mov_b32_e32 v145, v34
	s_set_gpr_idx_off
	s_add_i32 s19, s8, -1
	s_waitcnt lgkmcnt(1)
	v_fmac_f32_e32 v131, v142, v134
	s_set_gpr_idx_on s18, gpr_idx(SRC0)
	v_mov_b32_e32 v134, v34
	s_set_gpr_idx_off
	v_fmac_f32_e32 v131, v132, v135
	s_set_gpr_idx_on s19, gpr_idx(SRC0)
	v_mov_b32_e32 v135, v34
	s_set_gpr_idx_off
	;; [unrolled: 4-line block ×3, first 2 shown]
	v_fmac_f32_e32 v131, v144, v137
	s_add_u32 s8, s8, 8
	s_waitcnt lgkmcnt(0)
	v_fmac_f32_e32 v131, v145, v138
	v_add_u32_e32 v132, s8, v133
	v_fmac_f32_e32 v131, v134, v139
	s_addc_u32 s9, s9, 0
	s_add_i32 s12, s12, 32
	s_add_i32 s13, s8, -7
	v_cmp_eq_u32_e32 vcc, 7, v132
	v_fmac_f32_e32 v131, v135, v140
	v_mov_b32_e32 v132, s13
	s_or_b64 s[10:11], vcc, s[10:11]
	v_fmac_f32_e32 v131, v136, v141
	s_andn2_b64 exec, exec, s[10:11]
	s_cbranch_execnz .LBB31_361
; %bb.362:
	s_or_b64 exec, exec, s[10:11]
.LBB31_363:
	s_or_b64 exec, exec, s[0:1]
	v_and_b32_e32 v133, 7, v0
	v_cmp_ne_u32_e32 vcc, 0, v133
	s_and_saveexec_b64 s[8:9], vcc
	s_cbranch_execz .LBB31_367
; %bb.364:
	v_mov_b32_e32 v134, 0x80
	v_lshl_add_u32 v134, v132, 2, v134
	v_mov_b32_e32 v135, 0
	s_mov_b64 s[10:11], 0
.LBB31_365:                             ; =>This Inner Loop Header: Depth=1
	v_cmp_eq_u32_e32 vcc, 1, v132
	v_cndmask_b32_e32 v136, v34, v35, vcc
	v_add_u32_e32 v133, -1, v133
	v_cmp_eq_u32_e32 vcc, 2, v132
	v_cndmask_b32_e32 v136, v136, v36, vcc
	v_cmp_eq_u32_e32 vcc, 0, v133
	v_cmp_eq_u32_e64 s[0:1], 3, v132
	v_cndmask_b32_e64 v136, v136, v37, s[0:1]
	s_or_b64 s[10:11], vcc, s[10:11]
	v_cmp_eq_u32_e32 vcc, 4, v132
	v_cndmask_b32_e32 v136, v136, v38, vcc
	v_cmp_eq_u32_e32 vcc, 5, v132
	v_cndmask_b32_e32 v136, v136, v39, vcc
	;; [unrolled: 2-line block ×23, first 2 shown]
	v_cmp_eq_u32_e32 vcc, 27, v132
	ds_read_b32 v137, v134
	v_cndmask_b32_e32 v136, v136, v61, vcc
	v_cmp_eq_u32_e32 vcc, 28, v132
	v_cndmask_b32_e32 v136, v136, v62, vcc
	v_cmp_eq_u32_e32 vcc, 29, v132
	;; [unrolled: 2-line block ×4, first 2 shown]
	v_add_co_u32_e64 v132, s[0:1], 1, v132
	v_cndmask_b32_e32 v136, v136, v65, vcc
	v_add_u32_e32 v134, 4, v134
	v_addc_co_u32_e64 v135, s[0:1], 0, v135, s[0:1]
	s_waitcnt lgkmcnt(0)
	v_fmac_f32_e32 v131, v136, v137
	s_andn2_b64 exec, exec, s[10:11]
	s_cbranch_execnz .LBB31_365
; %bb.366:
	s_or_b64 exec, exec, s[10:11]
.LBB31_367:
	s_or_b64 exec, exec, s[8:9]
.LBB31_368:
	s_or_b64 exec, exec, s[6:7]
	v_mov_b32_e32 v41, 0
	ds_read_b32 v41, v41 offset:28
	s_waitcnt lgkmcnt(0)
	v_mul_f32_e32 v41, v131, v41
.LBB31_369:
	s_or_b64 exec, exec, s[4:5]
	v_cmp_lt_u32_e64 s[0:1], 6, v0
	ds_write_b32 v130, v40
	s_waitcnt lgkmcnt(0)
	; wave barrier
	s_and_saveexec_b64 s[4:5], s[0:1]
	s_cbranch_execz .LBB31_385
; %bb.370:
	s_andn2_b64 vcc, exec, s[66:67]
	s_cbranch_vccnz .LBB31_372
; %bb.371:
	v_cmp_eq_u32_e32 vcc, 1, v0
	v_cndmask_b32_e32 v131, v34, v35, vcc
	v_cmp_eq_u32_e32 vcc, 2, v0
	v_cndmask_b32_e32 v131, v131, v36, vcc
	;; [unrolled: 2-line block ×27, first 2 shown]
	v_cmp_eq_u32_e32 vcc, 28, v0
	ds_read_b32 v132, v130
	v_cndmask_b32_e32 v131, v131, v62, vcc
	v_cmp_eq_u32_e32 vcc, 29, v0
	v_cndmask_b32_e32 v131, v131, v63, vcc
	v_cmp_eq_u32_e32 vcc, 30, v0
	;; [unrolled: 2-line block ×3, first 2 shown]
	v_cndmask_b32_e32 v131, v131, v65, vcc
	s_waitcnt lgkmcnt(0)
	v_mul_f32_e32 v131, v131, v132
	s_cbranch_execz .LBB31_373
	s_branch .LBB31_374
.LBB31_372:
                                        ; implicit-def: $vgpr131
.LBB31_373:
	ds_read_b32 v131, v130
.LBB31_374:
	s_and_saveexec_b64 s[6:7], s[2:3]
	s_cbranch_execz .LBB31_384
; %bb.375:
	v_add_u32_e32 v132, -8, v0
	v_add_u32_e32 v133, -7, v0
	v_cmp_lt_u32_e32 vcc, 6, v132
	v_mov_b32_e32 v132, 7
	s_and_saveexec_b64 s[2:3], vcc
	s_cbranch_execz .LBB31_379
; %bb.376:
	v_and_b32_e32 v132, -8, v133
	v_sub_u32_e32 v134, 0, v132
	s_mov_b64 s[8:9], 14
	s_movk_i32 s12, 0x9c
	s_mov_b64 s[10:11], 0
.LBB31_377:                             ; =>This Inner Loop Header: Depth=1
	s_add_i32 s13, s8, -7
	v_mov_b32_e32 v132, s12
	s_add_i32 s14, s8, -6
	s_set_gpr_idx_on s13, gpr_idx(SRC0)
	v_mov_b32_e32 v141, v34
	s_set_gpr_idx_off
	ds_read2_b32 v[135:136], v132 offset1:1
	s_add_i32 s15, s8, -5
	s_set_gpr_idx_on s14, gpr_idx(SRC0)
	v_mov_b32_e32 v142, v34
	s_set_gpr_idx_off
	s_add_i32 s16, s8, -4
	s_set_gpr_idx_on s15, gpr_idx(SRC0)
	v_mov_b32_e32 v143, v34
	s_set_gpr_idx_off
	ds_read2_b32 v[137:138], v132 offset0:2 offset1:3
	s_add_i32 s17, s8, -3
	s_set_gpr_idx_on s16, gpr_idx(SRC0)
	v_mov_b32_e32 v144, v34
	s_set_gpr_idx_off
	s_add_i32 s18, s8, -2
	s_set_gpr_idx_on s17, gpr_idx(SRC0)
	v_mov_b32_e32 v145, v34
	s_set_gpr_idx_off
	ds_read2_b32 v[139:140], v132 offset0:4 offset1:5
	s_add_i32 s19, s8, -1
	s_waitcnt lgkmcnt(2)
	v_fmac_f32_e32 v131, v141, v135
	s_set_gpr_idx_on s18, gpr_idx(SRC0)
	v_mov_b32_e32 v141, v34
	s_set_gpr_idx_off
	v_fmac_f32_e32 v131, v142, v136
	s_set_gpr_idx_on s19, gpr_idx(SRC0)
	v_mov_b32_e32 v142, v34
	s_set_gpr_idx_off
	ds_read2_b32 v[135:136], v132 offset0:6 offset1:7
	s_waitcnt lgkmcnt(2)
	v_fmac_f32_e32 v131, v143, v137
	s_set_gpr_idx_on s8, gpr_idx(SRC0)
	v_mov_b32_e32 v137, v34
	s_set_gpr_idx_off
	v_fmac_f32_e32 v131, v144, v138
	s_add_u32 s8, s8, 8
	s_waitcnt lgkmcnt(1)
	v_fmac_f32_e32 v131, v145, v139
	v_add_u32_e32 v132, s8, v134
	v_fmac_f32_e32 v131, v141, v140
	s_addc_u32 s9, s9, 0
	s_add_i32 s12, s12, 32
	s_add_i32 s13, s8, -7
	v_cmp_eq_u32_e32 vcc, 14, v132
	s_waitcnt lgkmcnt(0)
	v_fmac_f32_e32 v131, v142, v135
	v_mov_b32_e32 v132, s13
	s_or_b64 s[10:11], vcc, s[10:11]
	v_fmac_f32_e32 v131, v137, v136
	s_andn2_b64 exec, exec, s[10:11]
	s_cbranch_execnz .LBB31_377
; %bb.378:
	s_or_b64 exec, exec, s[10:11]
.LBB31_379:
	s_or_b64 exec, exec, s[2:3]
	v_and_b32_e32 v133, 7, v133
	v_cmp_ne_u32_e32 vcc, 0, v133
	s_and_saveexec_b64 s[8:9], vcc
	s_cbranch_execz .LBB31_383
; %bb.380:
	v_mov_b32_e32 v134, 0x80
	v_lshl_add_u32 v134, v132, 2, v134
	v_mov_b32_e32 v135, 0
	s_mov_b64 s[10:11], 0
.LBB31_381:                             ; =>This Inner Loop Header: Depth=1
	v_cmp_eq_u32_e32 vcc, 1, v132
	v_cndmask_b32_e32 v136, v34, v35, vcc
	v_add_u32_e32 v133, -1, v133
	v_cmp_eq_u32_e32 vcc, 2, v132
	v_cndmask_b32_e32 v136, v136, v36, vcc
	v_cmp_eq_u32_e32 vcc, 0, v133
	v_cmp_eq_u32_e64 s[2:3], 3, v132
	v_cndmask_b32_e64 v136, v136, v37, s[2:3]
	s_or_b64 s[10:11], vcc, s[10:11]
	v_cmp_eq_u32_e32 vcc, 4, v132
	v_cndmask_b32_e32 v136, v136, v38, vcc
	v_cmp_eq_u32_e32 vcc, 5, v132
	v_cndmask_b32_e32 v136, v136, v39, vcc
	v_cmp_eq_u32_e32 vcc, 6, v132
	v_cndmask_b32_e32 v136, v136, v40, vcc
	v_cmp_eq_u32_e32 vcc, 7, v132
	v_cndmask_b32_e32 v136, v136, v41, vcc
	v_cmp_eq_u32_e32 vcc, 8, v132
	v_cndmask_b32_e32 v136, v136, v42, vcc
	v_cmp_eq_u32_e32 vcc, 9, v132
	v_cndmask_b32_e32 v136, v136, v43, vcc
	v_cmp_eq_u32_e32 vcc, 10, v132
	v_cndmask_b32_e32 v136, v136, v44, vcc
	v_cmp_eq_u32_e32 vcc, 11, v132
	v_cndmask_b32_e32 v136, v136, v45, vcc
	v_cmp_eq_u32_e32 vcc, 12, v132
	v_cndmask_b32_e32 v136, v136, v46, vcc
	v_cmp_eq_u32_e32 vcc, 13, v132
	v_cndmask_b32_e32 v136, v136, v47, vcc
	v_cmp_eq_u32_e32 vcc, 14, v132
	v_cndmask_b32_e32 v136, v136, v48, vcc
	v_cmp_eq_u32_e32 vcc, 15, v132
	v_cndmask_b32_e32 v136, v136, v49, vcc
	v_cmp_eq_u32_e32 vcc, 16, v132
	v_cndmask_b32_e32 v136, v136, v50, vcc
	v_cmp_eq_u32_e32 vcc, 17, v132
	v_cndmask_b32_e32 v136, v136, v51, vcc
	v_cmp_eq_u32_e32 vcc, 18, v132
	v_cndmask_b32_e32 v136, v136, v52, vcc
	v_cmp_eq_u32_e32 vcc, 19, v132
	v_cndmask_b32_e32 v136, v136, v53, vcc
	v_cmp_eq_u32_e32 vcc, 20, v132
	v_cndmask_b32_e32 v136, v136, v54, vcc
	v_cmp_eq_u32_e32 vcc, 21, v132
	v_cndmask_b32_e32 v136, v136, v55, vcc
	v_cmp_eq_u32_e32 vcc, 22, v132
	v_cndmask_b32_e32 v136, v136, v56, vcc
	v_cmp_eq_u32_e32 vcc, 23, v132
	v_cndmask_b32_e32 v136, v136, v57, vcc
	v_cmp_eq_u32_e32 vcc, 24, v132
	v_cndmask_b32_e32 v136, v136, v58, vcc
	v_cmp_eq_u32_e32 vcc, 25, v132
	v_cndmask_b32_e32 v136, v136, v59, vcc
	v_cmp_eq_u32_e32 vcc, 26, v132
	v_cndmask_b32_e32 v136, v136, v60, vcc
	v_cmp_eq_u32_e32 vcc, 27, v132
	ds_read_b32 v137, v134
	v_cndmask_b32_e32 v136, v136, v61, vcc
	v_cmp_eq_u32_e32 vcc, 28, v132
	v_cndmask_b32_e32 v136, v136, v62, vcc
	v_cmp_eq_u32_e32 vcc, 29, v132
	;; [unrolled: 2-line block ×4, first 2 shown]
	v_add_co_u32_e64 v132, s[2:3], 1, v132
	v_cndmask_b32_e32 v136, v136, v65, vcc
	v_add_u32_e32 v134, 4, v134
	v_addc_co_u32_e64 v135, s[2:3], 0, v135, s[2:3]
	s_waitcnt lgkmcnt(0)
	v_fmac_f32_e32 v131, v136, v137
	s_andn2_b64 exec, exec, s[10:11]
	s_cbranch_execnz .LBB31_381
; %bb.382:
	s_or_b64 exec, exec, s[10:11]
.LBB31_383:
	s_or_b64 exec, exec, s[8:9]
.LBB31_384:
	s_or_b64 exec, exec, s[6:7]
	v_mov_b32_e32 v40, 0
	ds_read_b32 v40, v40 offset:24
	s_waitcnt lgkmcnt(0)
	v_mul_f32_e32 v40, v131, v40
.LBB31_385:
	s_or_b64 exec, exec, s[4:5]
	v_cmp_lt_u32_e64 s[2:3], 5, v0
	ds_write_b32 v130, v39
	s_waitcnt lgkmcnt(0)
	; wave barrier
	s_and_saveexec_b64 s[4:5], s[2:3]
	s_cbranch_execz .LBB31_401
; %bb.386:
	s_andn2_b64 vcc, exec, s[66:67]
	s_cbranch_vccnz .LBB31_388
; %bb.387:
	v_cmp_eq_u32_e32 vcc, 1, v0
	v_cndmask_b32_e32 v131, v34, v35, vcc
	v_cmp_eq_u32_e32 vcc, 2, v0
	v_cndmask_b32_e32 v131, v131, v36, vcc
	;; [unrolled: 2-line block ×27, first 2 shown]
	v_cmp_eq_u32_e32 vcc, 28, v0
	ds_read_b32 v132, v130
	v_cndmask_b32_e32 v131, v131, v62, vcc
	v_cmp_eq_u32_e32 vcc, 29, v0
	v_cndmask_b32_e32 v131, v131, v63, vcc
	v_cmp_eq_u32_e32 vcc, 30, v0
	;; [unrolled: 2-line block ×3, first 2 shown]
	v_cndmask_b32_e32 v131, v131, v65, vcc
	s_waitcnt lgkmcnt(0)
	v_mul_f32_e32 v131, v131, v132
	s_cbranch_execz .LBB31_389
	s_branch .LBB31_390
.LBB31_388:
                                        ; implicit-def: $vgpr131
.LBB31_389:
	ds_read_b32 v131, v130
.LBB31_390:
	s_and_saveexec_b64 s[6:7], s[0:1]
	s_cbranch_execz .LBB31_400
; %bb.391:
	v_add_u32_e32 v134, -7, v0
	v_add_u32_e32 v133, -6, v0
	v_mov_b32_e32 v132, 6
	v_cmp_lt_u32_e32 vcc, 6, v134
	s_and_saveexec_b64 s[0:1], vcc
	s_cbranch_execz .LBB31_395
; %bb.392:
	v_and_b32_e32 v132, -8, v133
	v_sub_u32_e32 v134, 0, v132
	s_mov_b64 s[8:9], 13
	s_movk_i32 s12, 0x98
	s_mov_b64 s[10:11], 0
.LBB31_393:                             ; =>This Inner Loop Header: Depth=1
	s_add_i32 s13, s8, -7
	v_mov_b32_e32 v132, s12
	s_add_i32 s14, s8, -6
	s_set_gpr_idx_on s13, gpr_idx(SRC0)
	v_mov_b32_e32 v143, v34
	s_set_gpr_idx_off
	ds_read2_b64 v[135:138], v132 offset1:1
	s_add_i32 s15, s8, -5
	s_set_gpr_idx_on s14, gpr_idx(SRC0)
	v_mov_b32_e32 v144, v34
	s_set_gpr_idx_off
	s_add_i32 s16, s8, -4
	s_set_gpr_idx_on s15, gpr_idx(SRC0)
	v_mov_b32_e32 v145, v34
	s_set_gpr_idx_off
	;; [unrolled: 4-line block ×4, first 2 shown]
	ds_read2_b64 v[139:142], v132 offset0:2 offset1:3
	s_add_i32 s19, s8, -1
	s_waitcnt lgkmcnt(1)
	v_fmac_f32_e32 v131, v143, v135
	s_set_gpr_idx_on s18, gpr_idx(SRC0)
	v_mov_b32_e32 v135, v34
	s_set_gpr_idx_off
	v_fmac_f32_e32 v131, v144, v136
	s_set_gpr_idx_on s19, gpr_idx(SRC0)
	v_mov_b32_e32 v136, v34
	s_set_gpr_idx_off
	;; [unrolled: 4-line block ×3, first 2 shown]
	v_fmac_f32_e32 v131, v146, v138
	s_add_u32 s8, s8, 8
	s_waitcnt lgkmcnt(0)
	v_fmac_f32_e32 v131, v147, v139
	v_add_u32_e32 v132, s8, v134
	v_fmac_f32_e32 v131, v135, v140
	s_addc_u32 s9, s9, 0
	s_add_i32 s12, s12, 32
	s_add_i32 s13, s8, -7
	v_cmp_eq_u32_e32 vcc, 13, v132
	v_fmac_f32_e32 v131, v136, v141
	v_mov_b32_e32 v132, s13
	s_or_b64 s[10:11], vcc, s[10:11]
	v_fmac_f32_e32 v131, v137, v142
	s_andn2_b64 exec, exec, s[10:11]
	s_cbranch_execnz .LBB31_393
; %bb.394:
	s_or_b64 exec, exec, s[10:11]
.LBB31_395:
	s_or_b64 exec, exec, s[0:1]
	v_and_b32_e32 v133, 7, v133
	v_cmp_ne_u32_e32 vcc, 0, v133
	s_and_saveexec_b64 s[8:9], vcc
	s_cbranch_execz .LBB31_399
; %bb.396:
	v_mov_b32_e32 v134, 0x80
	v_lshl_add_u32 v134, v132, 2, v134
	v_mov_b32_e32 v135, 0
	s_mov_b64 s[10:11], 0
.LBB31_397:                             ; =>This Inner Loop Header: Depth=1
	v_cmp_eq_u32_e32 vcc, 1, v132
	v_cndmask_b32_e32 v136, v34, v35, vcc
	v_add_u32_e32 v133, -1, v133
	v_cmp_eq_u32_e32 vcc, 2, v132
	v_cndmask_b32_e32 v136, v136, v36, vcc
	v_cmp_eq_u32_e32 vcc, 0, v133
	v_cmp_eq_u32_e64 s[0:1], 3, v132
	v_cndmask_b32_e64 v136, v136, v37, s[0:1]
	s_or_b64 s[10:11], vcc, s[10:11]
	v_cmp_eq_u32_e32 vcc, 4, v132
	v_cndmask_b32_e32 v136, v136, v38, vcc
	v_cmp_eq_u32_e32 vcc, 5, v132
	v_cndmask_b32_e32 v136, v136, v39, vcc
	;; [unrolled: 2-line block ×23, first 2 shown]
	v_cmp_eq_u32_e32 vcc, 27, v132
	ds_read_b32 v137, v134
	v_cndmask_b32_e32 v136, v136, v61, vcc
	v_cmp_eq_u32_e32 vcc, 28, v132
	v_cndmask_b32_e32 v136, v136, v62, vcc
	v_cmp_eq_u32_e32 vcc, 29, v132
	;; [unrolled: 2-line block ×4, first 2 shown]
	v_add_co_u32_e64 v132, s[0:1], 1, v132
	v_cndmask_b32_e32 v136, v136, v65, vcc
	v_add_u32_e32 v134, 4, v134
	v_addc_co_u32_e64 v135, s[0:1], 0, v135, s[0:1]
	s_waitcnt lgkmcnt(0)
	v_fmac_f32_e32 v131, v136, v137
	s_andn2_b64 exec, exec, s[10:11]
	s_cbranch_execnz .LBB31_397
; %bb.398:
	s_or_b64 exec, exec, s[10:11]
.LBB31_399:
	s_or_b64 exec, exec, s[8:9]
.LBB31_400:
	s_or_b64 exec, exec, s[6:7]
	v_mov_b32_e32 v39, 0
	ds_read_b32 v39, v39 offset:20
	s_waitcnt lgkmcnt(0)
	v_mul_f32_e32 v39, v131, v39
.LBB31_401:
	s_or_b64 exec, exec, s[4:5]
	v_cmp_lt_u32_e64 s[0:1], 4, v0
	ds_write_b32 v130, v38
	s_waitcnt lgkmcnt(0)
	; wave barrier
	s_and_saveexec_b64 s[4:5], s[0:1]
	s_cbranch_execz .LBB31_417
; %bb.402:
	s_andn2_b64 vcc, exec, s[66:67]
	s_cbranch_vccnz .LBB31_404
; %bb.403:
	v_cmp_eq_u32_e32 vcc, 1, v0
	v_cndmask_b32_e32 v131, v34, v35, vcc
	v_cmp_eq_u32_e32 vcc, 2, v0
	v_cndmask_b32_e32 v131, v131, v36, vcc
	;; [unrolled: 2-line block ×27, first 2 shown]
	v_cmp_eq_u32_e32 vcc, 28, v0
	ds_read_b32 v132, v130
	v_cndmask_b32_e32 v131, v131, v62, vcc
	v_cmp_eq_u32_e32 vcc, 29, v0
	v_cndmask_b32_e32 v131, v131, v63, vcc
	v_cmp_eq_u32_e32 vcc, 30, v0
	v_cndmask_b32_e32 v131, v131, v64, vcc
	v_cmp_eq_u32_e32 vcc, 31, v0
	v_cndmask_b32_e32 v131, v131, v65, vcc
	s_waitcnt lgkmcnt(0)
	v_mul_f32_e32 v131, v131, v132
	s_cbranch_execz .LBB31_405
	s_branch .LBB31_406
.LBB31_404:
                                        ; implicit-def: $vgpr131
.LBB31_405:
	ds_read_b32 v131, v130
.LBB31_406:
	s_and_saveexec_b64 s[6:7], s[2:3]
	s_cbranch_execz .LBB31_416
; %bb.407:
	v_add_u32_e32 v132, -6, v0
	v_add_u32_e32 v133, -5, v0
	v_cmp_lt_u32_e32 vcc, 6, v132
	v_mov_b32_e32 v132, 5
	s_and_saveexec_b64 s[2:3], vcc
	s_cbranch_execz .LBB31_411
; %bb.408:
	v_and_b32_e32 v132, -8, v133
	v_sub_u32_e32 v134, 0, v132
	s_mov_b64 s[8:9], 12
	s_movk_i32 s12, 0x94
	s_mov_b64 s[10:11], 0
.LBB31_409:                             ; =>This Inner Loop Header: Depth=1
	s_add_i32 s13, s8, -7
	v_mov_b32_e32 v132, s12
	s_add_i32 s14, s8, -6
	s_set_gpr_idx_on s13, gpr_idx(SRC0)
	v_mov_b32_e32 v141, v34
	s_set_gpr_idx_off
	ds_read2_b32 v[135:136], v132 offset1:1
	s_add_i32 s15, s8, -5
	s_set_gpr_idx_on s14, gpr_idx(SRC0)
	v_mov_b32_e32 v142, v34
	s_set_gpr_idx_off
	s_add_i32 s16, s8, -4
	s_set_gpr_idx_on s15, gpr_idx(SRC0)
	v_mov_b32_e32 v143, v34
	s_set_gpr_idx_off
	ds_read2_b32 v[137:138], v132 offset0:2 offset1:3
	s_add_i32 s17, s8, -3
	s_set_gpr_idx_on s16, gpr_idx(SRC0)
	v_mov_b32_e32 v144, v34
	s_set_gpr_idx_off
	s_add_i32 s18, s8, -2
	s_set_gpr_idx_on s17, gpr_idx(SRC0)
	v_mov_b32_e32 v145, v34
	s_set_gpr_idx_off
	ds_read2_b32 v[139:140], v132 offset0:4 offset1:5
	s_add_i32 s19, s8, -1
	s_waitcnt lgkmcnt(2)
	v_fmac_f32_e32 v131, v141, v135
	s_set_gpr_idx_on s18, gpr_idx(SRC0)
	v_mov_b32_e32 v141, v34
	s_set_gpr_idx_off
	v_fmac_f32_e32 v131, v142, v136
	s_set_gpr_idx_on s19, gpr_idx(SRC0)
	v_mov_b32_e32 v142, v34
	s_set_gpr_idx_off
	ds_read2_b32 v[135:136], v132 offset0:6 offset1:7
	s_waitcnt lgkmcnt(2)
	v_fmac_f32_e32 v131, v143, v137
	s_set_gpr_idx_on s8, gpr_idx(SRC0)
	v_mov_b32_e32 v137, v34
	s_set_gpr_idx_off
	v_fmac_f32_e32 v131, v144, v138
	s_add_u32 s8, s8, 8
	s_waitcnt lgkmcnt(1)
	v_fmac_f32_e32 v131, v145, v139
	v_add_u32_e32 v132, s8, v134
	v_fmac_f32_e32 v131, v141, v140
	s_addc_u32 s9, s9, 0
	s_add_i32 s12, s12, 32
	s_add_i32 s13, s8, -7
	v_cmp_eq_u32_e32 vcc, 12, v132
	s_waitcnt lgkmcnt(0)
	v_fmac_f32_e32 v131, v142, v135
	v_mov_b32_e32 v132, s13
	s_or_b64 s[10:11], vcc, s[10:11]
	v_fmac_f32_e32 v131, v137, v136
	s_andn2_b64 exec, exec, s[10:11]
	s_cbranch_execnz .LBB31_409
; %bb.410:
	s_or_b64 exec, exec, s[10:11]
.LBB31_411:
	s_or_b64 exec, exec, s[2:3]
	v_and_b32_e32 v133, 7, v133
	v_cmp_ne_u32_e32 vcc, 0, v133
	s_and_saveexec_b64 s[8:9], vcc
	s_cbranch_execz .LBB31_415
; %bb.412:
	v_mov_b32_e32 v134, 0x80
	v_lshl_add_u32 v134, v132, 2, v134
	v_mov_b32_e32 v135, 0
	s_mov_b64 s[10:11], 0
.LBB31_413:                             ; =>This Inner Loop Header: Depth=1
	v_cmp_eq_u32_e32 vcc, 1, v132
	v_cndmask_b32_e32 v136, v34, v35, vcc
	v_add_u32_e32 v133, -1, v133
	v_cmp_eq_u32_e32 vcc, 2, v132
	v_cndmask_b32_e32 v136, v136, v36, vcc
	v_cmp_eq_u32_e32 vcc, 0, v133
	v_cmp_eq_u32_e64 s[2:3], 3, v132
	v_cndmask_b32_e64 v136, v136, v37, s[2:3]
	s_or_b64 s[10:11], vcc, s[10:11]
	v_cmp_eq_u32_e32 vcc, 4, v132
	v_cndmask_b32_e32 v136, v136, v38, vcc
	v_cmp_eq_u32_e32 vcc, 5, v132
	v_cndmask_b32_e32 v136, v136, v39, vcc
	;; [unrolled: 2-line block ×23, first 2 shown]
	v_cmp_eq_u32_e32 vcc, 27, v132
	ds_read_b32 v137, v134
	v_cndmask_b32_e32 v136, v136, v61, vcc
	v_cmp_eq_u32_e32 vcc, 28, v132
	v_cndmask_b32_e32 v136, v136, v62, vcc
	v_cmp_eq_u32_e32 vcc, 29, v132
	;; [unrolled: 2-line block ×4, first 2 shown]
	v_add_co_u32_e64 v132, s[2:3], 1, v132
	v_cndmask_b32_e32 v136, v136, v65, vcc
	v_add_u32_e32 v134, 4, v134
	v_addc_co_u32_e64 v135, s[2:3], 0, v135, s[2:3]
	s_waitcnt lgkmcnt(0)
	v_fmac_f32_e32 v131, v136, v137
	s_andn2_b64 exec, exec, s[10:11]
	s_cbranch_execnz .LBB31_413
; %bb.414:
	s_or_b64 exec, exec, s[10:11]
.LBB31_415:
	s_or_b64 exec, exec, s[8:9]
.LBB31_416:
	s_or_b64 exec, exec, s[6:7]
	v_mov_b32_e32 v38, 0
	ds_read_b32 v38, v38 offset:16
	s_waitcnt lgkmcnt(0)
	v_mul_f32_e32 v38, v131, v38
.LBB31_417:
	s_or_b64 exec, exec, s[4:5]
	v_cmp_lt_u32_e64 s[2:3], 3, v0
	ds_write_b32 v130, v37
	s_waitcnt lgkmcnt(0)
	; wave barrier
	s_and_saveexec_b64 s[4:5], s[2:3]
	s_cbranch_execz .LBB31_433
; %bb.418:
	s_andn2_b64 vcc, exec, s[66:67]
	s_cbranch_vccnz .LBB31_420
; %bb.419:
	v_cmp_eq_u32_e32 vcc, 1, v0
	v_cndmask_b32_e32 v131, v34, v35, vcc
	v_cmp_eq_u32_e32 vcc, 2, v0
	v_cndmask_b32_e32 v131, v131, v36, vcc
	v_cmp_eq_u32_e32 vcc, 3, v0
	v_cndmask_b32_e32 v131, v131, v37, vcc
	v_cmp_eq_u32_e32 vcc, 4, v0
	v_cndmask_b32_e32 v131, v131, v38, vcc
	v_cmp_eq_u32_e32 vcc, 5, v0
	v_cndmask_b32_e32 v131, v131, v39, vcc
	v_cmp_eq_u32_e32 vcc, 6, v0
	v_cndmask_b32_e32 v131, v131, v40, vcc
	v_cmp_eq_u32_e32 vcc, 7, v0
	v_cndmask_b32_e32 v131, v131, v41, vcc
	v_cmp_eq_u32_e32 vcc, 8, v0
	v_cndmask_b32_e32 v131, v131, v42, vcc
	v_cmp_eq_u32_e32 vcc, 9, v0
	v_cndmask_b32_e32 v131, v131, v43, vcc
	v_cmp_eq_u32_e32 vcc, 10, v0
	v_cndmask_b32_e32 v131, v131, v44, vcc
	v_cmp_eq_u32_e32 vcc, 11, v0
	v_cndmask_b32_e32 v131, v131, v45, vcc
	v_cmp_eq_u32_e32 vcc, 12, v0
	v_cndmask_b32_e32 v131, v131, v46, vcc
	v_cmp_eq_u32_e32 vcc, 13, v0
	v_cndmask_b32_e32 v131, v131, v47, vcc
	v_cmp_eq_u32_e32 vcc, 14, v0
	v_cndmask_b32_e32 v131, v131, v48, vcc
	v_cmp_eq_u32_e32 vcc, 15, v0
	v_cndmask_b32_e32 v131, v131, v49, vcc
	v_cmp_eq_u32_e32 vcc, 16, v0
	v_cndmask_b32_e32 v131, v131, v50, vcc
	v_cmp_eq_u32_e32 vcc, 17, v0
	v_cndmask_b32_e32 v131, v131, v51, vcc
	v_cmp_eq_u32_e32 vcc, 18, v0
	v_cndmask_b32_e32 v131, v131, v52, vcc
	v_cmp_eq_u32_e32 vcc, 19, v0
	v_cndmask_b32_e32 v131, v131, v53, vcc
	v_cmp_eq_u32_e32 vcc, 20, v0
	v_cndmask_b32_e32 v131, v131, v54, vcc
	v_cmp_eq_u32_e32 vcc, 21, v0
	v_cndmask_b32_e32 v131, v131, v55, vcc
	v_cmp_eq_u32_e32 vcc, 22, v0
	v_cndmask_b32_e32 v131, v131, v56, vcc
	v_cmp_eq_u32_e32 vcc, 23, v0
	v_cndmask_b32_e32 v131, v131, v57, vcc
	v_cmp_eq_u32_e32 vcc, 24, v0
	v_cndmask_b32_e32 v131, v131, v58, vcc
	v_cmp_eq_u32_e32 vcc, 25, v0
	v_cndmask_b32_e32 v131, v131, v59, vcc
	v_cmp_eq_u32_e32 vcc, 26, v0
	v_cndmask_b32_e32 v131, v131, v60, vcc
	v_cmp_eq_u32_e32 vcc, 27, v0
	v_cndmask_b32_e32 v131, v131, v61, vcc
	v_cmp_eq_u32_e32 vcc, 28, v0
	ds_read_b32 v132, v130
	v_cndmask_b32_e32 v131, v131, v62, vcc
	v_cmp_eq_u32_e32 vcc, 29, v0
	v_cndmask_b32_e32 v131, v131, v63, vcc
	v_cmp_eq_u32_e32 vcc, 30, v0
	;; [unrolled: 2-line block ×3, first 2 shown]
	v_cndmask_b32_e32 v131, v131, v65, vcc
	s_waitcnt lgkmcnt(0)
	v_mul_f32_e32 v131, v131, v132
	s_cbranch_execz .LBB31_421
	s_branch .LBB31_422
.LBB31_420:
                                        ; implicit-def: $vgpr131
.LBB31_421:
	ds_read_b32 v131, v130
.LBB31_422:
	s_and_saveexec_b64 s[6:7], s[0:1]
	s_cbranch_execz .LBB31_432
; %bb.423:
	v_add_u32_e32 v132, -5, v0
	v_add_u32_e32 v133, -4, v0
	v_cmp_lt_u32_e32 vcc, 6, v132
	v_mov_b32_e32 v132, 4
	s_and_saveexec_b64 s[0:1], vcc
	s_cbranch_execz .LBB31_427
; %bb.424:
	v_and_b32_e32 v132, -8, v133
	v_sub_u32_e32 v134, 0, v132
	s_mov_b64 s[8:9], 5
	s_movk_i32 s12, 0x90
	s_mov_b64 s[10:11], 0
.LBB31_425:                             ; =>This Inner Loop Header: Depth=1
	s_add_i32 s13, s8, -1
	v_mov_b32_e32 v132, s12
	s_set_gpr_idx_on s13, gpr_idx(SRC0)
	v_mov_b32_e32 v143, v34
	s_set_gpr_idx_off
	s_add_i32 s14, s8, 1
	ds_read_b128 v[135:138], v132
	ds_read_b128 v[139:142], v132 offset:16
	s_set_gpr_idx_on s8, gpr_idx(SRC0)
	v_mov_b32_e32 v144, v34
	s_set_gpr_idx_off
	s_add_i32 s15, s8, 2
	s_set_gpr_idx_on s14, gpr_idx(SRC0)
	v_mov_b32_e32 v145, v34
	s_set_gpr_idx_off
	s_add_i32 s16, s8, 3
	;; [unrolled: 4-line block ×4, first 2 shown]
	s_waitcnt lgkmcnt(1)
	v_fmac_f32_e32 v131, v143, v135
	s_set_gpr_idx_on s17, gpr_idx(SRC0)
	v_mov_b32_e32 v135, v34
	s_set_gpr_idx_off
	s_add_i32 s19, s8, 6
	v_fmac_f32_e32 v131, v144, v136
	s_set_gpr_idx_on s18, gpr_idx(SRC0)
	v_mov_b32_e32 v136, v34
	s_set_gpr_idx_off
	v_fmac_f32_e32 v131, v145, v137
	s_set_gpr_idx_on s19, gpr_idx(SRC0)
	v_mov_b32_e32 v137, v34
	s_set_gpr_idx_off
	v_fmac_f32_e32 v131, v146, v138
	s_add_u32 s8, s8, 8
	s_waitcnt lgkmcnt(0)
	v_fmac_f32_e32 v131, v147, v139
	v_add_u32_e32 v132, s8, v134
	v_fmac_f32_e32 v131, v135, v140
	s_addc_u32 s9, s9, 0
	s_add_i32 s12, s12, 32
	s_add_i32 s13, s8, -1
	v_cmp_eq_u32_e32 vcc, 5, v132
	v_fmac_f32_e32 v131, v136, v141
	v_mov_b32_e32 v132, s13
	s_or_b64 s[10:11], vcc, s[10:11]
	v_fmac_f32_e32 v131, v137, v142
	s_andn2_b64 exec, exec, s[10:11]
	s_cbranch_execnz .LBB31_425
; %bb.426:
	s_or_b64 exec, exec, s[10:11]
.LBB31_427:
	s_or_b64 exec, exec, s[0:1]
	v_and_b32_e32 v133, 7, v133
	v_cmp_ne_u32_e32 vcc, 0, v133
	s_and_saveexec_b64 s[8:9], vcc
	s_cbranch_execz .LBB31_431
; %bb.428:
	v_mov_b32_e32 v134, 0x80
	v_lshl_add_u32 v134, v132, 2, v134
	v_mov_b32_e32 v135, 0
	s_mov_b64 s[10:11], 0
.LBB31_429:                             ; =>This Inner Loop Header: Depth=1
	v_cmp_eq_u32_e32 vcc, 1, v132
	v_cndmask_b32_e32 v136, v34, v35, vcc
	v_add_u32_e32 v133, -1, v133
	v_cmp_eq_u32_e32 vcc, 2, v132
	v_cndmask_b32_e32 v136, v136, v36, vcc
	v_cmp_eq_u32_e32 vcc, 0, v133
	v_cmp_eq_u32_e64 s[0:1], 3, v132
	v_cndmask_b32_e64 v136, v136, v37, s[0:1]
	s_or_b64 s[10:11], vcc, s[10:11]
	v_cmp_eq_u32_e32 vcc, 4, v132
	v_cndmask_b32_e32 v136, v136, v38, vcc
	v_cmp_eq_u32_e32 vcc, 5, v132
	v_cndmask_b32_e32 v136, v136, v39, vcc
	;; [unrolled: 2-line block ×23, first 2 shown]
	v_cmp_eq_u32_e32 vcc, 27, v132
	ds_read_b32 v137, v134
	v_cndmask_b32_e32 v136, v136, v61, vcc
	v_cmp_eq_u32_e32 vcc, 28, v132
	v_cndmask_b32_e32 v136, v136, v62, vcc
	v_cmp_eq_u32_e32 vcc, 29, v132
	;; [unrolled: 2-line block ×4, first 2 shown]
	v_add_co_u32_e64 v132, s[0:1], 1, v132
	v_cndmask_b32_e32 v136, v136, v65, vcc
	v_add_u32_e32 v134, 4, v134
	v_addc_co_u32_e64 v135, s[0:1], 0, v135, s[0:1]
	s_waitcnt lgkmcnt(0)
	v_fmac_f32_e32 v131, v136, v137
	s_andn2_b64 exec, exec, s[10:11]
	s_cbranch_execnz .LBB31_429
; %bb.430:
	s_or_b64 exec, exec, s[10:11]
.LBB31_431:
	s_or_b64 exec, exec, s[8:9]
.LBB31_432:
	s_or_b64 exec, exec, s[6:7]
	v_mov_b32_e32 v37, 0
	ds_read_b32 v37, v37 offset:12
	s_waitcnt lgkmcnt(0)
	v_mul_f32_e32 v37, v131, v37
.LBB31_433:
	s_or_b64 exec, exec, s[4:5]
	v_cmp_lt_u32_e64 s[0:1], 2, v0
	ds_write_b32 v130, v36
	s_waitcnt lgkmcnt(0)
	; wave barrier
	s_and_saveexec_b64 s[4:5], s[0:1]
	s_cbranch_execz .LBB31_449
; %bb.434:
	s_andn2_b64 vcc, exec, s[66:67]
	s_cbranch_vccnz .LBB31_436
; %bb.435:
	v_cmp_eq_u32_e32 vcc, 1, v0
	v_cndmask_b32_e32 v131, v34, v35, vcc
	v_cmp_eq_u32_e32 vcc, 2, v0
	v_cndmask_b32_e32 v131, v131, v36, vcc
	;; [unrolled: 2-line block ×27, first 2 shown]
	v_cmp_eq_u32_e32 vcc, 28, v0
	ds_read_b32 v132, v130
	v_cndmask_b32_e32 v131, v131, v62, vcc
	v_cmp_eq_u32_e32 vcc, 29, v0
	v_cndmask_b32_e32 v131, v131, v63, vcc
	v_cmp_eq_u32_e32 vcc, 30, v0
	;; [unrolled: 2-line block ×3, first 2 shown]
	v_cndmask_b32_e32 v131, v131, v65, vcc
	s_waitcnt lgkmcnt(0)
	v_mul_f32_e32 v131, v131, v132
	s_cbranch_execz .LBB31_437
	s_branch .LBB31_438
.LBB31_436:
                                        ; implicit-def: $vgpr131
.LBB31_437:
	ds_read_b32 v131, v130
.LBB31_438:
	s_and_saveexec_b64 s[6:7], s[2:3]
	s_cbranch_execz .LBB31_448
; %bb.439:
	v_add_u32_e32 v132, -4, v0
	v_add_u32_e32 v133, -3, v0
	v_cmp_lt_u32_e32 vcc, 6, v132
	v_mov_b32_e32 v132, 3
	s_and_saveexec_b64 s[2:3], vcc
	s_cbranch_execz .LBB31_443
; %bb.440:
	v_and_b32_e32 v132, -8, v133
	v_sub_u32_e32 v134, 0, v132
	s_mov_b64 s[8:9], 10
	s_movk_i32 s12, 0x8c
	s_mov_b64 s[10:11], 0
.LBB31_441:                             ; =>This Inner Loop Header: Depth=1
	s_add_i32 s13, s8, -7
	v_mov_b32_e32 v132, s12
	s_add_i32 s14, s8, -6
	s_set_gpr_idx_on s13, gpr_idx(SRC0)
	v_mov_b32_e32 v141, v34
	s_set_gpr_idx_off
	ds_read2_b32 v[135:136], v132 offset1:1
	s_add_i32 s15, s8, -5
	s_set_gpr_idx_on s14, gpr_idx(SRC0)
	v_mov_b32_e32 v142, v34
	s_set_gpr_idx_off
	s_add_i32 s16, s8, -4
	s_set_gpr_idx_on s15, gpr_idx(SRC0)
	v_mov_b32_e32 v143, v34
	s_set_gpr_idx_off
	ds_read2_b32 v[137:138], v132 offset0:2 offset1:3
	s_add_i32 s17, s8, -3
	s_set_gpr_idx_on s16, gpr_idx(SRC0)
	v_mov_b32_e32 v144, v34
	s_set_gpr_idx_off
	s_add_i32 s18, s8, -2
	s_set_gpr_idx_on s17, gpr_idx(SRC0)
	v_mov_b32_e32 v145, v34
	s_set_gpr_idx_off
	ds_read2_b32 v[139:140], v132 offset0:4 offset1:5
	s_add_i32 s19, s8, -1
	s_waitcnt lgkmcnt(2)
	v_fmac_f32_e32 v131, v141, v135
	s_set_gpr_idx_on s18, gpr_idx(SRC0)
	v_mov_b32_e32 v141, v34
	s_set_gpr_idx_off
	v_fmac_f32_e32 v131, v142, v136
	s_set_gpr_idx_on s19, gpr_idx(SRC0)
	v_mov_b32_e32 v142, v34
	s_set_gpr_idx_off
	ds_read2_b32 v[135:136], v132 offset0:6 offset1:7
	s_waitcnt lgkmcnt(2)
	v_fmac_f32_e32 v131, v143, v137
	s_set_gpr_idx_on s8, gpr_idx(SRC0)
	v_mov_b32_e32 v137, v34
	s_set_gpr_idx_off
	v_fmac_f32_e32 v131, v144, v138
	s_add_u32 s8, s8, 8
	s_waitcnt lgkmcnt(1)
	v_fmac_f32_e32 v131, v145, v139
	v_add_u32_e32 v132, s8, v134
	v_fmac_f32_e32 v131, v141, v140
	s_addc_u32 s9, s9, 0
	s_add_i32 s12, s12, 32
	s_add_i32 s13, s8, -7
	v_cmp_eq_u32_e32 vcc, 10, v132
	s_waitcnt lgkmcnt(0)
	v_fmac_f32_e32 v131, v142, v135
	v_mov_b32_e32 v132, s13
	s_or_b64 s[10:11], vcc, s[10:11]
	v_fmac_f32_e32 v131, v137, v136
	s_andn2_b64 exec, exec, s[10:11]
	s_cbranch_execnz .LBB31_441
; %bb.442:
	s_or_b64 exec, exec, s[10:11]
.LBB31_443:
	s_or_b64 exec, exec, s[2:3]
	v_and_b32_e32 v133, 7, v133
	v_cmp_ne_u32_e32 vcc, 0, v133
	s_and_saveexec_b64 s[8:9], vcc
	s_cbranch_execz .LBB31_447
; %bb.444:
	v_mov_b32_e32 v134, 0x80
	v_lshl_add_u32 v134, v132, 2, v134
	v_mov_b32_e32 v135, 0
	s_mov_b64 s[10:11], 0
.LBB31_445:                             ; =>This Inner Loop Header: Depth=1
	v_cmp_eq_u32_e32 vcc, 1, v132
	v_cndmask_b32_e32 v136, v34, v35, vcc
	v_add_u32_e32 v133, -1, v133
	v_cmp_eq_u32_e32 vcc, 2, v132
	v_cndmask_b32_e32 v136, v136, v36, vcc
	v_cmp_eq_u32_e32 vcc, 0, v133
	v_cmp_eq_u32_e64 s[2:3], 3, v132
	v_cndmask_b32_e64 v136, v136, v37, s[2:3]
	s_or_b64 s[10:11], vcc, s[10:11]
	v_cmp_eq_u32_e32 vcc, 4, v132
	v_cndmask_b32_e32 v136, v136, v38, vcc
	v_cmp_eq_u32_e32 vcc, 5, v132
	v_cndmask_b32_e32 v136, v136, v39, vcc
	;; [unrolled: 2-line block ×23, first 2 shown]
	v_cmp_eq_u32_e32 vcc, 27, v132
	ds_read_b32 v137, v134
	v_cndmask_b32_e32 v136, v136, v61, vcc
	v_cmp_eq_u32_e32 vcc, 28, v132
	v_cndmask_b32_e32 v136, v136, v62, vcc
	v_cmp_eq_u32_e32 vcc, 29, v132
	v_cndmask_b32_e32 v136, v136, v63, vcc
	v_cmp_eq_u32_e32 vcc, 30, v132
	v_cndmask_b32_e32 v136, v136, v64, vcc
	v_cmp_eq_u32_e32 vcc, 31, v132
	v_add_co_u32_e64 v132, s[2:3], 1, v132
	v_cndmask_b32_e32 v136, v136, v65, vcc
	v_add_u32_e32 v134, 4, v134
	v_addc_co_u32_e64 v135, s[2:3], 0, v135, s[2:3]
	s_waitcnt lgkmcnt(0)
	v_fmac_f32_e32 v131, v136, v137
	s_andn2_b64 exec, exec, s[10:11]
	s_cbranch_execnz .LBB31_445
; %bb.446:
	s_or_b64 exec, exec, s[10:11]
.LBB31_447:
	s_or_b64 exec, exec, s[8:9]
.LBB31_448:
	s_or_b64 exec, exec, s[6:7]
	v_mov_b32_e32 v36, 0
	ds_read_b32 v36, v36 offset:8
	s_waitcnt lgkmcnt(0)
	v_mul_f32_e32 v36, v131, v36
.LBB31_449:
	s_or_b64 exec, exec, s[4:5]
	v_cmp_lt_u32_e64 s[2:3], 1, v0
	ds_write_b32 v130, v35
	s_waitcnt lgkmcnt(0)
	; wave barrier
	s_and_saveexec_b64 s[4:5], s[2:3]
	s_cbranch_execz .LBB31_465
; %bb.450:
	s_andn2_b64 vcc, exec, s[66:67]
	s_cbranch_vccnz .LBB31_452
; %bb.451:
	v_cmp_eq_u32_e32 vcc, 1, v0
	v_cndmask_b32_e32 v131, v34, v35, vcc
	v_cmp_eq_u32_e32 vcc, 2, v0
	v_cndmask_b32_e32 v131, v131, v36, vcc
	;; [unrolled: 2-line block ×27, first 2 shown]
	v_cmp_eq_u32_e32 vcc, 28, v0
	ds_read_b32 v132, v130
	v_cndmask_b32_e32 v131, v131, v62, vcc
	v_cmp_eq_u32_e32 vcc, 29, v0
	v_cndmask_b32_e32 v131, v131, v63, vcc
	v_cmp_eq_u32_e32 vcc, 30, v0
	;; [unrolled: 2-line block ×3, first 2 shown]
	v_cndmask_b32_e32 v131, v131, v65, vcc
	s_waitcnt lgkmcnt(0)
	v_mul_f32_e32 v131, v131, v132
	s_cbranch_execz .LBB31_453
	s_branch .LBB31_454
.LBB31_452:
                                        ; implicit-def: $vgpr131
.LBB31_453:
	ds_read_b32 v131, v130
.LBB31_454:
	s_and_saveexec_b64 s[6:7], s[0:1]
	s_cbranch_execz .LBB31_464
; %bb.455:
	v_add_u32_e32 v132, -3, v0
	v_add_u32_e32 v133, -2, v0
	v_cmp_lt_u32_e32 vcc, 6, v132
	v_mov_b32_e32 v132, 2
	s_and_saveexec_b64 s[0:1], vcc
	s_cbranch_execz .LBB31_459
; %bb.456:
	v_and_b32_e32 v132, -8, v133
	v_sub_u32_e32 v134, 0, v132
	s_mov_b64 s[8:9], 9
	s_movk_i32 s12, 0x88
	s_mov_b64 s[10:11], 0
.LBB31_457:                             ; =>This Inner Loop Header: Depth=1
	s_add_i32 s13, s8, -7
	v_mov_b32_e32 v132, s12
	s_add_i32 s14, s8, -6
	s_set_gpr_idx_on s13, gpr_idx(SRC0)
	v_mov_b32_e32 v143, v34
	s_set_gpr_idx_off
	ds_read2_b64 v[135:138], v132 offset1:1
	s_add_i32 s15, s8, -5
	s_set_gpr_idx_on s14, gpr_idx(SRC0)
	v_mov_b32_e32 v144, v34
	s_set_gpr_idx_off
	s_add_i32 s16, s8, -4
	s_set_gpr_idx_on s15, gpr_idx(SRC0)
	v_mov_b32_e32 v145, v34
	s_set_gpr_idx_off
	;; [unrolled: 4-line block ×4, first 2 shown]
	ds_read2_b64 v[139:142], v132 offset0:2 offset1:3
	s_add_i32 s19, s8, -1
	s_waitcnt lgkmcnt(1)
	v_fmac_f32_e32 v131, v143, v135
	s_set_gpr_idx_on s18, gpr_idx(SRC0)
	v_mov_b32_e32 v135, v34
	s_set_gpr_idx_off
	v_fmac_f32_e32 v131, v144, v136
	s_set_gpr_idx_on s19, gpr_idx(SRC0)
	v_mov_b32_e32 v136, v34
	s_set_gpr_idx_off
	v_fmac_f32_e32 v131, v145, v137
	s_set_gpr_idx_on s8, gpr_idx(SRC0)
	v_mov_b32_e32 v137, v34
	s_set_gpr_idx_off
	v_fmac_f32_e32 v131, v146, v138
	s_add_u32 s8, s8, 8
	s_waitcnt lgkmcnt(0)
	v_fmac_f32_e32 v131, v147, v139
	v_add_u32_e32 v132, s8, v134
	v_fmac_f32_e32 v131, v135, v140
	s_addc_u32 s9, s9, 0
	s_add_i32 s12, s12, 32
	s_add_i32 s13, s8, -7
	v_cmp_eq_u32_e32 vcc, 9, v132
	v_fmac_f32_e32 v131, v136, v141
	v_mov_b32_e32 v132, s13
	s_or_b64 s[10:11], vcc, s[10:11]
	v_fmac_f32_e32 v131, v137, v142
	s_andn2_b64 exec, exec, s[10:11]
	s_cbranch_execnz .LBB31_457
; %bb.458:
	s_or_b64 exec, exec, s[10:11]
.LBB31_459:
	s_or_b64 exec, exec, s[0:1]
	v_and_b32_e32 v133, 7, v133
	v_cmp_ne_u32_e32 vcc, 0, v133
	s_and_saveexec_b64 s[8:9], vcc
	s_cbranch_execz .LBB31_463
; %bb.460:
	v_mov_b32_e32 v134, 0x80
	v_lshl_add_u32 v134, v132, 2, v134
	v_mov_b32_e32 v135, 0
	s_mov_b64 s[10:11], 0
.LBB31_461:                             ; =>This Inner Loop Header: Depth=1
	v_cmp_eq_u32_e32 vcc, 1, v132
	v_cndmask_b32_e32 v136, v34, v35, vcc
	v_add_u32_e32 v133, -1, v133
	v_cmp_eq_u32_e32 vcc, 2, v132
	v_cndmask_b32_e32 v136, v136, v36, vcc
	v_cmp_eq_u32_e32 vcc, 0, v133
	v_cmp_eq_u32_e64 s[0:1], 3, v132
	v_cndmask_b32_e64 v136, v136, v37, s[0:1]
	s_or_b64 s[10:11], vcc, s[10:11]
	v_cmp_eq_u32_e32 vcc, 4, v132
	v_cndmask_b32_e32 v136, v136, v38, vcc
	v_cmp_eq_u32_e32 vcc, 5, v132
	v_cndmask_b32_e32 v136, v136, v39, vcc
	;; [unrolled: 2-line block ×23, first 2 shown]
	v_cmp_eq_u32_e32 vcc, 27, v132
	ds_read_b32 v137, v134
	v_cndmask_b32_e32 v136, v136, v61, vcc
	v_cmp_eq_u32_e32 vcc, 28, v132
	v_cndmask_b32_e32 v136, v136, v62, vcc
	v_cmp_eq_u32_e32 vcc, 29, v132
	;; [unrolled: 2-line block ×4, first 2 shown]
	v_add_co_u32_e64 v132, s[0:1], 1, v132
	v_cndmask_b32_e32 v136, v136, v65, vcc
	v_add_u32_e32 v134, 4, v134
	v_addc_co_u32_e64 v135, s[0:1], 0, v135, s[0:1]
	s_waitcnt lgkmcnt(0)
	v_fmac_f32_e32 v131, v136, v137
	s_andn2_b64 exec, exec, s[10:11]
	s_cbranch_execnz .LBB31_461
; %bb.462:
	s_or_b64 exec, exec, s[10:11]
.LBB31_463:
	s_or_b64 exec, exec, s[8:9]
.LBB31_464:
	s_or_b64 exec, exec, s[6:7]
	v_mov_b32_e32 v35, 0
	ds_read_b32 v35, v35 offset:4
	s_waitcnt lgkmcnt(0)
	v_mul_f32_e32 v35, v131, v35
.LBB31_465:
	s_or_b64 exec, exec, s[4:5]
	v_cmp_ne_u32_e32 vcc, 0, v0
	ds_write_b32 v130, v34
	s_waitcnt lgkmcnt(0)
	; wave barrier
	s_and_saveexec_b64 s[4:5], vcc
	s_cbranch_execz .LBB31_481
; %bb.466:
	s_andn2_b64 vcc, exec, s[66:67]
	s_cbranch_vccnz .LBB31_468
; %bb.467:
	v_cmp_eq_u32_e32 vcc, 1, v0
	v_cndmask_b32_e32 v131, v34, v35, vcc
	v_cmp_eq_u32_e32 vcc, 2, v0
	v_cndmask_b32_e32 v131, v131, v36, vcc
	;; [unrolled: 2-line block ×27, first 2 shown]
	v_cmp_eq_u32_e32 vcc, 28, v0
	ds_read_b32 v132, v130
	v_cndmask_b32_e32 v131, v131, v62, vcc
	v_cmp_eq_u32_e32 vcc, 29, v0
	v_cndmask_b32_e32 v131, v131, v63, vcc
	v_cmp_eq_u32_e32 vcc, 30, v0
	;; [unrolled: 2-line block ×3, first 2 shown]
	v_cndmask_b32_e32 v131, v131, v65, vcc
	s_waitcnt lgkmcnt(0)
	v_mul_f32_e32 v131, v131, v132
	s_cbranch_execz .LBB31_469
	s_branch .LBB31_470
.LBB31_468:
                                        ; implicit-def: $vgpr131
.LBB31_469:
	ds_read_b32 v131, v130
.LBB31_470:
	s_and_saveexec_b64 s[6:7], s[2:3]
	s_cbranch_execz .LBB31_480
; %bb.471:
	v_add_u32_e32 v132, -2, v0
	v_add_u32_e32 v133, -1, v0
	v_cmp_lt_u32_e32 vcc, 6, v132
	v_mov_b32_e32 v132, 1
	s_and_saveexec_b64 s[0:1], vcc
	s_cbranch_execz .LBB31_475
; %bb.472:
	v_and_b32_e32 v132, -8, v133
	v_sub_u32_e32 v134, 0, v132
	s_mov_b64 s[2:3], 8
	s_movk_i32 s10, 0x84
	s_mov_b64 s[8:9], 0
.LBB31_473:                             ; =>This Inner Loop Header: Depth=1
	s_add_i32 s11, s2, -7
	v_mov_b32_e32 v132, s10
	s_add_i32 s12, s2, -6
	s_set_gpr_idx_on s11, gpr_idx(SRC0)
	v_mov_b32_e32 v141, v34
	s_set_gpr_idx_off
	ds_read2_b32 v[135:136], v132 offset1:1
	s_add_i32 s13, s2, -5
	s_set_gpr_idx_on s12, gpr_idx(SRC0)
	v_mov_b32_e32 v142, v34
	s_set_gpr_idx_off
	s_add_i32 s14, s2, -4
	s_set_gpr_idx_on s13, gpr_idx(SRC0)
	v_mov_b32_e32 v143, v34
	s_set_gpr_idx_off
	ds_read2_b32 v[137:138], v132 offset0:2 offset1:3
	s_add_i32 s15, s2, -3
	s_set_gpr_idx_on s14, gpr_idx(SRC0)
	v_mov_b32_e32 v144, v34
	s_set_gpr_idx_off
	s_add_i32 s16, s2, -2
	s_set_gpr_idx_on s15, gpr_idx(SRC0)
	v_mov_b32_e32 v145, v34
	s_set_gpr_idx_off
	ds_read2_b32 v[139:140], v132 offset0:4 offset1:5
	s_add_i32 s17, s2, -1
	s_waitcnt lgkmcnt(2)
	v_fmac_f32_e32 v131, v141, v135
	s_set_gpr_idx_on s16, gpr_idx(SRC0)
	v_mov_b32_e32 v141, v34
	s_set_gpr_idx_off
	v_fmac_f32_e32 v131, v142, v136
	s_set_gpr_idx_on s17, gpr_idx(SRC0)
	v_mov_b32_e32 v142, v34
	s_set_gpr_idx_off
	ds_read2_b32 v[135:136], v132 offset0:6 offset1:7
	s_waitcnt lgkmcnt(2)
	v_fmac_f32_e32 v131, v143, v137
	s_set_gpr_idx_on s2, gpr_idx(SRC0)
	v_mov_b32_e32 v137, v34
	s_set_gpr_idx_off
	v_fmac_f32_e32 v131, v144, v138
	s_add_u32 s2, s2, 8
	s_waitcnt lgkmcnt(1)
	v_fmac_f32_e32 v131, v145, v139
	v_add_u32_e32 v132, s2, v134
	v_fmac_f32_e32 v131, v141, v140
	s_addc_u32 s3, s3, 0
	s_add_i32 s10, s10, 32
	s_add_i32 s11, s2, -7
	v_cmp_eq_u32_e32 vcc, 8, v132
	s_waitcnt lgkmcnt(0)
	v_fmac_f32_e32 v131, v142, v135
	v_mov_b32_e32 v132, s11
	s_or_b64 s[8:9], vcc, s[8:9]
	v_fmac_f32_e32 v131, v137, v136
	s_andn2_b64 exec, exec, s[8:9]
	s_cbranch_execnz .LBB31_473
; %bb.474:
	s_or_b64 exec, exec, s[8:9]
.LBB31_475:
	s_or_b64 exec, exec, s[0:1]
	v_and_b32_e32 v133, 7, v133
	v_cmp_ne_u32_e32 vcc, 0, v133
	s_and_saveexec_b64 s[2:3], vcc
	s_cbranch_execz .LBB31_479
; %bb.476:
	v_mov_b32_e32 v134, 0x80
	v_lshl_add_u32 v134, v132, 2, v134
	v_mov_b32_e32 v135, 0
	s_mov_b64 s[8:9], 0
.LBB31_477:                             ; =>This Inner Loop Header: Depth=1
	v_cmp_eq_u32_e32 vcc, 1, v132
	v_cndmask_b32_e32 v136, v34, v35, vcc
	v_add_u32_e32 v133, -1, v133
	v_cmp_eq_u32_e32 vcc, 2, v132
	v_cndmask_b32_e32 v136, v136, v36, vcc
	v_cmp_eq_u32_e32 vcc, 0, v133
	v_cmp_eq_u32_e64 s[0:1], 3, v132
	v_cndmask_b32_e64 v136, v136, v37, s[0:1]
	s_or_b64 s[8:9], vcc, s[8:9]
	v_cmp_eq_u32_e32 vcc, 4, v132
	v_cndmask_b32_e32 v136, v136, v38, vcc
	v_cmp_eq_u32_e32 vcc, 5, v132
	v_cndmask_b32_e32 v136, v136, v39, vcc
	;; [unrolled: 2-line block ×23, first 2 shown]
	v_cmp_eq_u32_e32 vcc, 27, v132
	ds_read_b32 v137, v134
	v_cndmask_b32_e32 v136, v136, v61, vcc
	v_cmp_eq_u32_e32 vcc, 28, v132
	v_cndmask_b32_e32 v136, v136, v62, vcc
	v_cmp_eq_u32_e32 vcc, 29, v132
	;; [unrolled: 2-line block ×4, first 2 shown]
	v_add_co_u32_e64 v132, s[0:1], 1, v132
	v_cndmask_b32_e32 v136, v136, v65, vcc
	v_add_u32_e32 v134, 4, v134
	v_addc_co_u32_e64 v135, s[0:1], 0, v135, s[0:1]
	s_waitcnt lgkmcnt(0)
	v_fmac_f32_e32 v131, v136, v137
	s_andn2_b64 exec, exec, s[8:9]
	s_cbranch_execnz .LBB31_477
; %bb.478:
	s_or_b64 exec, exec, s[8:9]
.LBB31_479:
	s_or_b64 exec, exec, s[2:3]
.LBB31_480:
	s_or_b64 exec, exec, s[6:7]
	v_mov_b32_e32 v34, 0
	ds_read_b32 v34, v34
	s_waitcnt lgkmcnt(0)
	v_mul_f32_e32 v34, v131, v34
.LBB31_481:
	s_or_b64 exec, exec, s[4:5]
	s_branch .LBB31_795
.LBB31_482:
	v_cmp_eq_u32_e64 s[2:3], 0, v0
	s_waitcnt vmcnt(31)
	ds_write_b32 v130, v3
	s_waitcnt lgkmcnt(0)
	; wave barrier
	s_and_saveexec_b64 s[0:1], s[2:3]
	s_cbranch_execz .LBB31_488
; %bb.483:
	s_and_b64 vcc, exec, s[66:67]
	s_cbranch_vccz .LBB31_485
; %bb.484:
	v_cmp_eq_u32_e32 vcc, 1, v0
	s_waitcnt vmcnt(7)
	v_cndmask_b32_e32 v3, v2, v3, vcc
	v_cmp_eq_u32_e32 vcc, 2, v0
	v_cndmask_b32_e32 v3, v3, v4, vcc
	v_cmp_eq_u32_e32 vcc, 3, v0
	;; [unrolled: 2-line block ×24, first 2 shown]
	s_waitcnt vmcnt(6)
	v_cndmask_b32_e32 v3, v3, v27, vcc
	v_cmp_eq_u32_e32 vcc, 26, v0
	s_waitcnt vmcnt(5)
	v_cndmask_b32_e32 v3, v3, v28, vcc
	v_cmp_eq_u32_e32 vcc, 27, v0
	;; [unrolled: 3-line block ×3, first 2 shown]
	ds_read_b32 v34, v130
	s_waitcnt vmcnt(3)
	v_cndmask_b32_e32 v3, v3, v30, vcc
	v_cmp_eq_u32_e32 vcc, 29, v0
	s_waitcnt vmcnt(2)
	v_cndmask_b32_e32 v3, v3, v31, vcc
	v_cmp_eq_u32_e32 vcc, 30, v0
	;; [unrolled: 3-line block ×3, first 2 shown]
	s_waitcnt vmcnt(0)
	v_cndmask_b32_e32 v3, v3, v33, vcc
	s_waitcnt lgkmcnt(0)
	v_mul_f32_e32 v3, v3, v34
	s_cbranch_execz .LBB31_486
	s_branch .LBB31_487
.LBB31_485:
                                        ; implicit-def: $vgpr3
.LBB31_486:
	ds_read_b32 v3, v130
.LBB31_487:
	v_mov_b32_e32 v34, 0
	ds_read_b32 v34, v34 offset:4
	s_waitcnt lgkmcnt(0)
	v_mul_f32_e32 v3, v3, v34
.LBB31_488:
	s_or_b64 exec, exec, s[0:1]
	v_cndmask_b32_e64 v34, 0, 1, s[66:67]
	v_cmp_gt_u32_e32 vcc, 2, v0
	v_cmp_ne_u32_e64 s[0:1], 1, v34
	s_waitcnt vmcnt(30)
	ds_write_b32 v130, v4
	s_waitcnt lgkmcnt(0)
	; wave barrier
	s_and_saveexec_b64 s[4:5], vcc
	s_cbranch_execz .LBB31_494
; %bb.489:
	s_and_b64 vcc, exec, s[0:1]
	s_cbranch_vccnz .LBB31_491
; %bb.490:
	v_cmp_eq_u32_e32 vcc, 1, v0
	s_waitcnt vmcnt(7)
	v_cndmask_b32_e32 v34, v2, v3, vcc
	v_cmp_eq_u32_e32 vcc, 2, v0
	v_cndmask_b32_e32 v4, v34, v4, vcc
	v_cmp_eq_u32_e32 vcc, 3, v0
	;; [unrolled: 2-line block ×24, first 2 shown]
	s_waitcnt vmcnt(6)
	v_cndmask_b32_e32 v4, v4, v27, vcc
	v_cmp_eq_u32_e32 vcc, 26, v0
	s_waitcnt vmcnt(5)
	v_cndmask_b32_e32 v4, v4, v28, vcc
	v_cmp_eq_u32_e32 vcc, 27, v0
	;; [unrolled: 3-line block ×3, first 2 shown]
	ds_read_b32 v34, v130
	s_waitcnt vmcnt(3)
	v_cndmask_b32_e32 v4, v4, v30, vcc
	v_cmp_eq_u32_e32 vcc, 29, v0
	s_waitcnt vmcnt(2)
	v_cndmask_b32_e32 v4, v4, v31, vcc
	v_cmp_eq_u32_e32 vcc, 30, v0
	;; [unrolled: 3-line block ×3, first 2 shown]
	s_waitcnt vmcnt(0)
	v_cndmask_b32_e32 v4, v4, v33, vcc
	s_waitcnt lgkmcnt(0)
	v_mul_f32_e32 v4, v4, v34
	s_cbranch_execz .LBB31_492
	s_branch .LBB31_493
.LBB31_491:
                                        ; implicit-def: $vgpr4
.LBB31_492:
	ds_read_b32 v4, v130
.LBB31_493:
	v_mov_b32_e32 v34, 0
	ds_read2_b32 v[34:35], v34 offset0:2 offset1:33
	s_waitcnt lgkmcnt(0)
	v_fma_f32 v35, v3, v35, v4
	v_cndmask_b32_e64 v4, v4, v35, s[2:3]
	v_mul_f32_e32 v4, v4, v34
.LBB31_494:
	s_or_b64 exec, exec, s[4:5]
	v_add_u32_e32 v36, 1, v0
	v_cmp_gt_u32_e64 s[4:5], 3, v0
	s_waitcnt vmcnt(29)
	ds_write_b32 v130, v5
	s_waitcnt lgkmcnt(0)
	; wave barrier
	s_and_saveexec_b64 s[6:7], s[4:5]
	s_cbranch_execz .LBB31_502
; %bb.495:
	s_and_b64 vcc, exec, s[0:1]
	s_cbranch_vccnz .LBB31_497
; %bb.496:
	v_cmp_eq_u32_e32 vcc, 1, v0
	s_waitcnt vmcnt(7)
	v_cndmask_b32_e32 v34, v2, v3, vcc
	v_cmp_eq_u32_e32 vcc, 2, v0
	v_cndmask_b32_e32 v34, v34, v4, vcc
	v_cmp_eq_u32_e32 vcc, 3, v0
	;; [unrolled: 2-line block ×24, first 2 shown]
	s_waitcnt vmcnt(6)
	v_cndmask_b32_e32 v34, v34, v27, vcc
	v_cmp_eq_u32_e32 vcc, 26, v0
	s_waitcnt vmcnt(5)
	v_cndmask_b32_e32 v34, v34, v28, vcc
	v_cmp_eq_u32_e32 vcc, 27, v0
	;; [unrolled: 3-line block ×3, first 2 shown]
	ds_read_b32 v35, v130
	s_waitcnt vmcnt(3)
	v_cndmask_b32_e32 v34, v34, v30, vcc
	v_cmp_eq_u32_e32 vcc, 29, v0
	s_waitcnt vmcnt(2)
	v_cndmask_b32_e32 v34, v34, v31, vcc
	v_cmp_eq_u32_e32 vcc, 30, v0
	;; [unrolled: 3-line block ×3, first 2 shown]
	s_waitcnt vmcnt(0)
	v_cndmask_b32_e32 v34, v34, v33, vcc
	s_waitcnt lgkmcnt(0)
	v_mul_f32_e32 v34, v34, v35
	s_cbranch_execz .LBB31_498
	s_branch .LBB31_499
.LBB31_497:
                                        ; implicit-def: $vgpr34
.LBB31_498:
	ds_read_b32 v34, v130
.LBB31_499:
	v_cmp_ne_u32_e32 vcc, 2, v0
	s_and_saveexec_b64 s[8:9], vcc
	s_cbranch_execz .LBB31_501
; %bb.500:
	v_cmp_eq_u32_e32 vcc, 1, v36
	s_waitcnt vmcnt(7)
	v_cndmask_b32_e32 v35, v2, v3, vcc
	v_cmp_eq_u32_e32 vcc, 2, v36
	v_cndmask_b32_e32 v35, v35, v4, vcc
	v_cmp_eq_u32_e32 vcc, 3, v36
	;; [unrolled: 2-line block ×24, first 2 shown]
	s_waitcnt vmcnt(6)
	v_cndmask_b32_e32 v5, v5, v27, vcc
	v_cmp_eq_u32_e32 vcc, 26, v36
	s_waitcnt vmcnt(5)
	v_cndmask_b32_e32 v5, v5, v28, vcc
	v_cmp_eq_u32_e32 vcc, 27, v36
	;; [unrolled: 3-line block ×3, first 2 shown]
	v_mov_b32_e32 v35, 0
	s_waitcnt vmcnt(3)
	v_cndmask_b32_e32 v5, v5, v30, vcc
	v_cmp_eq_u32_e32 vcc, 29, v36
	ds_read_b32 v37, v130 offset:4
	ds_read_b32 v35, v35 offset:136
	s_waitcnt vmcnt(2)
	v_cndmask_b32_e32 v5, v5, v31, vcc
	v_cmp_eq_u32_e32 vcc, 30, v36
	s_waitcnt vmcnt(1)
	v_cndmask_b32_e32 v5, v5, v32, vcc
	v_cmp_eq_u32_e32 vcc, 31, v36
	s_waitcnt vmcnt(0)
	v_cndmask_b32_e32 v5, v5, v33, vcc
	s_waitcnt lgkmcnt(1)
	v_fmac_f32_e32 v34, v5, v37
	s_waitcnt lgkmcnt(0)
	v_fma_f32 v5, v4, v35, v34
	v_cndmask_b32_e64 v34, v34, v5, s[2:3]
.LBB31_501:
	s_or_b64 exec, exec, s[8:9]
	v_mov_b32_e32 v5, 0
	ds_read_b32 v5, v5 offset:12
	s_waitcnt lgkmcnt(0)
	v_mul_f32_e32 v5, v34, v5
.LBB31_502:
	s_or_b64 exec, exec, s[6:7]
	v_cmp_gt_u32_e32 vcc, 4, v0
	s_waitcnt vmcnt(28)
	ds_write_b32 v130, v6
	s_waitcnt lgkmcnt(0)
	; wave barrier
	s_and_saveexec_b64 s[8:9], vcc
	s_cbranch_execz .LBB31_512
; %bb.503:
	s_and_b64 vcc, exec, s[0:1]
	s_cbranch_vccnz .LBB31_505
; %bb.504:
	v_cmp_eq_u32_e32 vcc, 1, v0
	s_waitcnt vmcnt(7)
	v_cndmask_b32_e32 v34, v2, v3, vcc
	v_cmp_eq_u32_e32 vcc, 2, v0
	v_cndmask_b32_e32 v34, v34, v4, vcc
	v_cmp_eq_u32_e32 vcc, 3, v0
	;; [unrolled: 2-line block ×24, first 2 shown]
	s_waitcnt vmcnt(6)
	v_cndmask_b32_e32 v34, v34, v27, vcc
	v_cmp_eq_u32_e32 vcc, 26, v0
	s_waitcnt vmcnt(5)
	v_cndmask_b32_e32 v34, v34, v28, vcc
	v_cmp_eq_u32_e32 vcc, 27, v0
	;; [unrolled: 3-line block ×3, first 2 shown]
	ds_read_b32 v35, v130
	s_waitcnt vmcnt(3)
	v_cndmask_b32_e32 v34, v34, v30, vcc
	v_cmp_eq_u32_e32 vcc, 29, v0
	s_waitcnt vmcnt(2)
	v_cndmask_b32_e32 v34, v34, v31, vcc
	v_cmp_eq_u32_e32 vcc, 30, v0
	;; [unrolled: 3-line block ×3, first 2 shown]
	s_waitcnt vmcnt(0)
	v_cndmask_b32_e32 v34, v34, v33, vcc
	s_waitcnt lgkmcnt(0)
	v_mul_f32_e32 v37, v34, v35
	s_cbranch_execz .LBB31_506
	s_branch .LBB31_507
.LBB31_505:
                                        ; implicit-def: $vgpr37
.LBB31_506:
	ds_read_b32 v37, v130
.LBB31_507:
	v_cmp_ne_u32_e32 vcc, 3, v0
	s_and_saveexec_b64 s[10:11], vcc
	s_cbranch_execz .LBB31_511
; %bb.508:
	v_mov_b32_e32 v34, 0x84
	v_lshl_add_u32 v38, v0, 2, v34
	v_mov_b32_e32 v35, v1
	s_mov_b64 s[12:13], 0
	v_mov_b32_e32 v34, v0
.LBB31_509:                             ; =>This Inner Loop Header: Depth=1
	v_add_co_u32_e32 v34, vcc, 1, v34
	v_addc_co_u32_e32 v35, vcc, 0, v35, vcc
	v_cmp_eq_u32_e32 vcc, 1, v34
	s_waitcnt vmcnt(7)
	v_cndmask_b32_e32 v40, v2, v3, vcc
	v_cmp_lt_u32_e32 vcc, 2, v34
	v_cmp_eq_u32_e64 s[6:7], 2, v34
	v_cndmask_b32_e64 v40, v40, v4, s[6:7]
	s_or_b64 s[12:13], vcc, s[12:13]
	v_cmp_eq_u32_e32 vcc, 3, v34
	v_cndmask_b32_e32 v40, v40, v5, vcc
	v_cmp_eq_u32_e32 vcc, 4, v34
	v_cndmask_b32_e32 v40, v40, v6, vcc
	;; [unrolled: 2-line block ×22, first 2 shown]
	v_cmp_eq_u32_e32 vcc, 25, v34
	s_waitcnt vmcnt(6)
	v_cndmask_b32_e32 v40, v40, v27, vcc
	v_cmp_eq_u32_e32 vcc, 26, v34
	s_waitcnt vmcnt(5)
	v_cndmask_b32_e32 v40, v40, v28, vcc
	v_cmp_eq_u32_e32 vcc, 27, v34
	ds_read_b32 v39, v38
	s_waitcnt vmcnt(4)
	v_cndmask_b32_e32 v40, v40, v29, vcc
	v_cmp_eq_u32_e32 vcc, 28, v34
	s_waitcnt vmcnt(3)
	v_cndmask_b32_e32 v40, v40, v30, vcc
	v_cmp_eq_u32_e32 vcc, 29, v34
	;; [unrolled: 3-line block ×4, first 2 shown]
	s_waitcnt vmcnt(0)
	v_cndmask_b32_e32 v40, v40, v33, vcc
	v_add_u32_e32 v38, 4, v38
	s_waitcnt lgkmcnt(0)
	v_fmac_f32_e32 v37, v40, v39
	s_andn2_b64 exec, exec, s[12:13]
	s_cbranch_execnz .LBB31_509
; %bb.510:
	s_or_b64 exec, exec, s[12:13]
.LBB31_511:
	s_or_b64 exec, exec, s[10:11]
	v_mov_b32_e32 v6, 0
	ds_read_b32 v6, v6 offset:16
	s_waitcnt lgkmcnt(0)
	v_mul_f32_e32 v6, v37, v6
.LBB31_512:
	s_or_b64 exec, exec, s[8:9]
	v_cmp_gt_u32_e64 s[6:7], 5, v0
	s_waitcnt vmcnt(27)
	ds_write_b32 v130, v7
	s_waitcnt lgkmcnt(0)
	; wave barrier
	s_and_saveexec_b64 s[10:11], s[6:7]
	s_cbranch_execz .LBB31_522
; %bb.513:
	s_and_b64 vcc, exec, s[0:1]
	s_cbranch_vccnz .LBB31_515
; %bb.514:
	v_cmp_eq_u32_e32 vcc, 1, v0
	s_waitcnt vmcnt(7)
	v_cndmask_b32_e32 v34, v2, v3, vcc
	v_cmp_eq_u32_e32 vcc, 2, v0
	v_cndmask_b32_e32 v34, v34, v4, vcc
	v_cmp_eq_u32_e32 vcc, 3, v0
	;; [unrolled: 2-line block ×24, first 2 shown]
	s_waitcnt vmcnt(6)
	v_cndmask_b32_e32 v34, v34, v27, vcc
	v_cmp_eq_u32_e32 vcc, 26, v0
	s_waitcnt vmcnt(5)
	v_cndmask_b32_e32 v34, v34, v28, vcc
	v_cmp_eq_u32_e32 vcc, 27, v0
	;; [unrolled: 3-line block ×3, first 2 shown]
	ds_read_b32 v35, v130
	s_waitcnt vmcnt(3)
	v_cndmask_b32_e32 v34, v34, v30, vcc
	v_cmp_eq_u32_e32 vcc, 29, v0
	s_waitcnt vmcnt(2)
	v_cndmask_b32_e32 v34, v34, v31, vcc
	v_cmp_eq_u32_e32 vcc, 30, v0
	;; [unrolled: 3-line block ×3, first 2 shown]
	s_waitcnt vmcnt(0)
	v_cndmask_b32_e32 v34, v34, v33, vcc
	s_waitcnt lgkmcnt(0)
	v_mul_f32_e32 v37, v34, v35
	s_cbranch_execz .LBB31_516
	s_branch .LBB31_517
.LBB31_515:
                                        ; implicit-def: $vgpr37
.LBB31_516:
	ds_read_b32 v37, v130
.LBB31_517:
	v_cmp_ne_u32_e32 vcc, 4, v0
	s_and_saveexec_b64 s[12:13], vcc
	s_cbranch_execz .LBB31_521
; %bb.518:
	v_mov_b32_e32 v34, 0x84
	v_lshl_add_u32 v38, v0, 2, v34
	v_mov_b32_e32 v35, v1
	s_mov_b64 s[14:15], 0
	v_mov_b32_e32 v34, v0
.LBB31_519:                             ; =>This Inner Loop Header: Depth=1
	v_add_co_u32_e32 v34, vcc, 1, v34
	v_addc_co_u32_e32 v35, vcc, 0, v35, vcc
	v_cmp_eq_u32_e32 vcc, 1, v34
	s_waitcnt vmcnt(7)
	v_cndmask_b32_e32 v40, v2, v3, vcc
	v_cmp_lt_u32_e32 vcc, 3, v34
	v_cmp_eq_u32_e64 s[8:9], 2, v34
	v_cndmask_b32_e64 v40, v40, v4, s[8:9]
	s_or_b64 s[14:15], vcc, s[14:15]
	v_cmp_eq_u32_e32 vcc, 3, v34
	v_cndmask_b32_e32 v40, v40, v5, vcc
	v_cmp_eq_u32_e32 vcc, 4, v34
	v_cndmask_b32_e32 v40, v40, v6, vcc
	;; [unrolled: 2-line block ×22, first 2 shown]
	v_cmp_eq_u32_e32 vcc, 25, v34
	s_waitcnt vmcnt(6)
	v_cndmask_b32_e32 v40, v40, v27, vcc
	v_cmp_eq_u32_e32 vcc, 26, v34
	s_waitcnt vmcnt(5)
	v_cndmask_b32_e32 v40, v40, v28, vcc
	v_cmp_eq_u32_e32 vcc, 27, v34
	ds_read_b32 v39, v38
	s_waitcnt vmcnt(4)
	v_cndmask_b32_e32 v40, v40, v29, vcc
	v_cmp_eq_u32_e32 vcc, 28, v34
	s_waitcnt vmcnt(3)
	v_cndmask_b32_e32 v40, v40, v30, vcc
	v_cmp_eq_u32_e32 vcc, 29, v34
	;; [unrolled: 3-line block ×4, first 2 shown]
	s_waitcnt vmcnt(0)
	v_cndmask_b32_e32 v40, v40, v33, vcc
	v_add_u32_e32 v38, 4, v38
	s_waitcnt lgkmcnt(0)
	v_fmac_f32_e32 v37, v40, v39
	s_andn2_b64 exec, exec, s[14:15]
	s_cbranch_execnz .LBB31_519
; %bb.520:
	s_or_b64 exec, exec, s[14:15]
.LBB31_521:
	s_or_b64 exec, exec, s[12:13]
	v_mov_b32_e32 v7, 0
	ds_read_b32 v7, v7 offset:20
	s_waitcnt lgkmcnt(0)
	v_mul_f32_e32 v7, v37, v7
.LBB31_522:
	s_or_b64 exec, exec, s[10:11]
	v_cmp_gt_u32_e32 vcc, 6, v0
	s_waitcnt vmcnt(26)
	ds_write_b32 v130, v8
	s_waitcnt lgkmcnt(0)
	; wave barrier
	s_and_saveexec_b64 s[10:11], vcc
	s_cbranch_execz .LBB31_532
; %bb.523:
	s_and_b64 vcc, exec, s[0:1]
	s_cbranch_vccnz .LBB31_525
; %bb.524:
	v_cmp_eq_u32_e32 vcc, 1, v0
	s_waitcnt vmcnt(7)
	v_cndmask_b32_e32 v34, v2, v3, vcc
	v_cmp_eq_u32_e32 vcc, 2, v0
	v_cndmask_b32_e32 v34, v34, v4, vcc
	v_cmp_eq_u32_e32 vcc, 3, v0
	;; [unrolled: 2-line block ×24, first 2 shown]
	s_waitcnt vmcnt(6)
	v_cndmask_b32_e32 v34, v34, v27, vcc
	v_cmp_eq_u32_e32 vcc, 26, v0
	s_waitcnt vmcnt(5)
	v_cndmask_b32_e32 v34, v34, v28, vcc
	v_cmp_eq_u32_e32 vcc, 27, v0
	;; [unrolled: 3-line block ×3, first 2 shown]
	ds_read_b32 v35, v130
	s_waitcnt vmcnt(3)
	v_cndmask_b32_e32 v34, v34, v30, vcc
	v_cmp_eq_u32_e32 vcc, 29, v0
	s_waitcnt vmcnt(2)
	v_cndmask_b32_e32 v34, v34, v31, vcc
	v_cmp_eq_u32_e32 vcc, 30, v0
	;; [unrolled: 3-line block ×3, first 2 shown]
	s_waitcnt vmcnt(0)
	v_cndmask_b32_e32 v34, v34, v33, vcc
	s_waitcnt lgkmcnt(0)
	v_mul_f32_e32 v37, v34, v35
	s_cbranch_execz .LBB31_526
	s_branch .LBB31_527
.LBB31_525:
                                        ; implicit-def: $vgpr37
.LBB31_526:
	ds_read_b32 v37, v130
.LBB31_527:
	v_cmp_ne_u32_e32 vcc, 5, v0
	s_and_saveexec_b64 s[12:13], vcc
	s_cbranch_execz .LBB31_531
; %bb.528:
	v_mov_b32_e32 v34, 0x84
	v_lshl_add_u32 v38, v0, 2, v34
	v_mov_b32_e32 v35, v1
	s_mov_b64 s[14:15], 0
	v_mov_b32_e32 v34, v0
.LBB31_529:                             ; =>This Inner Loop Header: Depth=1
	v_add_co_u32_e32 v34, vcc, 1, v34
	v_addc_co_u32_e32 v35, vcc, 0, v35, vcc
	v_cmp_eq_u32_e32 vcc, 1, v34
	s_waitcnt vmcnt(7)
	v_cndmask_b32_e32 v40, v2, v3, vcc
	v_cmp_lt_u32_e32 vcc, 4, v34
	v_cmp_eq_u32_e64 s[8:9], 2, v34
	v_cndmask_b32_e64 v40, v40, v4, s[8:9]
	s_or_b64 s[14:15], vcc, s[14:15]
	v_cmp_eq_u32_e32 vcc, 3, v34
	v_cndmask_b32_e32 v40, v40, v5, vcc
	v_cmp_eq_u32_e32 vcc, 4, v34
	v_cndmask_b32_e32 v40, v40, v6, vcc
	;; [unrolled: 2-line block ×22, first 2 shown]
	v_cmp_eq_u32_e32 vcc, 25, v34
	s_waitcnt vmcnt(6)
	v_cndmask_b32_e32 v40, v40, v27, vcc
	v_cmp_eq_u32_e32 vcc, 26, v34
	s_waitcnt vmcnt(5)
	v_cndmask_b32_e32 v40, v40, v28, vcc
	v_cmp_eq_u32_e32 vcc, 27, v34
	ds_read_b32 v39, v38
	s_waitcnt vmcnt(4)
	v_cndmask_b32_e32 v40, v40, v29, vcc
	v_cmp_eq_u32_e32 vcc, 28, v34
	s_waitcnt vmcnt(3)
	v_cndmask_b32_e32 v40, v40, v30, vcc
	v_cmp_eq_u32_e32 vcc, 29, v34
	s_waitcnt vmcnt(2)
	v_cndmask_b32_e32 v40, v40, v31, vcc
	v_cmp_eq_u32_e32 vcc, 30, v34
	s_waitcnt vmcnt(1)
	v_cndmask_b32_e32 v40, v40, v32, vcc
	v_cmp_eq_u32_e32 vcc, 31, v34
	s_waitcnt vmcnt(0)
	v_cndmask_b32_e32 v40, v40, v33, vcc
	v_add_u32_e32 v38, 4, v38
	s_waitcnt lgkmcnt(0)
	v_fmac_f32_e32 v37, v40, v39
	s_andn2_b64 exec, exec, s[14:15]
	s_cbranch_execnz .LBB31_529
; %bb.530:
	s_or_b64 exec, exec, s[14:15]
.LBB31_531:
	s_or_b64 exec, exec, s[12:13]
	v_mov_b32_e32 v8, 0
	ds_read_b32 v8, v8 offset:24
	s_waitcnt lgkmcnt(0)
	v_mul_f32_e32 v8, v37, v8
.LBB31_532:
	s_or_b64 exec, exec, s[10:11]
	v_cmp_gt_u32_e64 s[8:9], 7, v0
	s_waitcnt vmcnt(25)
	ds_write_b32 v130, v9
	s_waitcnt lgkmcnt(0)
	; wave barrier
	s_and_saveexec_b64 s[12:13], s[8:9]
	s_cbranch_execz .LBB31_542
; %bb.533:
	s_and_b64 vcc, exec, s[0:1]
	s_cbranch_vccnz .LBB31_535
; %bb.534:
	v_cmp_eq_u32_e32 vcc, 1, v0
	s_waitcnt vmcnt(7)
	v_cndmask_b32_e32 v34, v2, v3, vcc
	v_cmp_eq_u32_e32 vcc, 2, v0
	v_cndmask_b32_e32 v34, v34, v4, vcc
	v_cmp_eq_u32_e32 vcc, 3, v0
	;; [unrolled: 2-line block ×24, first 2 shown]
	s_waitcnt vmcnt(6)
	v_cndmask_b32_e32 v34, v34, v27, vcc
	v_cmp_eq_u32_e32 vcc, 26, v0
	s_waitcnt vmcnt(5)
	v_cndmask_b32_e32 v34, v34, v28, vcc
	v_cmp_eq_u32_e32 vcc, 27, v0
	;; [unrolled: 3-line block ×3, first 2 shown]
	ds_read_b32 v35, v130
	s_waitcnt vmcnt(3)
	v_cndmask_b32_e32 v34, v34, v30, vcc
	v_cmp_eq_u32_e32 vcc, 29, v0
	s_waitcnt vmcnt(2)
	v_cndmask_b32_e32 v34, v34, v31, vcc
	v_cmp_eq_u32_e32 vcc, 30, v0
	;; [unrolled: 3-line block ×3, first 2 shown]
	s_waitcnt vmcnt(0)
	v_cndmask_b32_e32 v34, v34, v33, vcc
	s_waitcnt lgkmcnt(0)
	v_mul_f32_e32 v37, v34, v35
	s_cbranch_execz .LBB31_536
	s_branch .LBB31_537
.LBB31_535:
                                        ; implicit-def: $vgpr37
.LBB31_536:
	ds_read_b32 v37, v130
.LBB31_537:
	v_cmp_ne_u32_e32 vcc, 6, v0
	s_and_saveexec_b64 s[14:15], vcc
	s_cbranch_execz .LBB31_541
; %bb.538:
	v_mov_b32_e32 v34, 0x84
	v_lshl_add_u32 v38, v0, 2, v34
	v_mov_b32_e32 v35, v1
	s_mov_b64 s[16:17], 0
	v_mov_b32_e32 v34, v0
.LBB31_539:                             ; =>This Inner Loop Header: Depth=1
	v_add_co_u32_e32 v34, vcc, 1, v34
	v_addc_co_u32_e32 v35, vcc, 0, v35, vcc
	v_cmp_eq_u32_e32 vcc, 1, v34
	s_waitcnt vmcnt(7)
	v_cndmask_b32_e32 v40, v2, v3, vcc
	v_cmp_lt_u32_e32 vcc, 5, v34
	v_cmp_eq_u32_e64 s[10:11], 2, v34
	v_cndmask_b32_e64 v40, v40, v4, s[10:11]
	s_or_b64 s[16:17], vcc, s[16:17]
	v_cmp_eq_u32_e32 vcc, 3, v34
	v_cndmask_b32_e32 v40, v40, v5, vcc
	v_cmp_eq_u32_e32 vcc, 4, v34
	v_cndmask_b32_e32 v40, v40, v6, vcc
	;; [unrolled: 2-line block ×22, first 2 shown]
	v_cmp_eq_u32_e32 vcc, 25, v34
	s_waitcnt vmcnt(6)
	v_cndmask_b32_e32 v40, v40, v27, vcc
	v_cmp_eq_u32_e32 vcc, 26, v34
	s_waitcnt vmcnt(5)
	v_cndmask_b32_e32 v40, v40, v28, vcc
	v_cmp_eq_u32_e32 vcc, 27, v34
	ds_read_b32 v39, v38
	s_waitcnt vmcnt(4)
	v_cndmask_b32_e32 v40, v40, v29, vcc
	v_cmp_eq_u32_e32 vcc, 28, v34
	s_waitcnt vmcnt(3)
	v_cndmask_b32_e32 v40, v40, v30, vcc
	v_cmp_eq_u32_e32 vcc, 29, v34
	;; [unrolled: 3-line block ×4, first 2 shown]
	s_waitcnt vmcnt(0)
	v_cndmask_b32_e32 v40, v40, v33, vcc
	v_add_u32_e32 v38, 4, v38
	s_waitcnt lgkmcnt(0)
	v_fmac_f32_e32 v37, v40, v39
	s_andn2_b64 exec, exec, s[16:17]
	s_cbranch_execnz .LBB31_539
; %bb.540:
	s_or_b64 exec, exec, s[16:17]
.LBB31_541:
	s_or_b64 exec, exec, s[14:15]
	v_mov_b32_e32 v9, 0
	ds_read_b32 v9, v9 offset:28
	s_waitcnt lgkmcnt(0)
	v_mul_f32_e32 v9, v37, v9
.LBB31_542:
	s_or_b64 exec, exec, s[12:13]
	v_cmp_gt_u32_e32 vcc, 8, v0
	s_waitcnt vmcnt(24)
	ds_write_b32 v130, v10
	s_waitcnt lgkmcnt(0)
	; wave barrier
	s_and_saveexec_b64 s[12:13], vcc
	s_cbranch_execz .LBB31_552
; %bb.543:
	s_and_b64 vcc, exec, s[0:1]
	s_cbranch_vccnz .LBB31_545
; %bb.544:
	v_cmp_eq_u32_e32 vcc, 1, v0
	s_waitcnt vmcnt(7)
	v_cndmask_b32_e32 v34, v2, v3, vcc
	v_cmp_eq_u32_e32 vcc, 2, v0
	v_cndmask_b32_e32 v34, v34, v4, vcc
	v_cmp_eq_u32_e32 vcc, 3, v0
	;; [unrolled: 2-line block ×24, first 2 shown]
	s_waitcnt vmcnt(6)
	v_cndmask_b32_e32 v34, v34, v27, vcc
	v_cmp_eq_u32_e32 vcc, 26, v0
	s_waitcnt vmcnt(5)
	v_cndmask_b32_e32 v34, v34, v28, vcc
	v_cmp_eq_u32_e32 vcc, 27, v0
	;; [unrolled: 3-line block ×3, first 2 shown]
	ds_read_b32 v35, v130
	s_waitcnt vmcnt(3)
	v_cndmask_b32_e32 v34, v34, v30, vcc
	v_cmp_eq_u32_e32 vcc, 29, v0
	s_waitcnt vmcnt(2)
	v_cndmask_b32_e32 v34, v34, v31, vcc
	v_cmp_eq_u32_e32 vcc, 30, v0
	;; [unrolled: 3-line block ×3, first 2 shown]
	s_waitcnt vmcnt(0)
	v_cndmask_b32_e32 v34, v34, v33, vcc
	s_waitcnt lgkmcnt(0)
	v_mul_f32_e32 v37, v34, v35
	s_cbranch_execz .LBB31_546
	s_branch .LBB31_547
.LBB31_545:
                                        ; implicit-def: $vgpr37
.LBB31_546:
	ds_read_b32 v37, v130
.LBB31_547:
	v_cmp_ne_u32_e32 vcc, 7, v0
	s_and_saveexec_b64 s[14:15], vcc
	s_cbranch_execz .LBB31_551
; %bb.548:
	v_mov_b32_e32 v34, 0x84
	v_lshl_add_u32 v38, v0, 2, v34
	v_mov_b32_e32 v35, v1
	s_mov_b64 s[16:17], 0
	v_mov_b32_e32 v34, v0
.LBB31_549:                             ; =>This Inner Loop Header: Depth=1
	v_add_co_u32_e32 v34, vcc, 1, v34
	v_addc_co_u32_e32 v35, vcc, 0, v35, vcc
	v_cmp_eq_u32_e32 vcc, 1, v34
	s_waitcnt vmcnt(7)
	v_cndmask_b32_e32 v40, v2, v3, vcc
	v_cmp_lt_u32_e32 vcc, 6, v34
	v_cmp_eq_u32_e64 s[10:11], 2, v34
	v_cndmask_b32_e64 v40, v40, v4, s[10:11]
	s_or_b64 s[16:17], vcc, s[16:17]
	v_cmp_eq_u32_e32 vcc, 3, v34
	v_cndmask_b32_e32 v40, v40, v5, vcc
	v_cmp_eq_u32_e32 vcc, 4, v34
	v_cndmask_b32_e32 v40, v40, v6, vcc
	;; [unrolled: 2-line block ×22, first 2 shown]
	v_cmp_eq_u32_e32 vcc, 25, v34
	s_waitcnt vmcnt(6)
	v_cndmask_b32_e32 v40, v40, v27, vcc
	v_cmp_eq_u32_e32 vcc, 26, v34
	s_waitcnt vmcnt(5)
	v_cndmask_b32_e32 v40, v40, v28, vcc
	v_cmp_eq_u32_e32 vcc, 27, v34
	ds_read_b32 v39, v38
	s_waitcnt vmcnt(4)
	v_cndmask_b32_e32 v40, v40, v29, vcc
	v_cmp_eq_u32_e32 vcc, 28, v34
	s_waitcnt vmcnt(3)
	v_cndmask_b32_e32 v40, v40, v30, vcc
	v_cmp_eq_u32_e32 vcc, 29, v34
	;; [unrolled: 3-line block ×4, first 2 shown]
	s_waitcnt vmcnt(0)
	v_cndmask_b32_e32 v40, v40, v33, vcc
	v_add_u32_e32 v38, 4, v38
	s_waitcnt lgkmcnt(0)
	v_fmac_f32_e32 v37, v40, v39
	s_andn2_b64 exec, exec, s[16:17]
	s_cbranch_execnz .LBB31_549
; %bb.550:
	s_or_b64 exec, exec, s[16:17]
.LBB31_551:
	s_or_b64 exec, exec, s[14:15]
	v_mov_b32_e32 v10, 0
	ds_read_b32 v10, v10 offset:32
	s_waitcnt lgkmcnt(0)
	v_mul_f32_e32 v10, v37, v10
.LBB31_552:
	s_or_b64 exec, exec, s[12:13]
	v_cmp_gt_u32_e32 vcc, 9, v0
	s_waitcnt vmcnt(23)
	ds_write_b32 v130, v11
	s_waitcnt lgkmcnt(0)
	; wave barrier
	s_and_saveexec_b64 s[10:11], vcc
	s_cbranch_execz .LBB31_574
; %bb.553:
	s_and_b64 vcc, exec, s[0:1]
	s_cbranch_vccnz .LBB31_555
; %bb.554:
	v_cmp_eq_u32_e32 vcc, 1, v0
	s_waitcnt vmcnt(7)
	v_cndmask_b32_e32 v34, v2, v3, vcc
	v_cmp_eq_u32_e32 vcc, 2, v0
	v_cndmask_b32_e32 v34, v34, v4, vcc
	v_cmp_eq_u32_e32 vcc, 3, v0
	;; [unrolled: 2-line block ×24, first 2 shown]
	s_waitcnt vmcnt(6)
	v_cndmask_b32_e32 v34, v34, v27, vcc
	v_cmp_eq_u32_e32 vcc, 26, v0
	s_waitcnt vmcnt(5)
	v_cndmask_b32_e32 v34, v34, v28, vcc
	v_cmp_eq_u32_e32 vcc, 27, v0
	s_waitcnt vmcnt(4)
	v_cndmask_b32_e32 v34, v34, v29, vcc
	v_cmp_eq_u32_e32 vcc, 28, v0
	ds_read_b32 v35, v130
	s_waitcnt vmcnt(3)
	v_cndmask_b32_e32 v34, v34, v30, vcc
	v_cmp_eq_u32_e32 vcc, 29, v0
	s_waitcnt vmcnt(2)
	v_cndmask_b32_e32 v34, v34, v31, vcc
	v_cmp_eq_u32_e32 vcc, 30, v0
	s_waitcnt vmcnt(1)
	v_cndmask_b32_e32 v34, v34, v32, vcc
	v_cmp_eq_u32_e32 vcc, 31, v0
	s_waitcnt vmcnt(0)
	v_cndmask_b32_e32 v34, v34, v33, vcc
	s_waitcnt lgkmcnt(0)
	v_mul_f32_e32 v34, v34, v35
	s_cbranch_execz .LBB31_556
	s_branch .LBB31_557
.LBB31_555:
                                        ; implicit-def: $vgpr34
.LBB31_556:
	ds_read_b32 v34, v130
.LBB31_557:
	v_cmp_ne_u32_e32 vcc, 8, v0
	s_and_saveexec_b64 s[12:13], vcc
	s_cbranch_execz .LBB31_573
; %bb.558:
	v_cmp_eq_u32_e32 vcc, 1, v36
	s_waitcnt vmcnt(7)
	v_cndmask_b32_e32 v35, v2, v3, vcc
	v_cmp_eq_u32_e32 vcc, 2, v36
	v_cndmask_b32_e32 v35, v35, v4, vcc
	v_cmp_eq_u32_e32 vcc, 3, v36
	;; [unrolled: 2-line block ×24, first 2 shown]
	s_waitcnt vmcnt(6)
	v_cndmask_b32_e32 v35, v35, v27, vcc
	v_cmp_eq_u32_e32 vcc, 26, v36
	s_waitcnt vmcnt(5)
	v_cndmask_b32_e32 v35, v35, v28, vcc
	v_cmp_eq_u32_e32 vcc, 27, v36
	;; [unrolled: 3-line block ×3, first 2 shown]
	ds_read_b32 v37, v130 offset:4
	s_waitcnt vmcnt(3)
	v_cndmask_b32_e32 v35, v35, v30, vcc
	v_cmp_eq_u32_e32 vcc, 29, v36
	s_waitcnt vmcnt(2)
	v_cndmask_b32_e32 v35, v35, v31, vcc
	v_cmp_eq_u32_e32 vcc, 30, v36
	;; [unrolled: 3-line block ×3, first 2 shown]
	s_waitcnt vmcnt(0)
	v_cndmask_b32_e32 v35, v35, v33, vcc
	s_waitcnt lgkmcnt(0)
	v_fmac_f32_e32 v34, v35, v37
	s_and_saveexec_b64 s[14:15], s[8:9]
	s_cbranch_execz .LBB31_572
; %bb.559:
	v_add_u32_e32 v35, 2, v0
	v_cmp_eq_u32_e32 vcc, 1, v35
	v_cndmask_b32_e32 v36, v2, v3, vcc
	v_cmp_eq_u32_e32 vcc, 2, v35
	v_cndmask_b32_e32 v36, v36, v4, vcc
	;; [unrolled: 2-line block ×27, first 2 shown]
	v_cmp_eq_u32_e32 vcc, 28, v35
	ds_read_b32 v37, v130 offset:8
	v_cndmask_b32_e32 v36, v36, v30, vcc
	v_cmp_eq_u32_e32 vcc, 29, v35
	v_cndmask_b32_e32 v36, v36, v31, vcc
	v_cmp_eq_u32_e32 vcc, 30, v35
	;; [unrolled: 2-line block ×3, first 2 shown]
	v_cndmask_b32_e32 v35, v36, v33, vcc
	s_waitcnt lgkmcnt(0)
	v_fmac_f32_e32 v34, v35, v37
	v_cmp_ne_u32_e32 vcc, 6, v0
	s_and_saveexec_b64 s[8:9], vcc
	s_cbranch_execz .LBB31_571
; %bb.560:
	v_add_u32_e32 v35, 3, v0
	v_cmp_eq_u32_e32 vcc, 1, v35
	v_cndmask_b32_e32 v36, v2, v3, vcc
	v_cmp_eq_u32_e32 vcc, 2, v35
	v_cndmask_b32_e32 v36, v36, v4, vcc
	;; [unrolled: 2-line block ×27, first 2 shown]
	v_cmp_eq_u32_e32 vcc, 28, v35
	ds_read_b32 v37, v130 offset:12
	v_cndmask_b32_e32 v36, v36, v30, vcc
	v_cmp_eq_u32_e32 vcc, 29, v35
	v_cndmask_b32_e32 v36, v36, v31, vcc
	v_cmp_eq_u32_e32 vcc, 30, v35
	;; [unrolled: 2-line block ×3, first 2 shown]
	v_cndmask_b32_e32 v35, v36, v33, vcc
	s_waitcnt lgkmcnt(0)
	v_fmac_f32_e32 v34, v35, v37
	s_and_saveexec_b64 s[16:17], s[6:7]
	s_cbranch_execz .LBB31_570
; %bb.561:
	v_add_u32_e32 v35, 4, v0
	v_cmp_eq_u32_e32 vcc, 1, v35
	v_cndmask_b32_e32 v36, v2, v3, vcc
	v_cmp_eq_u32_e32 vcc, 2, v35
	v_cndmask_b32_e32 v36, v36, v4, vcc
	;; [unrolled: 2-line block ×27, first 2 shown]
	v_cmp_eq_u32_e32 vcc, 28, v35
	ds_read_b32 v37, v130 offset:16
	v_cndmask_b32_e32 v36, v36, v30, vcc
	v_cmp_eq_u32_e32 vcc, 29, v35
	v_cndmask_b32_e32 v36, v36, v31, vcc
	v_cmp_eq_u32_e32 vcc, 30, v35
	;; [unrolled: 2-line block ×3, first 2 shown]
	v_cndmask_b32_e32 v35, v36, v33, vcc
	s_waitcnt lgkmcnt(0)
	v_fmac_f32_e32 v34, v35, v37
	v_cmp_ne_u32_e32 vcc, 4, v0
	s_and_saveexec_b64 s[6:7], vcc
	s_cbranch_execz .LBB31_569
; %bb.562:
	v_add_u32_e32 v35, 5, v0
	v_cmp_eq_u32_e32 vcc, 1, v35
	v_cndmask_b32_e32 v36, v2, v3, vcc
	v_cmp_eq_u32_e32 vcc, 2, v35
	v_cndmask_b32_e32 v36, v36, v4, vcc
	v_cmp_eq_u32_e32 vcc, 3, v35
	v_cndmask_b32_e32 v36, v36, v5, vcc
	v_cmp_eq_u32_e32 vcc, 4, v35
	v_cndmask_b32_e32 v36, v36, v6, vcc
	v_cmp_eq_u32_e32 vcc, 5, v35
	v_cndmask_b32_e32 v36, v36, v7, vcc
	v_cmp_eq_u32_e32 vcc, 6, v35
	v_cndmask_b32_e32 v36, v36, v8, vcc
	v_cmp_eq_u32_e32 vcc, 7, v35
	v_cndmask_b32_e32 v36, v36, v9, vcc
	v_cmp_eq_u32_e32 vcc, 8, v35
	v_cndmask_b32_e32 v36, v36, v10, vcc
	v_cmp_eq_u32_e32 vcc, 9, v35
	v_cndmask_b32_e32 v36, v36, v11, vcc
	v_cmp_eq_u32_e32 vcc, 10, v35
	v_cndmask_b32_e32 v36, v36, v12, vcc
	v_cmp_eq_u32_e32 vcc, 11, v35
	v_cndmask_b32_e32 v36, v36, v13, vcc
	v_cmp_eq_u32_e32 vcc, 12, v35
	v_cndmask_b32_e32 v36, v36, v14, vcc
	v_cmp_eq_u32_e32 vcc, 13, v35
	v_cndmask_b32_e32 v36, v36, v15, vcc
	v_cmp_eq_u32_e32 vcc, 14, v35
	v_cndmask_b32_e32 v36, v36, v16, vcc
	v_cmp_eq_u32_e32 vcc, 15, v35
	v_cndmask_b32_e32 v36, v36, v17, vcc
	v_cmp_eq_u32_e32 vcc, 16, v35
	v_cndmask_b32_e32 v36, v36, v18, vcc
	v_cmp_eq_u32_e32 vcc, 17, v35
	v_cndmask_b32_e32 v36, v36, v19, vcc
	v_cmp_eq_u32_e32 vcc, 18, v35
	v_cndmask_b32_e32 v36, v36, v20, vcc
	v_cmp_eq_u32_e32 vcc, 19, v35
	v_cndmask_b32_e32 v36, v36, v21, vcc
	v_cmp_eq_u32_e32 vcc, 20, v35
	v_cndmask_b32_e32 v36, v36, v22, vcc
	v_cmp_eq_u32_e32 vcc, 21, v35
	v_cndmask_b32_e32 v36, v36, v23, vcc
	v_cmp_eq_u32_e32 vcc, 22, v35
	v_cndmask_b32_e32 v36, v36, v24, vcc
	v_cmp_eq_u32_e32 vcc, 23, v35
	v_cndmask_b32_e32 v36, v36, v25, vcc
	v_cmp_eq_u32_e32 vcc, 24, v35
	v_cndmask_b32_e32 v36, v36, v26, vcc
	v_cmp_eq_u32_e32 vcc, 25, v35
	v_cndmask_b32_e32 v36, v36, v27, vcc
	v_cmp_eq_u32_e32 vcc, 26, v35
	v_cndmask_b32_e32 v36, v36, v28, vcc
	v_cmp_eq_u32_e32 vcc, 27, v35
	v_cndmask_b32_e32 v36, v36, v29, vcc
	v_cmp_eq_u32_e32 vcc, 28, v35
	ds_read_b32 v37, v130 offset:20
	v_cndmask_b32_e32 v36, v36, v30, vcc
	v_cmp_eq_u32_e32 vcc, 29, v35
	v_cndmask_b32_e32 v36, v36, v31, vcc
	v_cmp_eq_u32_e32 vcc, 30, v35
	;; [unrolled: 2-line block ×3, first 2 shown]
	v_cndmask_b32_e32 v35, v36, v33, vcc
	s_waitcnt lgkmcnt(0)
	v_fmac_f32_e32 v34, v35, v37
	s_and_saveexec_b64 s[18:19], s[4:5]
	s_cbranch_execz .LBB31_568
; %bb.563:
	v_add_u32_e32 v35, 6, v0
	v_cmp_eq_u32_e32 vcc, 1, v35
	v_cndmask_b32_e32 v36, v2, v3, vcc
	v_cmp_eq_u32_e32 vcc, 2, v35
	v_cndmask_b32_e32 v36, v36, v4, vcc
	;; [unrolled: 2-line block ×27, first 2 shown]
	v_cmp_eq_u32_e32 vcc, 28, v35
	ds_read_b32 v37, v130 offset:24
	v_cndmask_b32_e32 v36, v36, v30, vcc
	v_cmp_eq_u32_e32 vcc, 29, v35
	v_cndmask_b32_e32 v36, v36, v31, vcc
	v_cmp_eq_u32_e32 vcc, 30, v35
	;; [unrolled: 2-line block ×3, first 2 shown]
	v_cndmask_b32_e32 v35, v36, v33, vcc
	s_waitcnt lgkmcnt(0)
	v_fmac_f32_e32 v34, v35, v37
	v_cmp_ne_u32_e32 vcc, 2, v0
	s_and_saveexec_b64 s[4:5], vcc
	s_cbranch_execz .LBB31_567
; %bb.564:
	v_add_u32_e32 v35, 7, v0
	v_cmp_eq_u32_e32 vcc, 1, v35
	v_cndmask_b32_e32 v36, v2, v3, vcc
	v_cmp_eq_u32_e32 vcc, 2, v35
	v_cndmask_b32_e32 v36, v36, v4, vcc
	;; [unrolled: 2-line block ×27, first 2 shown]
	v_cmp_eq_u32_e32 vcc, 28, v35
	ds_read_b32 v36, v130 offset:28
	v_cndmask_b32_e32 v11, v11, v30, vcc
	v_cmp_eq_u32_e32 vcc, 29, v35
	v_cndmask_b32_e32 v11, v11, v31, vcc
	v_cmp_eq_u32_e32 vcc, 30, v35
	;; [unrolled: 2-line block ×3, first 2 shown]
	v_cndmask_b32_e32 v11, v11, v33, vcc
	s_waitcnt lgkmcnt(0)
	v_fmac_f32_e32 v34, v11, v36
	s_and_saveexec_b64 s[20:21], s[2:3]
	s_cbranch_execz .LBB31_566
; %bb.565:
	ds_read_b32 v11, v130 offset:32
	s_waitcnt lgkmcnt(0)
	v_fmac_f32_e32 v34, v10, v11
.LBB31_566:
	s_or_b64 exec, exec, s[20:21]
.LBB31_567:
	s_or_b64 exec, exec, s[4:5]
.LBB31_568:
	s_or_b64 exec, exec, s[18:19]
.LBB31_569:
	s_or_b64 exec, exec, s[6:7]
.LBB31_570:
	s_or_b64 exec, exec, s[16:17]
.LBB31_571:
	s_or_b64 exec, exec, s[8:9]
.LBB31_572:
	s_or_b64 exec, exec, s[14:15]
.LBB31_573:
	s_or_b64 exec, exec, s[12:13]
	v_mov_b32_e32 v11, 0
	ds_read_b32 v11, v11 offset:36
	s_waitcnt lgkmcnt(0)
	v_mul_f32_e32 v11, v34, v11
.LBB31_574:
	s_or_b64 exec, exec, s[10:11]
	v_cmp_gt_u32_e32 vcc, 10, v0
	s_waitcnt vmcnt(22)
	ds_write_b32 v130, v12
	s_waitcnt lgkmcnt(0)
	; wave barrier
	s_and_saveexec_b64 s[4:5], vcc
	s_cbranch_execz .LBB31_584
; %bb.575:
	s_and_b64 vcc, exec, s[0:1]
	s_cbranch_vccnz .LBB31_577
; %bb.576:
	v_cmp_eq_u32_e32 vcc, 1, v0
	s_waitcnt vmcnt(7)
	v_cndmask_b32_e32 v34, v2, v3, vcc
	v_cmp_eq_u32_e32 vcc, 2, v0
	v_cndmask_b32_e32 v34, v34, v4, vcc
	v_cmp_eq_u32_e32 vcc, 3, v0
	;; [unrolled: 2-line block ×24, first 2 shown]
	s_waitcnt vmcnt(6)
	v_cndmask_b32_e32 v34, v34, v27, vcc
	v_cmp_eq_u32_e32 vcc, 26, v0
	s_waitcnt vmcnt(5)
	v_cndmask_b32_e32 v34, v34, v28, vcc
	v_cmp_eq_u32_e32 vcc, 27, v0
	;; [unrolled: 3-line block ×3, first 2 shown]
	ds_read_b32 v35, v130
	s_waitcnt vmcnt(3)
	v_cndmask_b32_e32 v34, v34, v30, vcc
	v_cmp_eq_u32_e32 vcc, 29, v0
	s_waitcnt vmcnt(2)
	v_cndmask_b32_e32 v34, v34, v31, vcc
	v_cmp_eq_u32_e32 vcc, 30, v0
	s_waitcnt vmcnt(1)
	v_cndmask_b32_e32 v34, v34, v32, vcc
	v_cmp_eq_u32_e32 vcc, 31, v0
	s_waitcnt vmcnt(0)
	v_cndmask_b32_e32 v34, v34, v33, vcc
	s_waitcnt lgkmcnt(0)
	v_mul_f32_e32 v36, v34, v35
	s_cbranch_execz .LBB31_578
	s_branch .LBB31_579
.LBB31_577:
                                        ; implicit-def: $vgpr36
.LBB31_578:
	ds_read_b32 v36, v130
.LBB31_579:
	v_cmp_ne_u32_e32 vcc, 9, v0
	s_and_saveexec_b64 s[6:7], vcc
	s_cbranch_execz .LBB31_583
; %bb.580:
	v_mov_b32_e32 v34, 0x84
	v_lshl_add_u32 v37, v0, 2, v34
	v_mov_b32_e32 v35, v1
	s_mov_b64 s[8:9], 0
	v_mov_b32_e32 v34, v0
.LBB31_581:                             ; =>This Inner Loop Header: Depth=1
	v_add_co_u32_e32 v34, vcc, 1, v34
	v_addc_co_u32_e32 v35, vcc, 0, v35, vcc
	v_cmp_eq_u32_e32 vcc, 1, v34
	s_waitcnt vmcnt(7)
	v_cndmask_b32_e32 v39, v2, v3, vcc
	v_cmp_lt_u32_e32 vcc, 8, v34
	v_cmp_eq_u32_e64 s[2:3], 2, v34
	v_cndmask_b32_e64 v39, v39, v4, s[2:3]
	s_or_b64 s[8:9], vcc, s[8:9]
	v_cmp_eq_u32_e32 vcc, 3, v34
	v_cndmask_b32_e32 v39, v39, v5, vcc
	v_cmp_eq_u32_e32 vcc, 4, v34
	v_cndmask_b32_e32 v39, v39, v6, vcc
	;; [unrolled: 2-line block ×22, first 2 shown]
	v_cmp_eq_u32_e32 vcc, 25, v34
	s_waitcnt vmcnt(6)
	v_cndmask_b32_e32 v39, v39, v27, vcc
	v_cmp_eq_u32_e32 vcc, 26, v34
	s_waitcnt vmcnt(5)
	v_cndmask_b32_e32 v39, v39, v28, vcc
	v_cmp_eq_u32_e32 vcc, 27, v34
	ds_read_b32 v38, v37
	s_waitcnt vmcnt(4)
	v_cndmask_b32_e32 v39, v39, v29, vcc
	v_cmp_eq_u32_e32 vcc, 28, v34
	s_waitcnt vmcnt(3)
	v_cndmask_b32_e32 v39, v39, v30, vcc
	v_cmp_eq_u32_e32 vcc, 29, v34
	;; [unrolled: 3-line block ×4, first 2 shown]
	s_waitcnt vmcnt(0)
	v_cndmask_b32_e32 v39, v39, v33, vcc
	v_add_u32_e32 v37, 4, v37
	s_waitcnt lgkmcnt(0)
	v_fmac_f32_e32 v36, v39, v38
	s_andn2_b64 exec, exec, s[8:9]
	s_cbranch_execnz .LBB31_581
; %bb.582:
	s_or_b64 exec, exec, s[8:9]
.LBB31_583:
	s_or_b64 exec, exec, s[6:7]
	v_mov_b32_e32 v12, 0
	ds_read_b32 v12, v12 offset:40
	s_waitcnt lgkmcnt(0)
	v_mul_f32_e32 v12, v36, v12
.LBB31_584:
	s_or_b64 exec, exec, s[4:5]
	v_cmp_gt_u32_e32 vcc, 11, v0
	s_waitcnt vmcnt(21)
	ds_write_b32 v130, v13
	s_waitcnt lgkmcnt(0)
	; wave barrier
	s_and_saveexec_b64 s[4:5], vcc
	s_cbranch_execz .LBB31_594
; %bb.585:
	s_and_b64 vcc, exec, s[0:1]
	s_cbranch_vccnz .LBB31_587
; %bb.586:
	v_cmp_eq_u32_e32 vcc, 1, v0
	s_waitcnt vmcnt(7)
	v_cndmask_b32_e32 v34, v2, v3, vcc
	v_cmp_eq_u32_e32 vcc, 2, v0
	v_cndmask_b32_e32 v34, v34, v4, vcc
	v_cmp_eq_u32_e32 vcc, 3, v0
	;; [unrolled: 2-line block ×24, first 2 shown]
	s_waitcnt vmcnt(6)
	v_cndmask_b32_e32 v34, v34, v27, vcc
	v_cmp_eq_u32_e32 vcc, 26, v0
	s_waitcnt vmcnt(5)
	v_cndmask_b32_e32 v34, v34, v28, vcc
	v_cmp_eq_u32_e32 vcc, 27, v0
	;; [unrolled: 3-line block ×3, first 2 shown]
	ds_read_b32 v35, v130
	s_waitcnt vmcnt(3)
	v_cndmask_b32_e32 v34, v34, v30, vcc
	v_cmp_eq_u32_e32 vcc, 29, v0
	s_waitcnt vmcnt(2)
	v_cndmask_b32_e32 v34, v34, v31, vcc
	v_cmp_eq_u32_e32 vcc, 30, v0
	;; [unrolled: 3-line block ×3, first 2 shown]
	s_waitcnt vmcnt(0)
	v_cndmask_b32_e32 v34, v34, v33, vcc
	s_waitcnt lgkmcnt(0)
	v_mul_f32_e32 v36, v34, v35
	s_cbranch_execz .LBB31_588
	s_branch .LBB31_589
.LBB31_587:
                                        ; implicit-def: $vgpr36
.LBB31_588:
	ds_read_b32 v36, v130
.LBB31_589:
	v_cmp_ne_u32_e32 vcc, 10, v0
	s_and_saveexec_b64 s[6:7], vcc
	s_cbranch_execz .LBB31_593
; %bb.590:
	v_mov_b32_e32 v34, 0x84
	v_lshl_add_u32 v37, v0, 2, v34
	v_mov_b32_e32 v35, v1
	s_mov_b64 s[8:9], 0
	v_mov_b32_e32 v34, v0
.LBB31_591:                             ; =>This Inner Loop Header: Depth=1
	v_add_co_u32_e32 v34, vcc, 1, v34
	v_addc_co_u32_e32 v35, vcc, 0, v35, vcc
	v_cmp_eq_u32_e32 vcc, 1, v34
	s_waitcnt vmcnt(7)
	v_cndmask_b32_e32 v39, v2, v3, vcc
	v_cmp_lt_u32_e32 vcc, 9, v34
	v_cmp_eq_u32_e64 s[2:3], 2, v34
	v_cndmask_b32_e64 v39, v39, v4, s[2:3]
	s_or_b64 s[8:9], vcc, s[8:9]
	v_cmp_eq_u32_e32 vcc, 3, v34
	v_cndmask_b32_e32 v39, v39, v5, vcc
	v_cmp_eq_u32_e32 vcc, 4, v34
	v_cndmask_b32_e32 v39, v39, v6, vcc
	;; [unrolled: 2-line block ×22, first 2 shown]
	v_cmp_eq_u32_e32 vcc, 25, v34
	s_waitcnt vmcnt(6)
	v_cndmask_b32_e32 v39, v39, v27, vcc
	v_cmp_eq_u32_e32 vcc, 26, v34
	s_waitcnt vmcnt(5)
	v_cndmask_b32_e32 v39, v39, v28, vcc
	v_cmp_eq_u32_e32 vcc, 27, v34
	ds_read_b32 v38, v37
	s_waitcnt vmcnt(4)
	v_cndmask_b32_e32 v39, v39, v29, vcc
	v_cmp_eq_u32_e32 vcc, 28, v34
	s_waitcnt vmcnt(3)
	v_cndmask_b32_e32 v39, v39, v30, vcc
	v_cmp_eq_u32_e32 vcc, 29, v34
	;; [unrolled: 3-line block ×4, first 2 shown]
	s_waitcnt vmcnt(0)
	v_cndmask_b32_e32 v39, v39, v33, vcc
	v_add_u32_e32 v37, 4, v37
	s_waitcnt lgkmcnt(0)
	v_fmac_f32_e32 v36, v39, v38
	s_andn2_b64 exec, exec, s[8:9]
	s_cbranch_execnz .LBB31_591
; %bb.592:
	s_or_b64 exec, exec, s[8:9]
.LBB31_593:
	s_or_b64 exec, exec, s[6:7]
	v_mov_b32_e32 v13, 0
	ds_read_b32 v13, v13 offset:44
	s_waitcnt lgkmcnt(0)
	v_mul_f32_e32 v13, v36, v13
.LBB31_594:
	s_or_b64 exec, exec, s[4:5]
	v_cmp_gt_u32_e32 vcc, 12, v0
	s_waitcnt vmcnt(20)
	ds_write_b32 v130, v14
	s_waitcnt lgkmcnt(0)
	; wave barrier
	s_and_saveexec_b64 s[4:5], vcc
	s_cbranch_execz .LBB31_604
; %bb.595:
	s_and_b64 vcc, exec, s[0:1]
	s_cbranch_vccnz .LBB31_597
; %bb.596:
	v_cmp_eq_u32_e32 vcc, 1, v0
	s_waitcnt vmcnt(7)
	v_cndmask_b32_e32 v34, v2, v3, vcc
	v_cmp_eq_u32_e32 vcc, 2, v0
	v_cndmask_b32_e32 v34, v34, v4, vcc
	v_cmp_eq_u32_e32 vcc, 3, v0
	;; [unrolled: 2-line block ×24, first 2 shown]
	s_waitcnt vmcnt(6)
	v_cndmask_b32_e32 v34, v34, v27, vcc
	v_cmp_eq_u32_e32 vcc, 26, v0
	s_waitcnt vmcnt(5)
	v_cndmask_b32_e32 v34, v34, v28, vcc
	v_cmp_eq_u32_e32 vcc, 27, v0
	;; [unrolled: 3-line block ×3, first 2 shown]
	ds_read_b32 v35, v130
	s_waitcnt vmcnt(3)
	v_cndmask_b32_e32 v34, v34, v30, vcc
	v_cmp_eq_u32_e32 vcc, 29, v0
	s_waitcnt vmcnt(2)
	v_cndmask_b32_e32 v34, v34, v31, vcc
	v_cmp_eq_u32_e32 vcc, 30, v0
	;; [unrolled: 3-line block ×3, first 2 shown]
	s_waitcnt vmcnt(0)
	v_cndmask_b32_e32 v34, v34, v33, vcc
	s_waitcnt lgkmcnt(0)
	v_mul_f32_e32 v36, v34, v35
	s_cbranch_execz .LBB31_598
	s_branch .LBB31_599
.LBB31_597:
                                        ; implicit-def: $vgpr36
.LBB31_598:
	ds_read_b32 v36, v130
.LBB31_599:
	v_cmp_ne_u32_e32 vcc, 11, v0
	s_and_saveexec_b64 s[6:7], vcc
	s_cbranch_execz .LBB31_603
; %bb.600:
	v_mov_b32_e32 v34, 0x84
	v_lshl_add_u32 v37, v0, 2, v34
	v_mov_b32_e32 v35, v1
	s_mov_b64 s[8:9], 0
	v_mov_b32_e32 v34, v0
.LBB31_601:                             ; =>This Inner Loop Header: Depth=1
	v_add_co_u32_e32 v34, vcc, 1, v34
	v_addc_co_u32_e32 v35, vcc, 0, v35, vcc
	v_cmp_eq_u32_e32 vcc, 1, v34
	s_waitcnt vmcnt(7)
	v_cndmask_b32_e32 v39, v2, v3, vcc
	v_cmp_lt_u32_e32 vcc, 10, v34
	v_cmp_eq_u32_e64 s[2:3], 2, v34
	v_cndmask_b32_e64 v39, v39, v4, s[2:3]
	s_or_b64 s[8:9], vcc, s[8:9]
	v_cmp_eq_u32_e32 vcc, 3, v34
	v_cndmask_b32_e32 v39, v39, v5, vcc
	v_cmp_eq_u32_e32 vcc, 4, v34
	v_cndmask_b32_e32 v39, v39, v6, vcc
	;; [unrolled: 2-line block ×22, first 2 shown]
	v_cmp_eq_u32_e32 vcc, 25, v34
	s_waitcnt vmcnt(6)
	v_cndmask_b32_e32 v39, v39, v27, vcc
	v_cmp_eq_u32_e32 vcc, 26, v34
	s_waitcnt vmcnt(5)
	v_cndmask_b32_e32 v39, v39, v28, vcc
	v_cmp_eq_u32_e32 vcc, 27, v34
	ds_read_b32 v38, v37
	s_waitcnt vmcnt(4)
	v_cndmask_b32_e32 v39, v39, v29, vcc
	v_cmp_eq_u32_e32 vcc, 28, v34
	s_waitcnt vmcnt(3)
	v_cndmask_b32_e32 v39, v39, v30, vcc
	v_cmp_eq_u32_e32 vcc, 29, v34
	s_waitcnt vmcnt(2)
	v_cndmask_b32_e32 v39, v39, v31, vcc
	v_cmp_eq_u32_e32 vcc, 30, v34
	s_waitcnt vmcnt(1)
	v_cndmask_b32_e32 v39, v39, v32, vcc
	v_cmp_eq_u32_e32 vcc, 31, v34
	s_waitcnt vmcnt(0)
	v_cndmask_b32_e32 v39, v39, v33, vcc
	v_add_u32_e32 v37, 4, v37
	s_waitcnt lgkmcnt(0)
	v_fmac_f32_e32 v36, v39, v38
	s_andn2_b64 exec, exec, s[8:9]
	s_cbranch_execnz .LBB31_601
; %bb.602:
	s_or_b64 exec, exec, s[8:9]
.LBB31_603:
	s_or_b64 exec, exec, s[6:7]
	v_mov_b32_e32 v14, 0
	ds_read_b32 v14, v14 offset:48
	s_waitcnt lgkmcnt(0)
	v_mul_f32_e32 v14, v36, v14
.LBB31_604:
	s_or_b64 exec, exec, s[4:5]
	v_cmp_gt_u32_e32 vcc, 13, v0
	s_waitcnt vmcnt(19)
	ds_write_b32 v130, v15
	s_waitcnt lgkmcnt(0)
	; wave barrier
	s_and_saveexec_b64 s[4:5], vcc
	s_cbranch_execz .LBB31_614
; %bb.605:
	s_and_b64 vcc, exec, s[0:1]
	s_cbranch_vccnz .LBB31_607
; %bb.606:
	v_cmp_eq_u32_e32 vcc, 1, v0
	s_waitcnt vmcnt(7)
	v_cndmask_b32_e32 v34, v2, v3, vcc
	v_cmp_eq_u32_e32 vcc, 2, v0
	v_cndmask_b32_e32 v34, v34, v4, vcc
	v_cmp_eq_u32_e32 vcc, 3, v0
	;; [unrolled: 2-line block ×24, first 2 shown]
	s_waitcnt vmcnt(6)
	v_cndmask_b32_e32 v34, v34, v27, vcc
	v_cmp_eq_u32_e32 vcc, 26, v0
	s_waitcnt vmcnt(5)
	v_cndmask_b32_e32 v34, v34, v28, vcc
	v_cmp_eq_u32_e32 vcc, 27, v0
	;; [unrolled: 3-line block ×3, first 2 shown]
	ds_read_b32 v35, v130
	s_waitcnt vmcnt(3)
	v_cndmask_b32_e32 v34, v34, v30, vcc
	v_cmp_eq_u32_e32 vcc, 29, v0
	s_waitcnt vmcnt(2)
	v_cndmask_b32_e32 v34, v34, v31, vcc
	v_cmp_eq_u32_e32 vcc, 30, v0
	;; [unrolled: 3-line block ×3, first 2 shown]
	s_waitcnt vmcnt(0)
	v_cndmask_b32_e32 v34, v34, v33, vcc
	s_waitcnt lgkmcnt(0)
	v_mul_f32_e32 v36, v34, v35
	s_cbranch_execz .LBB31_608
	s_branch .LBB31_609
.LBB31_607:
                                        ; implicit-def: $vgpr36
.LBB31_608:
	ds_read_b32 v36, v130
.LBB31_609:
	v_cmp_ne_u32_e32 vcc, 12, v0
	s_and_saveexec_b64 s[6:7], vcc
	s_cbranch_execz .LBB31_613
; %bb.610:
	v_mov_b32_e32 v34, 0x84
	v_lshl_add_u32 v37, v0, 2, v34
	v_mov_b32_e32 v35, v1
	s_mov_b64 s[8:9], 0
	v_mov_b32_e32 v34, v0
.LBB31_611:                             ; =>This Inner Loop Header: Depth=1
	v_add_co_u32_e32 v34, vcc, 1, v34
	v_addc_co_u32_e32 v35, vcc, 0, v35, vcc
	v_cmp_eq_u32_e32 vcc, 1, v34
	s_waitcnt vmcnt(7)
	v_cndmask_b32_e32 v39, v2, v3, vcc
	v_cmp_lt_u32_e32 vcc, 11, v34
	v_cmp_eq_u32_e64 s[2:3], 2, v34
	v_cndmask_b32_e64 v39, v39, v4, s[2:3]
	s_or_b64 s[8:9], vcc, s[8:9]
	v_cmp_eq_u32_e32 vcc, 3, v34
	v_cndmask_b32_e32 v39, v39, v5, vcc
	v_cmp_eq_u32_e32 vcc, 4, v34
	v_cndmask_b32_e32 v39, v39, v6, vcc
	v_cmp_eq_u32_e32 vcc, 5, v34
	v_cndmask_b32_e32 v39, v39, v7, vcc
	v_cmp_eq_u32_e32 vcc, 6, v34
	v_cndmask_b32_e32 v39, v39, v8, vcc
	v_cmp_eq_u32_e32 vcc, 7, v34
	v_cndmask_b32_e32 v39, v39, v9, vcc
	v_cmp_eq_u32_e32 vcc, 8, v34
	v_cndmask_b32_e32 v39, v39, v10, vcc
	v_cmp_eq_u32_e32 vcc, 9, v34
	v_cndmask_b32_e32 v39, v39, v11, vcc
	v_cmp_eq_u32_e32 vcc, 10, v34
	v_cndmask_b32_e32 v39, v39, v12, vcc
	v_cmp_eq_u32_e32 vcc, 11, v34
	v_cndmask_b32_e32 v39, v39, v13, vcc
	v_cmp_eq_u32_e32 vcc, 12, v34
	v_cndmask_b32_e32 v39, v39, v14, vcc
	v_cmp_eq_u32_e32 vcc, 13, v34
	v_cndmask_b32_e32 v39, v39, v15, vcc
	v_cmp_eq_u32_e32 vcc, 14, v34
	v_cndmask_b32_e32 v39, v39, v16, vcc
	v_cmp_eq_u32_e32 vcc, 15, v34
	v_cndmask_b32_e32 v39, v39, v17, vcc
	v_cmp_eq_u32_e32 vcc, 16, v34
	v_cndmask_b32_e32 v39, v39, v18, vcc
	v_cmp_eq_u32_e32 vcc, 17, v34
	v_cndmask_b32_e32 v39, v39, v19, vcc
	v_cmp_eq_u32_e32 vcc, 18, v34
	v_cndmask_b32_e32 v39, v39, v20, vcc
	v_cmp_eq_u32_e32 vcc, 19, v34
	v_cndmask_b32_e32 v39, v39, v21, vcc
	v_cmp_eq_u32_e32 vcc, 20, v34
	v_cndmask_b32_e32 v39, v39, v22, vcc
	v_cmp_eq_u32_e32 vcc, 21, v34
	v_cndmask_b32_e32 v39, v39, v23, vcc
	v_cmp_eq_u32_e32 vcc, 22, v34
	v_cndmask_b32_e32 v39, v39, v24, vcc
	v_cmp_eq_u32_e32 vcc, 23, v34
	v_cndmask_b32_e32 v39, v39, v25, vcc
	v_cmp_eq_u32_e32 vcc, 24, v34
	v_cndmask_b32_e32 v39, v39, v26, vcc
	v_cmp_eq_u32_e32 vcc, 25, v34
	s_waitcnt vmcnt(6)
	v_cndmask_b32_e32 v39, v39, v27, vcc
	v_cmp_eq_u32_e32 vcc, 26, v34
	s_waitcnt vmcnt(5)
	v_cndmask_b32_e32 v39, v39, v28, vcc
	v_cmp_eq_u32_e32 vcc, 27, v34
	ds_read_b32 v38, v37
	s_waitcnt vmcnt(4)
	v_cndmask_b32_e32 v39, v39, v29, vcc
	v_cmp_eq_u32_e32 vcc, 28, v34
	s_waitcnt vmcnt(3)
	v_cndmask_b32_e32 v39, v39, v30, vcc
	v_cmp_eq_u32_e32 vcc, 29, v34
	s_waitcnt vmcnt(2)
	v_cndmask_b32_e32 v39, v39, v31, vcc
	v_cmp_eq_u32_e32 vcc, 30, v34
	s_waitcnt vmcnt(1)
	v_cndmask_b32_e32 v39, v39, v32, vcc
	v_cmp_eq_u32_e32 vcc, 31, v34
	s_waitcnt vmcnt(0)
	v_cndmask_b32_e32 v39, v39, v33, vcc
	v_add_u32_e32 v37, 4, v37
	s_waitcnt lgkmcnt(0)
	v_fmac_f32_e32 v36, v39, v38
	s_andn2_b64 exec, exec, s[8:9]
	s_cbranch_execnz .LBB31_611
; %bb.612:
	s_or_b64 exec, exec, s[8:9]
.LBB31_613:
	s_or_b64 exec, exec, s[6:7]
	v_mov_b32_e32 v15, 0
	ds_read_b32 v15, v15 offset:52
	s_waitcnt lgkmcnt(0)
	v_mul_f32_e32 v15, v36, v15
.LBB31_614:
	s_or_b64 exec, exec, s[4:5]
	v_cmp_gt_u32_e32 vcc, 14, v0
	s_waitcnt vmcnt(18)
	ds_write_b32 v130, v16
	s_waitcnt lgkmcnt(0)
	; wave barrier
	s_and_saveexec_b64 s[4:5], vcc
	s_cbranch_execz .LBB31_624
; %bb.615:
	s_and_b64 vcc, exec, s[0:1]
	s_cbranch_vccnz .LBB31_617
; %bb.616:
	v_cmp_eq_u32_e32 vcc, 1, v0
	s_waitcnt vmcnt(7)
	v_cndmask_b32_e32 v34, v2, v3, vcc
	v_cmp_eq_u32_e32 vcc, 2, v0
	v_cndmask_b32_e32 v34, v34, v4, vcc
	v_cmp_eq_u32_e32 vcc, 3, v0
	;; [unrolled: 2-line block ×24, first 2 shown]
	s_waitcnt vmcnt(6)
	v_cndmask_b32_e32 v34, v34, v27, vcc
	v_cmp_eq_u32_e32 vcc, 26, v0
	s_waitcnt vmcnt(5)
	v_cndmask_b32_e32 v34, v34, v28, vcc
	v_cmp_eq_u32_e32 vcc, 27, v0
	;; [unrolled: 3-line block ×3, first 2 shown]
	ds_read_b32 v35, v130
	s_waitcnt vmcnt(3)
	v_cndmask_b32_e32 v34, v34, v30, vcc
	v_cmp_eq_u32_e32 vcc, 29, v0
	s_waitcnt vmcnt(2)
	v_cndmask_b32_e32 v34, v34, v31, vcc
	v_cmp_eq_u32_e32 vcc, 30, v0
	s_waitcnt vmcnt(1)
	v_cndmask_b32_e32 v34, v34, v32, vcc
	v_cmp_eq_u32_e32 vcc, 31, v0
	s_waitcnt vmcnt(0)
	v_cndmask_b32_e32 v34, v34, v33, vcc
	s_waitcnt lgkmcnt(0)
	v_mul_f32_e32 v36, v34, v35
	s_cbranch_execz .LBB31_618
	s_branch .LBB31_619
.LBB31_617:
                                        ; implicit-def: $vgpr36
.LBB31_618:
	ds_read_b32 v36, v130
.LBB31_619:
	v_cmp_ne_u32_e32 vcc, 13, v0
	s_and_saveexec_b64 s[6:7], vcc
	s_cbranch_execz .LBB31_623
; %bb.620:
	v_mov_b32_e32 v34, 0x84
	v_lshl_add_u32 v37, v0, 2, v34
	v_mov_b32_e32 v35, v1
	s_mov_b64 s[8:9], 0
	v_mov_b32_e32 v34, v0
.LBB31_621:                             ; =>This Inner Loop Header: Depth=1
	v_add_co_u32_e32 v34, vcc, 1, v34
	v_addc_co_u32_e32 v35, vcc, 0, v35, vcc
	v_cmp_eq_u32_e32 vcc, 1, v34
	s_waitcnt vmcnt(7)
	v_cndmask_b32_e32 v39, v2, v3, vcc
	v_cmp_lt_u32_e32 vcc, 12, v34
	v_cmp_eq_u32_e64 s[2:3], 2, v34
	v_cndmask_b32_e64 v39, v39, v4, s[2:3]
	s_or_b64 s[8:9], vcc, s[8:9]
	v_cmp_eq_u32_e32 vcc, 3, v34
	v_cndmask_b32_e32 v39, v39, v5, vcc
	v_cmp_eq_u32_e32 vcc, 4, v34
	v_cndmask_b32_e32 v39, v39, v6, vcc
	;; [unrolled: 2-line block ×22, first 2 shown]
	v_cmp_eq_u32_e32 vcc, 25, v34
	s_waitcnt vmcnt(6)
	v_cndmask_b32_e32 v39, v39, v27, vcc
	v_cmp_eq_u32_e32 vcc, 26, v34
	s_waitcnt vmcnt(5)
	v_cndmask_b32_e32 v39, v39, v28, vcc
	v_cmp_eq_u32_e32 vcc, 27, v34
	ds_read_b32 v38, v37
	s_waitcnt vmcnt(4)
	v_cndmask_b32_e32 v39, v39, v29, vcc
	v_cmp_eq_u32_e32 vcc, 28, v34
	s_waitcnt vmcnt(3)
	v_cndmask_b32_e32 v39, v39, v30, vcc
	v_cmp_eq_u32_e32 vcc, 29, v34
	;; [unrolled: 3-line block ×4, first 2 shown]
	s_waitcnt vmcnt(0)
	v_cndmask_b32_e32 v39, v39, v33, vcc
	v_add_u32_e32 v37, 4, v37
	s_waitcnt lgkmcnt(0)
	v_fmac_f32_e32 v36, v39, v38
	s_andn2_b64 exec, exec, s[8:9]
	s_cbranch_execnz .LBB31_621
; %bb.622:
	s_or_b64 exec, exec, s[8:9]
.LBB31_623:
	s_or_b64 exec, exec, s[6:7]
	v_mov_b32_e32 v16, 0
	ds_read_b32 v16, v16 offset:56
	s_waitcnt lgkmcnt(0)
	v_mul_f32_e32 v16, v36, v16
.LBB31_624:
	s_or_b64 exec, exec, s[4:5]
	v_cmp_gt_u32_e32 vcc, 15, v0
	s_waitcnt vmcnt(17)
	ds_write_b32 v130, v17
	s_waitcnt lgkmcnt(0)
	; wave barrier
	s_and_saveexec_b64 s[4:5], vcc
	s_cbranch_execz .LBB31_634
; %bb.625:
	s_and_b64 vcc, exec, s[0:1]
	s_cbranch_vccnz .LBB31_627
; %bb.626:
	v_cmp_eq_u32_e32 vcc, 1, v0
	s_waitcnt vmcnt(7)
	v_cndmask_b32_e32 v34, v2, v3, vcc
	v_cmp_eq_u32_e32 vcc, 2, v0
	v_cndmask_b32_e32 v34, v34, v4, vcc
	v_cmp_eq_u32_e32 vcc, 3, v0
	;; [unrolled: 2-line block ×24, first 2 shown]
	s_waitcnt vmcnt(6)
	v_cndmask_b32_e32 v34, v34, v27, vcc
	v_cmp_eq_u32_e32 vcc, 26, v0
	s_waitcnt vmcnt(5)
	v_cndmask_b32_e32 v34, v34, v28, vcc
	v_cmp_eq_u32_e32 vcc, 27, v0
	;; [unrolled: 3-line block ×3, first 2 shown]
	ds_read_b32 v35, v130
	s_waitcnt vmcnt(3)
	v_cndmask_b32_e32 v34, v34, v30, vcc
	v_cmp_eq_u32_e32 vcc, 29, v0
	s_waitcnt vmcnt(2)
	v_cndmask_b32_e32 v34, v34, v31, vcc
	v_cmp_eq_u32_e32 vcc, 30, v0
	;; [unrolled: 3-line block ×3, first 2 shown]
	s_waitcnt vmcnt(0)
	v_cndmask_b32_e32 v34, v34, v33, vcc
	s_waitcnt lgkmcnt(0)
	v_mul_f32_e32 v36, v34, v35
	s_cbranch_execz .LBB31_628
	s_branch .LBB31_629
.LBB31_627:
                                        ; implicit-def: $vgpr36
.LBB31_628:
	ds_read_b32 v36, v130
.LBB31_629:
	v_cmp_ne_u32_e32 vcc, 14, v0
	s_and_saveexec_b64 s[6:7], vcc
	s_cbranch_execz .LBB31_633
; %bb.630:
	v_mov_b32_e32 v34, 0x84
	v_lshl_add_u32 v37, v0, 2, v34
	v_mov_b32_e32 v35, v1
	s_mov_b64 s[8:9], 0
	v_mov_b32_e32 v34, v0
.LBB31_631:                             ; =>This Inner Loop Header: Depth=1
	v_add_co_u32_e32 v34, vcc, 1, v34
	v_addc_co_u32_e32 v35, vcc, 0, v35, vcc
	v_cmp_eq_u32_e32 vcc, 1, v34
	s_waitcnt vmcnt(7)
	v_cndmask_b32_e32 v39, v2, v3, vcc
	v_cmp_lt_u32_e32 vcc, 13, v34
	v_cmp_eq_u32_e64 s[2:3], 2, v34
	v_cndmask_b32_e64 v39, v39, v4, s[2:3]
	s_or_b64 s[8:9], vcc, s[8:9]
	v_cmp_eq_u32_e32 vcc, 3, v34
	v_cndmask_b32_e32 v39, v39, v5, vcc
	v_cmp_eq_u32_e32 vcc, 4, v34
	v_cndmask_b32_e32 v39, v39, v6, vcc
	;; [unrolled: 2-line block ×22, first 2 shown]
	v_cmp_eq_u32_e32 vcc, 25, v34
	s_waitcnt vmcnt(6)
	v_cndmask_b32_e32 v39, v39, v27, vcc
	v_cmp_eq_u32_e32 vcc, 26, v34
	s_waitcnt vmcnt(5)
	v_cndmask_b32_e32 v39, v39, v28, vcc
	v_cmp_eq_u32_e32 vcc, 27, v34
	ds_read_b32 v38, v37
	s_waitcnt vmcnt(4)
	v_cndmask_b32_e32 v39, v39, v29, vcc
	v_cmp_eq_u32_e32 vcc, 28, v34
	s_waitcnt vmcnt(3)
	v_cndmask_b32_e32 v39, v39, v30, vcc
	v_cmp_eq_u32_e32 vcc, 29, v34
	;; [unrolled: 3-line block ×4, first 2 shown]
	s_waitcnt vmcnt(0)
	v_cndmask_b32_e32 v39, v39, v33, vcc
	v_add_u32_e32 v37, 4, v37
	s_waitcnt lgkmcnt(0)
	v_fmac_f32_e32 v36, v39, v38
	s_andn2_b64 exec, exec, s[8:9]
	s_cbranch_execnz .LBB31_631
; %bb.632:
	s_or_b64 exec, exec, s[8:9]
.LBB31_633:
	s_or_b64 exec, exec, s[6:7]
	v_mov_b32_e32 v17, 0
	ds_read_b32 v17, v17 offset:60
	s_waitcnt lgkmcnt(0)
	v_mul_f32_e32 v17, v36, v17
.LBB31_634:
	s_or_b64 exec, exec, s[4:5]
	v_cmp_gt_u32_e32 vcc, 16, v0
	s_waitcnt vmcnt(16)
	ds_write_b32 v130, v18
	s_waitcnt lgkmcnt(0)
	; wave barrier
	s_and_saveexec_b64 s[4:5], vcc
	s_cbranch_execz .LBB31_644
; %bb.635:
	s_and_b64 vcc, exec, s[0:1]
	s_cbranch_vccnz .LBB31_637
; %bb.636:
	v_cmp_eq_u32_e32 vcc, 1, v0
	s_waitcnt vmcnt(7)
	v_cndmask_b32_e32 v34, v2, v3, vcc
	v_cmp_eq_u32_e32 vcc, 2, v0
	v_cndmask_b32_e32 v34, v34, v4, vcc
	v_cmp_eq_u32_e32 vcc, 3, v0
	;; [unrolled: 2-line block ×24, first 2 shown]
	s_waitcnt vmcnt(6)
	v_cndmask_b32_e32 v34, v34, v27, vcc
	v_cmp_eq_u32_e32 vcc, 26, v0
	s_waitcnt vmcnt(5)
	v_cndmask_b32_e32 v34, v34, v28, vcc
	v_cmp_eq_u32_e32 vcc, 27, v0
	s_waitcnt vmcnt(4)
	v_cndmask_b32_e32 v34, v34, v29, vcc
	v_cmp_eq_u32_e32 vcc, 28, v0
	ds_read_b32 v35, v130
	s_waitcnt vmcnt(3)
	v_cndmask_b32_e32 v34, v34, v30, vcc
	v_cmp_eq_u32_e32 vcc, 29, v0
	s_waitcnt vmcnt(2)
	v_cndmask_b32_e32 v34, v34, v31, vcc
	v_cmp_eq_u32_e32 vcc, 30, v0
	;; [unrolled: 3-line block ×3, first 2 shown]
	s_waitcnt vmcnt(0)
	v_cndmask_b32_e32 v34, v34, v33, vcc
	s_waitcnt lgkmcnt(0)
	v_mul_f32_e32 v36, v34, v35
	s_cbranch_execz .LBB31_638
	s_branch .LBB31_639
.LBB31_637:
                                        ; implicit-def: $vgpr36
.LBB31_638:
	ds_read_b32 v36, v130
.LBB31_639:
	v_cmp_ne_u32_e32 vcc, 15, v0
	s_and_saveexec_b64 s[6:7], vcc
	s_cbranch_execz .LBB31_643
; %bb.640:
	v_mov_b32_e32 v34, 0x84
	v_lshl_add_u32 v37, v0, 2, v34
	v_mov_b32_e32 v35, v1
	s_mov_b64 s[8:9], 0
	v_mov_b32_e32 v34, v0
.LBB31_641:                             ; =>This Inner Loop Header: Depth=1
	v_add_co_u32_e32 v34, vcc, 1, v34
	v_addc_co_u32_e32 v35, vcc, 0, v35, vcc
	v_cmp_eq_u32_e32 vcc, 1, v34
	s_waitcnt vmcnt(7)
	v_cndmask_b32_e32 v39, v2, v3, vcc
	v_cmp_lt_u32_e32 vcc, 14, v34
	v_cmp_eq_u32_e64 s[2:3], 2, v34
	v_cndmask_b32_e64 v39, v39, v4, s[2:3]
	s_or_b64 s[8:9], vcc, s[8:9]
	v_cmp_eq_u32_e32 vcc, 3, v34
	v_cndmask_b32_e32 v39, v39, v5, vcc
	v_cmp_eq_u32_e32 vcc, 4, v34
	v_cndmask_b32_e32 v39, v39, v6, vcc
	;; [unrolled: 2-line block ×22, first 2 shown]
	v_cmp_eq_u32_e32 vcc, 25, v34
	s_waitcnt vmcnt(6)
	v_cndmask_b32_e32 v39, v39, v27, vcc
	v_cmp_eq_u32_e32 vcc, 26, v34
	s_waitcnt vmcnt(5)
	v_cndmask_b32_e32 v39, v39, v28, vcc
	v_cmp_eq_u32_e32 vcc, 27, v34
	ds_read_b32 v38, v37
	s_waitcnt vmcnt(4)
	v_cndmask_b32_e32 v39, v39, v29, vcc
	v_cmp_eq_u32_e32 vcc, 28, v34
	s_waitcnt vmcnt(3)
	v_cndmask_b32_e32 v39, v39, v30, vcc
	v_cmp_eq_u32_e32 vcc, 29, v34
	;; [unrolled: 3-line block ×4, first 2 shown]
	s_waitcnt vmcnt(0)
	v_cndmask_b32_e32 v39, v39, v33, vcc
	v_add_u32_e32 v37, 4, v37
	s_waitcnt lgkmcnt(0)
	v_fmac_f32_e32 v36, v39, v38
	s_andn2_b64 exec, exec, s[8:9]
	s_cbranch_execnz .LBB31_641
; %bb.642:
	s_or_b64 exec, exec, s[8:9]
.LBB31_643:
	s_or_b64 exec, exec, s[6:7]
	v_mov_b32_e32 v18, 0
	ds_read_b32 v18, v18 offset:64
	s_waitcnt lgkmcnt(0)
	v_mul_f32_e32 v18, v36, v18
.LBB31_644:
	s_or_b64 exec, exec, s[4:5]
	v_cmp_gt_u32_e32 vcc, 17, v0
	s_waitcnt vmcnt(15)
	ds_write_b32 v130, v19
	s_waitcnt lgkmcnt(0)
	; wave barrier
	s_and_saveexec_b64 s[4:5], vcc
	s_cbranch_execz .LBB31_654
; %bb.645:
	s_and_b64 vcc, exec, s[0:1]
	s_cbranch_vccnz .LBB31_647
; %bb.646:
	v_cmp_eq_u32_e32 vcc, 1, v0
	s_waitcnt vmcnt(7)
	v_cndmask_b32_e32 v34, v2, v3, vcc
	v_cmp_eq_u32_e32 vcc, 2, v0
	v_cndmask_b32_e32 v34, v34, v4, vcc
	v_cmp_eq_u32_e32 vcc, 3, v0
	;; [unrolled: 2-line block ×24, first 2 shown]
	s_waitcnt vmcnt(6)
	v_cndmask_b32_e32 v34, v34, v27, vcc
	v_cmp_eq_u32_e32 vcc, 26, v0
	s_waitcnt vmcnt(5)
	v_cndmask_b32_e32 v34, v34, v28, vcc
	v_cmp_eq_u32_e32 vcc, 27, v0
	;; [unrolled: 3-line block ×3, first 2 shown]
	ds_read_b32 v35, v130
	s_waitcnt vmcnt(3)
	v_cndmask_b32_e32 v34, v34, v30, vcc
	v_cmp_eq_u32_e32 vcc, 29, v0
	s_waitcnt vmcnt(2)
	v_cndmask_b32_e32 v34, v34, v31, vcc
	v_cmp_eq_u32_e32 vcc, 30, v0
	;; [unrolled: 3-line block ×3, first 2 shown]
	s_waitcnt vmcnt(0)
	v_cndmask_b32_e32 v34, v34, v33, vcc
	s_waitcnt lgkmcnt(0)
	v_mul_f32_e32 v36, v34, v35
	s_cbranch_execz .LBB31_648
	s_branch .LBB31_649
.LBB31_647:
                                        ; implicit-def: $vgpr36
.LBB31_648:
	ds_read_b32 v36, v130
.LBB31_649:
	v_cmp_ne_u32_e32 vcc, 16, v0
	s_and_saveexec_b64 s[6:7], vcc
	s_cbranch_execz .LBB31_653
; %bb.650:
	v_mov_b32_e32 v34, 0x84
	v_lshl_add_u32 v37, v0, 2, v34
	v_mov_b32_e32 v35, v1
	s_mov_b64 s[8:9], 0
	v_mov_b32_e32 v34, v0
.LBB31_651:                             ; =>This Inner Loop Header: Depth=1
	v_add_co_u32_e32 v34, vcc, 1, v34
	v_addc_co_u32_e32 v35, vcc, 0, v35, vcc
	v_cmp_eq_u32_e32 vcc, 1, v34
	s_waitcnt vmcnt(7)
	v_cndmask_b32_e32 v39, v2, v3, vcc
	v_cmp_lt_u32_e32 vcc, 15, v34
	v_cmp_eq_u32_e64 s[2:3], 2, v34
	v_cndmask_b32_e64 v39, v39, v4, s[2:3]
	s_or_b64 s[8:9], vcc, s[8:9]
	v_cmp_eq_u32_e32 vcc, 3, v34
	v_cndmask_b32_e32 v39, v39, v5, vcc
	v_cmp_eq_u32_e32 vcc, 4, v34
	v_cndmask_b32_e32 v39, v39, v6, vcc
	;; [unrolled: 2-line block ×22, first 2 shown]
	v_cmp_eq_u32_e32 vcc, 25, v34
	s_waitcnt vmcnt(6)
	v_cndmask_b32_e32 v39, v39, v27, vcc
	v_cmp_eq_u32_e32 vcc, 26, v34
	s_waitcnt vmcnt(5)
	v_cndmask_b32_e32 v39, v39, v28, vcc
	v_cmp_eq_u32_e32 vcc, 27, v34
	ds_read_b32 v38, v37
	s_waitcnt vmcnt(4)
	v_cndmask_b32_e32 v39, v39, v29, vcc
	v_cmp_eq_u32_e32 vcc, 28, v34
	s_waitcnt vmcnt(3)
	v_cndmask_b32_e32 v39, v39, v30, vcc
	v_cmp_eq_u32_e32 vcc, 29, v34
	;; [unrolled: 3-line block ×4, first 2 shown]
	s_waitcnt vmcnt(0)
	v_cndmask_b32_e32 v39, v39, v33, vcc
	v_add_u32_e32 v37, 4, v37
	s_waitcnt lgkmcnt(0)
	v_fmac_f32_e32 v36, v39, v38
	s_andn2_b64 exec, exec, s[8:9]
	s_cbranch_execnz .LBB31_651
; %bb.652:
	s_or_b64 exec, exec, s[8:9]
.LBB31_653:
	s_or_b64 exec, exec, s[6:7]
	v_mov_b32_e32 v19, 0
	ds_read_b32 v19, v19 offset:68
	s_waitcnt lgkmcnt(0)
	v_mul_f32_e32 v19, v36, v19
.LBB31_654:
	s_or_b64 exec, exec, s[4:5]
	v_cmp_gt_u32_e32 vcc, 18, v0
	s_waitcnt vmcnt(14)
	ds_write_b32 v130, v20
	s_waitcnt lgkmcnt(0)
	; wave barrier
	s_and_saveexec_b64 s[4:5], vcc
	s_cbranch_execz .LBB31_664
; %bb.655:
	s_and_b64 vcc, exec, s[0:1]
	s_cbranch_vccnz .LBB31_657
; %bb.656:
	v_cmp_eq_u32_e32 vcc, 1, v0
	s_waitcnt vmcnt(7)
	v_cndmask_b32_e32 v34, v2, v3, vcc
	v_cmp_eq_u32_e32 vcc, 2, v0
	v_cndmask_b32_e32 v34, v34, v4, vcc
	v_cmp_eq_u32_e32 vcc, 3, v0
	;; [unrolled: 2-line block ×24, first 2 shown]
	s_waitcnt vmcnt(6)
	v_cndmask_b32_e32 v34, v34, v27, vcc
	v_cmp_eq_u32_e32 vcc, 26, v0
	s_waitcnt vmcnt(5)
	v_cndmask_b32_e32 v34, v34, v28, vcc
	v_cmp_eq_u32_e32 vcc, 27, v0
	;; [unrolled: 3-line block ×3, first 2 shown]
	ds_read_b32 v35, v130
	s_waitcnt vmcnt(3)
	v_cndmask_b32_e32 v34, v34, v30, vcc
	v_cmp_eq_u32_e32 vcc, 29, v0
	s_waitcnt vmcnt(2)
	v_cndmask_b32_e32 v34, v34, v31, vcc
	v_cmp_eq_u32_e32 vcc, 30, v0
	;; [unrolled: 3-line block ×3, first 2 shown]
	s_waitcnt vmcnt(0)
	v_cndmask_b32_e32 v34, v34, v33, vcc
	s_waitcnt lgkmcnt(0)
	v_mul_f32_e32 v36, v34, v35
	s_cbranch_execz .LBB31_658
	s_branch .LBB31_659
.LBB31_657:
                                        ; implicit-def: $vgpr36
.LBB31_658:
	ds_read_b32 v36, v130
.LBB31_659:
	v_cmp_ne_u32_e32 vcc, 17, v0
	s_and_saveexec_b64 s[6:7], vcc
	s_cbranch_execz .LBB31_663
; %bb.660:
	v_mov_b32_e32 v34, 0x84
	v_lshl_add_u32 v37, v0, 2, v34
	v_mov_b32_e32 v35, v1
	s_mov_b64 s[8:9], 0
	v_mov_b32_e32 v34, v0
.LBB31_661:                             ; =>This Inner Loop Header: Depth=1
	v_add_co_u32_e32 v34, vcc, 1, v34
	v_addc_co_u32_e32 v35, vcc, 0, v35, vcc
	v_cmp_eq_u32_e32 vcc, 1, v34
	s_waitcnt vmcnt(7)
	v_cndmask_b32_e32 v39, v2, v3, vcc
	v_cmp_lt_u32_e32 vcc, 16, v34
	v_cmp_eq_u32_e64 s[2:3], 2, v34
	v_cndmask_b32_e64 v39, v39, v4, s[2:3]
	s_or_b64 s[8:9], vcc, s[8:9]
	v_cmp_eq_u32_e32 vcc, 3, v34
	v_cndmask_b32_e32 v39, v39, v5, vcc
	v_cmp_eq_u32_e32 vcc, 4, v34
	v_cndmask_b32_e32 v39, v39, v6, vcc
	;; [unrolled: 2-line block ×22, first 2 shown]
	v_cmp_eq_u32_e32 vcc, 25, v34
	s_waitcnt vmcnt(6)
	v_cndmask_b32_e32 v39, v39, v27, vcc
	v_cmp_eq_u32_e32 vcc, 26, v34
	s_waitcnt vmcnt(5)
	v_cndmask_b32_e32 v39, v39, v28, vcc
	v_cmp_eq_u32_e32 vcc, 27, v34
	ds_read_b32 v38, v37
	s_waitcnt vmcnt(4)
	v_cndmask_b32_e32 v39, v39, v29, vcc
	v_cmp_eq_u32_e32 vcc, 28, v34
	s_waitcnt vmcnt(3)
	v_cndmask_b32_e32 v39, v39, v30, vcc
	v_cmp_eq_u32_e32 vcc, 29, v34
	;; [unrolled: 3-line block ×4, first 2 shown]
	s_waitcnt vmcnt(0)
	v_cndmask_b32_e32 v39, v39, v33, vcc
	v_add_u32_e32 v37, 4, v37
	s_waitcnt lgkmcnt(0)
	v_fmac_f32_e32 v36, v39, v38
	s_andn2_b64 exec, exec, s[8:9]
	s_cbranch_execnz .LBB31_661
; %bb.662:
	s_or_b64 exec, exec, s[8:9]
.LBB31_663:
	s_or_b64 exec, exec, s[6:7]
	v_mov_b32_e32 v20, 0
	ds_read_b32 v20, v20 offset:72
	s_waitcnt lgkmcnt(0)
	v_mul_f32_e32 v20, v36, v20
.LBB31_664:
	s_or_b64 exec, exec, s[4:5]
	v_cmp_gt_u32_e32 vcc, 19, v0
	s_waitcnt vmcnt(13)
	ds_write_b32 v130, v21
	s_waitcnt lgkmcnt(0)
	; wave barrier
	s_and_saveexec_b64 s[4:5], vcc
	s_cbranch_execz .LBB31_674
; %bb.665:
	s_and_b64 vcc, exec, s[0:1]
	s_cbranch_vccnz .LBB31_667
; %bb.666:
	v_cmp_eq_u32_e32 vcc, 1, v0
	s_waitcnt vmcnt(7)
	v_cndmask_b32_e32 v34, v2, v3, vcc
	v_cmp_eq_u32_e32 vcc, 2, v0
	v_cndmask_b32_e32 v34, v34, v4, vcc
	v_cmp_eq_u32_e32 vcc, 3, v0
	;; [unrolled: 2-line block ×24, first 2 shown]
	s_waitcnt vmcnt(6)
	v_cndmask_b32_e32 v34, v34, v27, vcc
	v_cmp_eq_u32_e32 vcc, 26, v0
	s_waitcnt vmcnt(5)
	v_cndmask_b32_e32 v34, v34, v28, vcc
	v_cmp_eq_u32_e32 vcc, 27, v0
	;; [unrolled: 3-line block ×3, first 2 shown]
	ds_read_b32 v35, v130
	s_waitcnt vmcnt(3)
	v_cndmask_b32_e32 v34, v34, v30, vcc
	v_cmp_eq_u32_e32 vcc, 29, v0
	s_waitcnt vmcnt(2)
	v_cndmask_b32_e32 v34, v34, v31, vcc
	v_cmp_eq_u32_e32 vcc, 30, v0
	;; [unrolled: 3-line block ×3, first 2 shown]
	s_waitcnt vmcnt(0)
	v_cndmask_b32_e32 v34, v34, v33, vcc
	s_waitcnt lgkmcnt(0)
	v_mul_f32_e32 v36, v34, v35
	s_cbranch_execz .LBB31_668
	s_branch .LBB31_669
.LBB31_667:
                                        ; implicit-def: $vgpr36
.LBB31_668:
	ds_read_b32 v36, v130
.LBB31_669:
	v_cmp_ne_u32_e32 vcc, 18, v0
	s_and_saveexec_b64 s[6:7], vcc
	s_cbranch_execz .LBB31_673
; %bb.670:
	v_mov_b32_e32 v34, 0x84
	v_lshl_add_u32 v37, v0, 2, v34
	v_mov_b32_e32 v35, v1
	s_mov_b64 s[8:9], 0
	v_mov_b32_e32 v34, v0
.LBB31_671:                             ; =>This Inner Loop Header: Depth=1
	v_add_co_u32_e32 v34, vcc, 1, v34
	v_addc_co_u32_e32 v35, vcc, 0, v35, vcc
	v_cmp_eq_u32_e32 vcc, 1, v34
	s_waitcnt vmcnt(7)
	v_cndmask_b32_e32 v39, v2, v3, vcc
	v_cmp_lt_u32_e32 vcc, 17, v34
	v_cmp_eq_u32_e64 s[2:3], 2, v34
	v_cndmask_b32_e64 v39, v39, v4, s[2:3]
	s_or_b64 s[8:9], vcc, s[8:9]
	v_cmp_eq_u32_e32 vcc, 3, v34
	v_cndmask_b32_e32 v39, v39, v5, vcc
	v_cmp_eq_u32_e32 vcc, 4, v34
	v_cndmask_b32_e32 v39, v39, v6, vcc
	;; [unrolled: 2-line block ×22, first 2 shown]
	v_cmp_eq_u32_e32 vcc, 25, v34
	s_waitcnt vmcnt(6)
	v_cndmask_b32_e32 v39, v39, v27, vcc
	v_cmp_eq_u32_e32 vcc, 26, v34
	s_waitcnt vmcnt(5)
	v_cndmask_b32_e32 v39, v39, v28, vcc
	v_cmp_eq_u32_e32 vcc, 27, v34
	ds_read_b32 v38, v37
	s_waitcnt vmcnt(4)
	v_cndmask_b32_e32 v39, v39, v29, vcc
	v_cmp_eq_u32_e32 vcc, 28, v34
	s_waitcnt vmcnt(3)
	v_cndmask_b32_e32 v39, v39, v30, vcc
	v_cmp_eq_u32_e32 vcc, 29, v34
	;; [unrolled: 3-line block ×4, first 2 shown]
	s_waitcnt vmcnt(0)
	v_cndmask_b32_e32 v39, v39, v33, vcc
	v_add_u32_e32 v37, 4, v37
	s_waitcnt lgkmcnt(0)
	v_fmac_f32_e32 v36, v39, v38
	s_andn2_b64 exec, exec, s[8:9]
	s_cbranch_execnz .LBB31_671
; %bb.672:
	s_or_b64 exec, exec, s[8:9]
.LBB31_673:
	s_or_b64 exec, exec, s[6:7]
	v_mov_b32_e32 v21, 0
	ds_read_b32 v21, v21 offset:76
	s_waitcnt lgkmcnt(0)
	v_mul_f32_e32 v21, v36, v21
.LBB31_674:
	s_or_b64 exec, exec, s[4:5]
	v_cmp_gt_u32_e32 vcc, 20, v0
	s_waitcnt vmcnt(12)
	ds_write_b32 v130, v22
	s_waitcnt lgkmcnt(0)
	; wave barrier
	s_and_saveexec_b64 s[4:5], vcc
	s_cbranch_execz .LBB31_684
; %bb.675:
	s_and_b64 vcc, exec, s[0:1]
	s_cbranch_vccnz .LBB31_677
; %bb.676:
	v_cmp_eq_u32_e32 vcc, 1, v0
	s_waitcnt vmcnt(7)
	v_cndmask_b32_e32 v34, v2, v3, vcc
	v_cmp_eq_u32_e32 vcc, 2, v0
	v_cndmask_b32_e32 v34, v34, v4, vcc
	v_cmp_eq_u32_e32 vcc, 3, v0
	;; [unrolled: 2-line block ×24, first 2 shown]
	s_waitcnt vmcnt(6)
	v_cndmask_b32_e32 v34, v34, v27, vcc
	v_cmp_eq_u32_e32 vcc, 26, v0
	s_waitcnt vmcnt(5)
	v_cndmask_b32_e32 v34, v34, v28, vcc
	v_cmp_eq_u32_e32 vcc, 27, v0
	s_waitcnt vmcnt(4)
	v_cndmask_b32_e32 v34, v34, v29, vcc
	v_cmp_eq_u32_e32 vcc, 28, v0
	ds_read_b32 v35, v130
	s_waitcnt vmcnt(3)
	v_cndmask_b32_e32 v34, v34, v30, vcc
	v_cmp_eq_u32_e32 vcc, 29, v0
	s_waitcnt vmcnt(2)
	v_cndmask_b32_e32 v34, v34, v31, vcc
	v_cmp_eq_u32_e32 vcc, 30, v0
	;; [unrolled: 3-line block ×3, first 2 shown]
	s_waitcnt vmcnt(0)
	v_cndmask_b32_e32 v34, v34, v33, vcc
	s_waitcnt lgkmcnt(0)
	v_mul_f32_e32 v36, v34, v35
	s_cbranch_execz .LBB31_678
	s_branch .LBB31_679
.LBB31_677:
                                        ; implicit-def: $vgpr36
.LBB31_678:
	ds_read_b32 v36, v130
.LBB31_679:
	v_cmp_ne_u32_e32 vcc, 19, v0
	s_and_saveexec_b64 s[6:7], vcc
	s_cbranch_execz .LBB31_683
; %bb.680:
	v_mov_b32_e32 v34, 0x84
	v_lshl_add_u32 v37, v0, 2, v34
	v_mov_b32_e32 v35, v1
	s_mov_b64 s[8:9], 0
	v_mov_b32_e32 v34, v0
.LBB31_681:                             ; =>This Inner Loop Header: Depth=1
	v_add_co_u32_e32 v34, vcc, 1, v34
	v_addc_co_u32_e32 v35, vcc, 0, v35, vcc
	v_cmp_eq_u32_e32 vcc, 1, v34
	s_waitcnt vmcnt(7)
	v_cndmask_b32_e32 v39, v2, v3, vcc
	v_cmp_lt_u32_e32 vcc, 18, v34
	v_cmp_eq_u32_e64 s[2:3], 2, v34
	v_cndmask_b32_e64 v39, v39, v4, s[2:3]
	s_or_b64 s[8:9], vcc, s[8:9]
	v_cmp_eq_u32_e32 vcc, 3, v34
	v_cndmask_b32_e32 v39, v39, v5, vcc
	v_cmp_eq_u32_e32 vcc, 4, v34
	v_cndmask_b32_e32 v39, v39, v6, vcc
	;; [unrolled: 2-line block ×22, first 2 shown]
	v_cmp_eq_u32_e32 vcc, 25, v34
	s_waitcnt vmcnt(6)
	v_cndmask_b32_e32 v39, v39, v27, vcc
	v_cmp_eq_u32_e32 vcc, 26, v34
	s_waitcnt vmcnt(5)
	v_cndmask_b32_e32 v39, v39, v28, vcc
	v_cmp_eq_u32_e32 vcc, 27, v34
	ds_read_b32 v38, v37
	s_waitcnt vmcnt(4)
	v_cndmask_b32_e32 v39, v39, v29, vcc
	v_cmp_eq_u32_e32 vcc, 28, v34
	s_waitcnt vmcnt(3)
	v_cndmask_b32_e32 v39, v39, v30, vcc
	v_cmp_eq_u32_e32 vcc, 29, v34
	;; [unrolled: 3-line block ×4, first 2 shown]
	s_waitcnt vmcnt(0)
	v_cndmask_b32_e32 v39, v39, v33, vcc
	v_add_u32_e32 v37, 4, v37
	s_waitcnt lgkmcnt(0)
	v_fmac_f32_e32 v36, v39, v38
	s_andn2_b64 exec, exec, s[8:9]
	s_cbranch_execnz .LBB31_681
; %bb.682:
	s_or_b64 exec, exec, s[8:9]
.LBB31_683:
	s_or_b64 exec, exec, s[6:7]
	v_mov_b32_e32 v22, 0
	ds_read_b32 v22, v22 offset:80
	s_waitcnt lgkmcnt(0)
	v_mul_f32_e32 v22, v36, v22
.LBB31_684:
	s_or_b64 exec, exec, s[4:5]
	v_cmp_gt_u32_e32 vcc, 21, v0
	s_waitcnt vmcnt(11)
	ds_write_b32 v130, v23
	s_waitcnt lgkmcnt(0)
	; wave barrier
	s_and_saveexec_b64 s[4:5], vcc
	s_cbranch_execz .LBB31_694
; %bb.685:
	s_and_b64 vcc, exec, s[0:1]
	s_cbranch_vccnz .LBB31_687
; %bb.686:
	v_cmp_eq_u32_e32 vcc, 1, v0
	s_waitcnt vmcnt(7)
	v_cndmask_b32_e32 v34, v2, v3, vcc
	v_cmp_eq_u32_e32 vcc, 2, v0
	v_cndmask_b32_e32 v34, v34, v4, vcc
	v_cmp_eq_u32_e32 vcc, 3, v0
	;; [unrolled: 2-line block ×24, first 2 shown]
	s_waitcnt vmcnt(6)
	v_cndmask_b32_e32 v34, v34, v27, vcc
	v_cmp_eq_u32_e32 vcc, 26, v0
	s_waitcnt vmcnt(5)
	v_cndmask_b32_e32 v34, v34, v28, vcc
	v_cmp_eq_u32_e32 vcc, 27, v0
	;; [unrolled: 3-line block ×3, first 2 shown]
	ds_read_b32 v35, v130
	s_waitcnt vmcnt(3)
	v_cndmask_b32_e32 v34, v34, v30, vcc
	v_cmp_eq_u32_e32 vcc, 29, v0
	s_waitcnt vmcnt(2)
	v_cndmask_b32_e32 v34, v34, v31, vcc
	v_cmp_eq_u32_e32 vcc, 30, v0
	s_waitcnt vmcnt(1)
	v_cndmask_b32_e32 v34, v34, v32, vcc
	v_cmp_eq_u32_e32 vcc, 31, v0
	s_waitcnt vmcnt(0)
	v_cndmask_b32_e32 v34, v34, v33, vcc
	s_waitcnt lgkmcnt(0)
	v_mul_f32_e32 v36, v34, v35
	s_cbranch_execz .LBB31_688
	s_branch .LBB31_689
.LBB31_687:
                                        ; implicit-def: $vgpr36
.LBB31_688:
	ds_read_b32 v36, v130
.LBB31_689:
	v_cmp_ne_u32_e32 vcc, 20, v0
	s_and_saveexec_b64 s[6:7], vcc
	s_cbranch_execz .LBB31_693
; %bb.690:
	v_mov_b32_e32 v34, 0x84
	v_lshl_add_u32 v37, v0, 2, v34
	v_mov_b32_e32 v35, v1
	s_mov_b64 s[8:9], 0
	v_mov_b32_e32 v34, v0
.LBB31_691:                             ; =>This Inner Loop Header: Depth=1
	v_add_co_u32_e32 v34, vcc, 1, v34
	v_addc_co_u32_e32 v35, vcc, 0, v35, vcc
	v_cmp_eq_u32_e32 vcc, 1, v34
	s_waitcnt vmcnt(7)
	v_cndmask_b32_e32 v39, v2, v3, vcc
	v_cmp_lt_u32_e32 vcc, 19, v34
	v_cmp_eq_u32_e64 s[2:3], 2, v34
	v_cndmask_b32_e64 v39, v39, v4, s[2:3]
	s_or_b64 s[8:9], vcc, s[8:9]
	v_cmp_eq_u32_e32 vcc, 3, v34
	v_cndmask_b32_e32 v39, v39, v5, vcc
	v_cmp_eq_u32_e32 vcc, 4, v34
	v_cndmask_b32_e32 v39, v39, v6, vcc
	;; [unrolled: 2-line block ×22, first 2 shown]
	v_cmp_eq_u32_e32 vcc, 25, v34
	s_waitcnt vmcnt(6)
	v_cndmask_b32_e32 v39, v39, v27, vcc
	v_cmp_eq_u32_e32 vcc, 26, v34
	s_waitcnt vmcnt(5)
	v_cndmask_b32_e32 v39, v39, v28, vcc
	v_cmp_eq_u32_e32 vcc, 27, v34
	ds_read_b32 v38, v37
	s_waitcnt vmcnt(4)
	v_cndmask_b32_e32 v39, v39, v29, vcc
	v_cmp_eq_u32_e32 vcc, 28, v34
	s_waitcnt vmcnt(3)
	v_cndmask_b32_e32 v39, v39, v30, vcc
	v_cmp_eq_u32_e32 vcc, 29, v34
	;; [unrolled: 3-line block ×4, first 2 shown]
	s_waitcnt vmcnt(0)
	v_cndmask_b32_e32 v39, v39, v33, vcc
	v_add_u32_e32 v37, 4, v37
	s_waitcnt lgkmcnt(0)
	v_fmac_f32_e32 v36, v39, v38
	s_andn2_b64 exec, exec, s[8:9]
	s_cbranch_execnz .LBB31_691
; %bb.692:
	s_or_b64 exec, exec, s[8:9]
.LBB31_693:
	s_or_b64 exec, exec, s[6:7]
	v_mov_b32_e32 v23, 0
	ds_read_b32 v23, v23 offset:84
	s_waitcnt lgkmcnt(0)
	v_mul_f32_e32 v23, v36, v23
.LBB31_694:
	s_or_b64 exec, exec, s[4:5]
	v_cmp_gt_u32_e32 vcc, 22, v0
	s_waitcnt vmcnt(10)
	ds_write_b32 v130, v24
	s_waitcnt lgkmcnt(0)
	; wave barrier
	s_and_saveexec_b64 s[4:5], vcc
	s_cbranch_execz .LBB31_704
; %bb.695:
	s_and_b64 vcc, exec, s[0:1]
	s_cbranch_vccnz .LBB31_697
; %bb.696:
	v_cmp_eq_u32_e32 vcc, 1, v0
	s_waitcnt vmcnt(7)
	v_cndmask_b32_e32 v34, v2, v3, vcc
	v_cmp_eq_u32_e32 vcc, 2, v0
	v_cndmask_b32_e32 v34, v34, v4, vcc
	v_cmp_eq_u32_e32 vcc, 3, v0
	;; [unrolled: 2-line block ×24, first 2 shown]
	s_waitcnt vmcnt(6)
	v_cndmask_b32_e32 v34, v34, v27, vcc
	v_cmp_eq_u32_e32 vcc, 26, v0
	s_waitcnt vmcnt(5)
	v_cndmask_b32_e32 v34, v34, v28, vcc
	v_cmp_eq_u32_e32 vcc, 27, v0
	;; [unrolled: 3-line block ×3, first 2 shown]
	ds_read_b32 v35, v130
	s_waitcnt vmcnt(3)
	v_cndmask_b32_e32 v34, v34, v30, vcc
	v_cmp_eq_u32_e32 vcc, 29, v0
	s_waitcnt vmcnt(2)
	v_cndmask_b32_e32 v34, v34, v31, vcc
	v_cmp_eq_u32_e32 vcc, 30, v0
	;; [unrolled: 3-line block ×3, first 2 shown]
	s_waitcnt vmcnt(0)
	v_cndmask_b32_e32 v34, v34, v33, vcc
	s_waitcnt lgkmcnt(0)
	v_mul_f32_e32 v36, v34, v35
	s_cbranch_execz .LBB31_698
	s_branch .LBB31_699
.LBB31_697:
                                        ; implicit-def: $vgpr36
.LBB31_698:
	ds_read_b32 v36, v130
.LBB31_699:
	v_cmp_ne_u32_e32 vcc, 21, v0
	s_and_saveexec_b64 s[6:7], vcc
	s_cbranch_execz .LBB31_703
; %bb.700:
	v_mov_b32_e32 v34, 0x84
	v_lshl_add_u32 v37, v0, 2, v34
	v_mov_b32_e32 v35, v1
	s_mov_b64 s[8:9], 0
	v_mov_b32_e32 v34, v0
.LBB31_701:                             ; =>This Inner Loop Header: Depth=1
	v_add_co_u32_e32 v34, vcc, 1, v34
	v_addc_co_u32_e32 v35, vcc, 0, v35, vcc
	v_cmp_eq_u32_e32 vcc, 1, v34
	s_waitcnt vmcnt(7)
	v_cndmask_b32_e32 v39, v2, v3, vcc
	v_cmp_lt_u32_e32 vcc, 20, v34
	v_cmp_eq_u32_e64 s[2:3], 2, v34
	v_cndmask_b32_e64 v39, v39, v4, s[2:3]
	s_or_b64 s[8:9], vcc, s[8:9]
	v_cmp_eq_u32_e32 vcc, 3, v34
	v_cndmask_b32_e32 v39, v39, v5, vcc
	v_cmp_eq_u32_e32 vcc, 4, v34
	v_cndmask_b32_e32 v39, v39, v6, vcc
	;; [unrolled: 2-line block ×22, first 2 shown]
	v_cmp_eq_u32_e32 vcc, 25, v34
	s_waitcnt vmcnt(6)
	v_cndmask_b32_e32 v39, v39, v27, vcc
	v_cmp_eq_u32_e32 vcc, 26, v34
	s_waitcnt vmcnt(5)
	v_cndmask_b32_e32 v39, v39, v28, vcc
	v_cmp_eq_u32_e32 vcc, 27, v34
	ds_read_b32 v38, v37
	s_waitcnt vmcnt(4)
	v_cndmask_b32_e32 v39, v39, v29, vcc
	v_cmp_eq_u32_e32 vcc, 28, v34
	s_waitcnt vmcnt(3)
	v_cndmask_b32_e32 v39, v39, v30, vcc
	v_cmp_eq_u32_e32 vcc, 29, v34
	;; [unrolled: 3-line block ×4, first 2 shown]
	s_waitcnt vmcnt(0)
	v_cndmask_b32_e32 v39, v39, v33, vcc
	v_add_u32_e32 v37, 4, v37
	s_waitcnt lgkmcnt(0)
	v_fmac_f32_e32 v36, v39, v38
	s_andn2_b64 exec, exec, s[8:9]
	s_cbranch_execnz .LBB31_701
; %bb.702:
	s_or_b64 exec, exec, s[8:9]
.LBB31_703:
	s_or_b64 exec, exec, s[6:7]
	v_mov_b32_e32 v24, 0
	ds_read_b32 v24, v24 offset:88
	s_waitcnt lgkmcnt(0)
	v_mul_f32_e32 v24, v36, v24
.LBB31_704:
	s_or_b64 exec, exec, s[4:5]
	v_cmp_gt_u32_e32 vcc, 23, v0
	s_waitcnt vmcnt(9)
	ds_write_b32 v130, v25
	s_waitcnt lgkmcnt(0)
	; wave barrier
	s_and_saveexec_b64 s[4:5], vcc
	s_cbranch_execz .LBB31_714
; %bb.705:
	s_and_b64 vcc, exec, s[0:1]
	s_cbranch_vccnz .LBB31_707
; %bb.706:
	v_cmp_eq_u32_e32 vcc, 1, v0
	s_waitcnt vmcnt(7)
	v_cndmask_b32_e32 v34, v2, v3, vcc
	v_cmp_eq_u32_e32 vcc, 2, v0
	v_cndmask_b32_e32 v34, v34, v4, vcc
	v_cmp_eq_u32_e32 vcc, 3, v0
	;; [unrolled: 2-line block ×24, first 2 shown]
	s_waitcnt vmcnt(6)
	v_cndmask_b32_e32 v34, v34, v27, vcc
	v_cmp_eq_u32_e32 vcc, 26, v0
	s_waitcnt vmcnt(5)
	v_cndmask_b32_e32 v34, v34, v28, vcc
	v_cmp_eq_u32_e32 vcc, 27, v0
	;; [unrolled: 3-line block ×3, first 2 shown]
	ds_read_b32 v35, v130
	s_waitcnt vmcnt(3)
	v_cndmask_b32_e32 v34, v34, v30, vcc
	v_cmp_eq_u32_e32 vcc, 29, v0
	s_waitcnt vmcnt(2)
	v_cndmask_b32_e32 v34, v34, v31, vcc
	v_cmp_eq_u32_e32 vcc, 30, v0
	;; [unrolled: 3-line block ×3, first 2 shown]
	s_waitcnt vmcnt(0)
	v_cndmask_b32_e32 v34, v34, v33, vcc
	s_waitcnt lgkmcnt(0)
	v_mul_f32_e32 v36, v34, v35
	s_cbranch_execz .LBB31_708
	s_branch .LBB31_709
.LBB31_707:
                                        ; implicit-def: $vgpr36
.LBB31_708:
	ds_read_b32 v36, v130
.LBB31_709:
	v_cmp_ne_u32_e32 vcc, 22, v0
	s_and_saveexec_b64 s[6:7], vcc
	s_cbranch_execz .LBB31_713
; %bb.710:
	v_mov_b32_e32 v34, 0x84
	v_lshl_add_u32 v37, v0, 2, v34
	v_mov_b32_e32 v35, v1
	s_mov_b64 s[8:9], 0
	v_mov_b32_e32 v34, v0
.LBB31_711:                             ; =>This Inner Loop Header: Depth=1
	v_add_co_u32_e32 v34, vcc, 1, v34
	v_addc_co_u32_e32 v35, vcc, 0, v35, vcc
	v_cmp_eq_u32_e32 vcc, 1, v34
	s_waitcnt vmcnt(7)
	v_cndmask_b32_e32 v39, v2, v3, vcc
	v_cmp_lt_u32_e32 vcc, 21, v34
	v_cmp_eq_u32_e64 s[2:3], 2, v34
	v_cndmask_b32_e64 v39, v39, v4, s[2:3]
	s_or_b64 s[8:9], vcc, s[8:9]
	v_cmp_eq_u32_e32 vcc, 3, v34
	v_cndmask_b32_e32 v39, v39, v5, vcc
	v_cmp_eq_u32_e32 vcc, 4, v34
	v_cndmask_b32_e32 v39, v39, v6, vcc
	;; [unrolled: 2-line block ×22, first 2 shown]
	v_cmp_eq_u32_e32 vcc, 25, v34
	s_waitcnt vmcnt(6)
	v_cndmask_b32_e32 v39, v39, v27, vcc
	v_cmp_eq_u32_e32 vcc, 26, v34
	s_waitcnt vmcnt(5)
	v_cndmask_b32_e32 v39, v39, v28, vcc
	v_cmp_eq_u32_e32 vcc, 27, v34
	ds_read_b32 v38, v37
	s_waitcnt vmcnt(4)
	v_cndmask_b32_e32 v39, v39, v29, vcc
	v_cmp_eq_u32_e32 vcc, 28, v34
	s_waitcnt vmcnt(3)
	v_cndmask_b32_e32 v39, v39, v30, vcc
	v_cmp_eq_u32_e32 vcc, 29, v34
	;; [unrolled: 3-line block ×4, first 2 shown]
	s_waitcnt vmcnt(0)
	v_cndmask_b32_e32 v39, v39, v33, vcc
	v_add_u32_e32 v37, 4, v37
	s_waitcnt lgkmcnt(0)
	v_fmac_f32_e32 v36, v39, v38
	s_andn2_b64 exec, exec, s[8:9]
	s_cbranch_execnz .LBB31_711
; %bb.712:
	s_or_b64 exec, exec, s[8:9]
.LBB31_713:
	s_or_b64 exec, exec, s[6:7]
	v_mov_b32_e32 v25, 0
	ds_read_b32 v25, v25 offset:92
	s_waitcnt lgkmcnt(0)
	v_mul_f32_e32 v25, v36, v25
.LBB31_714:
	s_or_b64 exec, exec, s[4:5]
	v_cmp_gt_u32_e32 vcc, 24, v0
	s_waitcnt vmcnt(8)
	ds_write_b32 v130, v26
	s_waitcnt lgkmcnt(0)
	; wave barrier
	s_and_saveexec_b64 s[4:5], vcc
	s_cbranch_execz .LBB31_724
; %bb.715:
	s_and_b64 vcc, exec, s[0:1]
	s_cbranch_vccnz .LBB31_717
; %bb.716:
	v_cmp_eq_u32_e32 vcc, 1, v0
	s_waitcnt vmcnt(7)
	v_cndmask_b32_e32 v34, v2, v3, vcc
	v_cmp_eq_u32_e32 vcc, 2, v0
	v_cndmask_b32_e32 v34, v34, v4, vcc
	v_cmp_eq_u32_e32 vcc, 3, v0
	;; [unrolled: 2-line block ×24, first 2 shown]
	s_waitcnt vmcnt(6)
	v_cndmask_b32_e32 v34, v34, v27, vcc
	v_cmp_eq_u32_e32 vcc, 26, v0
	s_waitcnt vmcnt(5)
	v_cndmask_b32_e32 v34, v34, v28, vcc
	v_cmp_eq_u32_e32 vcc, 27, v0
	;; [unrolled: 3-line block ×3, first 2 shown]
	ds_read_b32 v35, v130
	s_waitcnt vmcnt(3)
	v_cndmask_b32_e32 v34, v34, v30, vcc
	v_cmp_eq_u32_e32 vcc, 29, v0
	s_waitcnt vmcnt(2)
	v_cndmask_b32_e32 v34, v34, v31, vcc
	v_cmp_eq_u32_e32 vcc, 30, v0
	;; [unrolled: 3-line block ×3, first 2 shown]
	s_waitcnt vmcnt(0)
	v_cndmask_b32_e32 v34, v34, v33, vcc
	s_waitcnt lgkmcnt(0)
	v_mul_f32_e32 v36, v34, v35
	s_cbranch_execz .LBB31_718
	s_branch .LBB31_719
.LBB31_717:
                                        ; implicit-def: $vgpr36
.LBB31_718:
	ds_read_b32 v36, v130
.LBB31_719:
	v_cmp_ne_u32_e32 vcc, 23, v0
	s_and_saveexec_b64 s[6:7], vcc
	s_cbranch_execz .LBB31_723
; %bb.720:
	v_mov_b32_e32 v34, 0x84
	v_lshl_add_u32 v37, v0, 2, v34
	v_mov_b32_e32 v35, v1
	s_mov_b64 s[8:9], 0
	v_mov_b32_e32 v34, v0
.LBB31_721:                             ; =>This Inner Loop Header: Depth=1
	v_add_co_u32_e32 v34, vcc, 1, v34
	v_addc_co_u32_e32 v35, vcc, 0, v35, vcc
	v_cmp_eq_u32_e32 vcc, 1, v34
	s_waitcnt vmcnt(7)
	v_cndmask_b32_e32 v39, v2, v3, vcc
	v_cmp_lt_u32_e32 vcc, 22, v34
	v_cmp_eq_u32_e64 s[2:3], 2, v34
	v_cndmask_b32_e64 v39, v39, v4, s[2:3]
	s_or_b64 s[8:9], vcc, s[8:9]
	v_cmp_eq_u32_e32 vcc, 3, v34
	v_cndmask_b32_e32 v39, v39, v5, vcc
	v_cmp_eq_u32_e32 vcc, 4, v34
	v_cndmask_b32_e32 v39, v39, v6, vcc
	;; [unrolled: 2-line block ×22, first 2 shown]
	v_cmp_eq_u32_e32 vcc, 25, v34
	s_waitcnt vmcnt(6)
	v_cndmask_b32_e32 v39, v39, v27, vcc
	v_cmp_eq_u32_e32 vcc, 26, v34
	s_waitcnt vmcnt(5)
	v_cndmask_b32_e32 v39, v39, v28, vcc
	v_cmp_eq_u32_e32 vcc, 27, v34
	ds_read_b32 v38, v37
	s_waitcnt vmcnt(4)
	v_cndmask_b32_e32 v39, v39, v29, vcc
	v_cmp_eq_u32_e32 vcc, 28, v34
	s_waitcnt vmcnt(3)
	v_cndmask_b32_e32 v39, v39, v30, vcc
	v_cmp_eq_u32_e32 vcc, 29, v34
	;; [unrolled: 3-line block ×4, first 2 shown]
	s_waitcnt vmcnt(0)
	v_cndmask_b32_e32 v39, v39, v33, vcc
	v_add_u32_e32 v37, 4, v37
	s_waitcnt lgkmcnt(0)
	v_fmac_f32_e32 v36, v39, v38
	s_andn2_b64 exec, exec, s[8:9]
	s_cbranch_execnz .LBB31_721
; %bb.722:
	s_or_b64 exec, exec, s[8:9]
.LBB31_723:
	s_or_b64 exec, exec, s[6:7]
	v_mov_b32_e32 v26, 0
	ds_read_b32 v26, v26 offset:96
	s_waitcnt lgkmcnt(0)
	v_mul_f32_e32 v26, v36, v26
.LBB31_724:
	s_or_b64 exec, exec, s[4:5]
	v_cmp_gt_u32_e32 vcc, 25, v0
	s_waitcnt vmcnt(6)
	ds_write_b32 v130, v27
	s_waitcnt lgkmcnt(0)
	; wave barrier
	s_and_saveexec_b64 s[4:5], vcc
	s_cbranch_execz .LBB31_734
; %bb.725:
	s_and_b64 vcc, exec, s[0:1]
	s_cbranch_vccnz .LBB31_727
; %bb.726:
	v_cmp_eq_u32_e32 vcc, 1, v0
	v_cndmask_b32_e32 v34, v2, v3, vcc
	v_cmp_eq_u32_e32 vcc, 2, v0
	v_cndmask_b32_e32 v34, v34, v4, vcc
	;; [unrolled: 2-line block ×25, first 2 shown]
	v_cmp_eq_u32_e32 vcc, 26, v0
	s_waitcnt vmcnt(5)
	v_cndmask_b32_e32 v34, v34, v28, vcc
	v_cmp_eq_u32_e32 vcc, 27, v0
	s_waitcnt vmcnt(4)
	v_cndmask_b32_e32 v34, v34, v29, vcc
	v_cmp_eq_u32_e32 vcc, 28, v0
	ds_read_b32 v35, v130
	s_waitcnt vmcnt(3)
	v_cndmask_b32_e32 v34, v34, v30, vcc
	v_cmp_eq_u32_e32 vcc, 29, v0
	s_waitcnt vmcnt(2)
	v_cndmask_b32_e32 v34, v34, v31, vcc
	v_cmp_eq_u32_e32 vcc, 30, v0
	;; [unrolled: 3-line block ×3, first 2 shown]
	s_waitcnt vmcnt(0)
	v_cndmask_b32_e32 v34, v34, v33, vcc
	s_waitcnt lgkmcnt(0)
	v_mul_f32_e32 v36, v34, v35
	s_cbranch_execz .LBB31_728
	s_branch .LBB31_729
.LBB31_727:
                                        ; implicit-def: $vgpr36
.LBB31_728:
	ds_read_b32 v36, v130
.LBB31_729:
	v_cmp_ne_u32_e32 vcc, 24, v0
	s_and_saveexec_b64 s[6:7], vcc
	s_cbranch_execz .LBB31_733
; %bb.730:
	v_mov_b32_e32 v34, 0x84
	v_lshl_add_u32 v37, v0, 2, v34
	v_mov_b32_e32 v35, v1
	s_mov_b64 s[8:9], 0
	v_mov_b32_e32 v34, v0
.LBB31_731:                             ; =>This Inner Loop Header: Depth=1
	v_add_co_u32_e32 v34, vcc, 1, v34
	v_addc_co_u32_e32 v35, vcc, 0, v35, vcc
	v_cmp_eq_u32_e32 vcc, 1, v34
	v_cndmask_b32_e32 v39, v2, v3, vcc
	v_cmp_lt_u32_e32 vcc, 23, v34
	v_cmp_eq_u32_e64 s[2:3], 2, v34
	v_cndmask_b32_e64 v39, v39, v4, s[2:3]
	s_or_b64 s[8:9], vcc, s[8:9]
	v_cmp_eq_u32_e32 vcc, 3, v34
	v_cndmask_b32_e32 v39, v39, v5, vcc
	v_cmp_eq_u32_e32 vcc, 4, v34
	v_cndmask_b32_e32 v39, v39, v6, vcc
	;; [unrolled: 2-line block ×23, first 2 shown]
	v_cmp_eq_u32_e32 vcc, 26, v34
	s_waitcnt vmcnt(5)
	v_cndmask_b32_e32 v39, v39, v28, vcc
	v_cmp_eq_u32_e32 vcc, 27, v34
	ds_read_b32 v38, v37
	s_waitcnt vmcnt(4)
	v_cndmask_b32_e32 v39, v39, v29, vcc
	v_cmp_eq_u32_e32 vcc, 28, v34
	s_waitcnt vmcnt(3)
	v_cndmask_b32_e32 v39, v39, v30, vcc
	v_cmp_eq_u32_e32 vcc, 29, v34
	;; [unrolled: 3-line block ×4, first 2 shown]
	s_waitcnt vmcnt(0)
	v_cndmask_b32_e32 v39, v39, v33, vcc
	v_add_u32_e32 v37, 4, v37
	s_waitcnt lgkmcnt(0)
	v_fmac_f32_e32 v36, v39, v38
	s_andn2_b64 exec, exec, s[8:9]
	s_cbranch_execnz .LBB31_731
; %bb.732:
	s_or_b64 exec, exec, s[8:9]
.LBB31_733:
	s_or_b64 exec, exec, s[6:7]
	v_mov_b32_e32 v27, 0
	ds_read_b32 v27, v27 offset:100
	s_waitcnt lgkmcnt(0)
	v_mul_f32_e32 v27, v36, v27
.LBB31_734:
	s_or_b64 exec, exec, s[4:5]
	v_cmp_gt_u32_e32 vcc, 26, v0
	s_waitcnt vmcnt(5)
	ds_write_b32 v130, v28
	s_waitcnt lgkmcnt(0)
	; wave barrier
	s_and_saveexec_b64 s[4:5], vcc
	s_cbranch_execz .LBB31_744
; %bb.735:
	s_and_b64 vcc, exec, s[0:1]
	s_cbranch_vccnz .LBB31_737
; %bb.736:
	v_cmp_eq_u32_e32 vcc, 1, v0
	v_cndmask_b32_e32 v34, v2, v3, vcc
	v_cmp_eq_u32_e32 vcc, 2, v0
	v_cndmask_b32_e32 v34, v34, v4, vcc
	;; [unrolled: 2-line block ×26, first 2 shown]
	v_cmp_eq_u32_e32 vcc, 27, v0
	s_waitcnt vmcnt(4)
	v_cndmask_b32_e32 v34, v34, v29, vcc
	v_cmp_eq_u32_e32 vcc, 28, v0
	ds_read_b32 v35, v130
	s_waitcnt vmcnt(3)
	v_cndmask_b32_e32 v34, v34, v30, vcc
	v_cmp_eq_u32_e32 vcc, 29, v0
	s_waitcnt vmcnt(2)
	v_cndmask_b32_e32 v34, v34, v31, vcc
	v_cmp_eq_u32_e32 vcc, 30, v0
	s_waitcnt vmcnt(1)
	v_cndmask_b32_e32 v34, v34, v32, vcc
	v_cmp_eq_u32_e32 vcc, 31, v0
	s_waitcnt vmcnt(0)
	v_cndmask_b32_e32 v34, v34, v33, vcc
	s_waitcnt lgkmcnt(0)
	v_mul_f32_e32 v36, v34, v35
	s_cbranch_execz .LBB31_738
	s_branch .LBB31_739
.LBB31_737:
                                        ; implicit-def: $vgpr36
.LBB31_738:
	ds_read_b32 v36, v130
.LBB31_739:
	v_cmp_ne_u32_e32 vcc, 25, v0
	s_and_saveexec_b64 s[6:7], vcc
	s_cbranch_execz .LBB31_743
; %bb.740:
	v_mov_b32_e32 v34, 0x84
	v_lshl_add_u32 v37, v0, 2, v34
	v_mov_b32_e32 v35, v1
	s_mov_b64 s[8:9], 0
	v_mov_b32_e32 v34, v0
.LBB31_741:                             ; =>This Inner Loop Header: Depth=1
	v_add_co_u32_e32 v34, vcc, 1, v34
	v_addc_co_u32_e32 v35, vcc, 0, v35, vcc
	v_cmp_eq_u32_e32 vcc, 1, v34
	v_cndmask_b32_e32 v39, v2, v3, vcc
	v_cmp_lt_u32_e32 vcc, 24, v34
	v_cmp_eq_u32_e64 s[2:3], 2, v34
	v_cndmask_b32_e64 v39, v39, v4, s[2:3]
	s_or_b64 s[8:9], vcc, s[8:9]
	v_cmp_eq_u32_e32 vcc, 3, v34
	v_cndmask_b32_e32 v39, v39, v5, vcc
	v_cmp_eq_u32_e32 vcc, 4, v34
	v_cndmask_b32_e32 v39, v39, v6, vcc
	;; [unrolled: 2-line block ×24, first 2 shown]
	v_cmp_eq_u32_e32 vcc, 27, v34
	ds_read_b32 v38, v37
	s_waitcnt vmcnt(4)
	v_cndmask_b32_e32 v39, v39, v29, vcc
	v_cmp_eq_u32_e32 vcc, 28, v34
	s_waitcnt vmcnt(3)
	v_cndmask_b32_e32 v39, v39, v30, vcc
	v_cmp_eq_u32_e32 vcc, 29, v34
	;; [unrolled: 3-line block ×4, first 2 shown]
	s_waitcnt vmcnt(0)
	v_cndmask_b32_e32 v39, v39, v33, vcc
	v_add_u32_e32 v37, 4, v37
	s_waitcnt lgkmcnt(0)
	v_fmac_f32_e32 v36, v39, v38
	s_andn2_b64 exec, exec, s[8:9]
	s_cbranch_execnz .LBB31_741
; %bb.742:
	s_or_b64 exec, exec, s[8:9]
.LBB31_743:
	s_or_b64 exec, exec, s[6:7]
	v_mov_b32_e32 v28, 0
	ds_read_b32 v28, v28 offset:104
	s_waitcnt lgkmcnt(0)
	v_mul_f32_e32 v28, v36, v28
.LBB31_744:
	s_or_b64 exec, exec, s[4:5]
	v_cmp_gt_u32_e32 vcc, 27, v0
	s_waitcnt vmcnt(4)
	ds_write_b32 v130, v29
	s_waitcnt lgkmcnt(0)
	; wave barrier
	s_and_saveexec_b64 s[4:5], vcc
	s_cbranch_execz .LBB31_754
; %bb.745:
	s_and_b64 vcc, exec, s[0:1]
	s_cbranch_vccnz .LBB31_747
; %bb.746:
	v_cmp_eq_u32_e32 vcc, 1, v0
	v_cndmask_b32_e32 v34, v2, v3, vcc
	v_cmp_eq_u32_e32 vcc, 2, v0
	v_cndmask_b32_e32 v34, v34, v4, vcc
	;; [unrolled: 2-line block ×27, first 2 shown]
	v_cmp_eq_u32_e32 vcc, 28, v0
	ds_read_b32 v35, v130
	s_waitcnt vmcnt(3)
	v_cndmask_b32_e32 v34, v34, v30, vcc
	v_cmp_eq_u32_e32 vcc, 29, v0
	s_waitcnt vmcnt(2)
	v_cndmask_b32_e32 v34, v34, v31, vcc
	v_cmp_eq_u32_e32 vcc, 30, v0
	;; [unrolled: 3-line block ×3, first 2 shown]
	s_waitcnt vmcnt(0)
	v_cndmask_b32_e32 v34, v34, v33, vcc
	s_waitcnt lgkmcnt(0)
	v_mul_f32_e32 v36, v34, v35
	s_cbranch_execz .LBB31_748
	s_branch .LBB31_749
.LBB31_747:
                                        ; implicit-def: $vgpr36
.LBB31_748:
	ds_read_b32 v36, v130
.LBB31_749:
	v_cmp_ne_u32_e32 vcc, 26, v0
	s_and_saveexec_b64 s[6:7], vcc
	s_cbranch_execz .LBB31_753
; %bb.750:
	v_mov_b32_e32 v34, 0x84
	v_lshl_add_u32 v37, v0, 2, v34
	v_mov_b32_e32 v35, v1
	s_mov_b64 s[8:9], 0
	v_mov_b32_e32 v34, v0
.LBB31_751:                             ; =>This Inner Loop Header: Depth=1
	v_add_co_u32_e32 v34, vcc, 1, v34
	v_addc_co_u32_e32 v35, vcc, 0, v35, vcc
	v_cmp_eq_u32_e32 vcc, 1, v34
	v_cndmask_b32_e32 v39, v2, v3, vcc
	v_cmp_lt_u32_e32 vcc, 25, v34
	v_cmp_eq_u32_e64 s[2:3], 2, v34
	v_cndmask_b32_e64 v39, v39, v4, s[2:3]
	s_or_b64 s[8:9], vcc, s[8:9]
	v_cmp_eq_u32_e32 vcc, 3, v34
	v_cndmask_b32_e32 v39, v39, v5, vcc
	v_cmp_eq_u32_e32 vcc, 4, v34
	v_cndmask_b32_e32 v39, v39, v6, vcc
	;; [unrolled: 2-line block ×24, first 2 shown]
	v_cmp_eq_u32_e32 vcc, 27, v34
	ds_read_b32 v38, v37
	v_cndmask_b32_e32 v39, v39, v29, vcc
	v_cmp_eq_u32_e32 vcc, 28, v34
	s_waitcnt vmcnt(3)
	v_cndmask_b32_e32 v39, v39, v30, vcc
	v_cmp_eq_u32_e32 vcc, 29, v34
	s_waitcnt vmcnt(2)
	v_cndmask_b32_e32 v39, v39, v31, vcc
	v_cmp_eq_u32_e32 vcc, 30, v34
	s_waitcnt vmcnt(1)
	v_cndmask_b32_e32 v39, v39, v32, vcc
	v_cmp_eq_u32_e32 vcc, 31, v34
	s_waitcnt vmcnt(0)
	v_cndmask_b32_e32 v39, v39, v33, vcc
	v_add_u32_e32 v37, 4, v37
	s_waitcnt lgkmcnt(0)
	v_fmac_f32_e32 v36, v39, v38
	s_andn2_b64 exec, exec, s[8:9]
	s_cbranch_execnz .LBB31_751
; %bb.752:
	s_or_b64 exec, exec, s[8:9]
.LBB31_753:
	s_or_b64 exec, exec, s[6:7]
	v_mov_b32_e32 v29, 0
	ds_read_b32 v29, v29 offset:108
	s_waitcnt lgkmcnt(0)
	v_mul_f32_e32 v29, v36, v29
.LBB31_754:
	s_or_b64 exec, exec, s[4:5]
	v_cmp_gt_u32_e32 vcc, 28, v0
	s_waitcnt vmcnt(3)
	ds_write_b32 v130, v30
	s_waitcnt lgkmcnt(0)
	; wave barrier
	s_and_saveexec_b64 s[4:5], vcc
	s_cbranch_execz .LBB31_764
; %bb.755:
	s_and_b64 vcc, exec, s[0:1]
	s_cbranch_vccnz .LBB31_757
; %bb.756:
	v_cmp_eq_u32_e32 vcc, 1, v0
	v_cndmask_b32_e32 v34, v2, v3, vcc
	v_cmp_eq_u32_e32 vcc, 2, v0
	v_cndmask_b32_e32 v34, v34, v4, vcc
	;; [unrolled: 2-line block ×27, first 2 shown]
	v_cmp_eq_u32_e32 vcc, 28, v0
	ds_read_b32 v35, v130
	v_cndmask_b32_e32 v34, v34, v30, vcc
	v_cmp_eq_u32_e32 vcc, 29, v0
	s_waitcnt vmcnt(2)
	v_cndmask_b32_e32 v34, v34, v31, vcc
	v_cmp_eq_u32_e32 vcc, 30, v0
	s_waitcnt vmcnt(1)
	;; [unrolled: 3-line block ×3, first 2 shown]
	v_cndmask_b32_e32 v34, v34, v33, vcc
	s_waitcnt lgkmcnt(0)
	v_mul_f32_e32 v36, v34, v35
	s_cbranch_execz .LBB31_758
	s_branch .LBB31_759
.LBB31_757:
                                        ; implicit-def: $vgpr36
.LBB31_758:
	ds_read_b32 v36, v130
.LBB31_759:
	v_cmp_ne_u32_e32 vcc, 27, v0
	s_and_saveexec_b64 s[6:7], vcc
	s_cbranch_execz .LBB31_763
; %bb.760:
	v_mov_b32_e32 v34, 0x84
	v_lshl_add_u32 v37, v0, 2, v34
	v_mov_b32_e32 v35, v1
	s_mov_b64 s[8:9], 0
	v_mov_b32_e32 v34, v0
.LBB31_761:                             ; =>This Inner Loop Header: Depth=1
	v_add_co_u32_e32 v34, vcc, 1, v34
	v_addc_co_u32_e32 v35, vcc, 0, v35, vcc
	v_cmp_eq_u32_e32 vcc, 1, v34
	v_cndmask_b32_e32 v39, v2, v3, vcc
	v_cmp_lt_u32_e32 vcc, 26, v34
	v_cmp_eq_u32_e64 s[2:3], 2, v34
	v_cndmask_b32_e64 v39, v39, v4, s[2:3]
	s_or_b64 s[8:9], vcc, s[8:9]
	v_cmp_eq_u32_e32 vcc, 3, v34
	v_cndmask_b32_e32 v39, v39, v5, vcc
	v_cmp_eq_u32_e32 vcc, 4, v34
	v_cndmask_b32_e32 v39, v39, v6, vcc
	;; [unrolled: 2-line block ×24, first 2 shown]
	v_cmp_eq_u32_e32 vcc, 27, v34
	ds_read_b32 v38, v37
	v_cndmask_b32_e32 v39, v39, v29, vcc
	v_cmp_eq_u32_e32 vcc, 28, v34
	v_cndmask_b32_e32 v39, v39, v30, vcc
	v_cmp_eq_u32_e32 vcc, 29, v34
	s_waitcnt vmcnt(2)
	v_cndmask_b32_e32 v39, v39, v31, vcc
	v_cmp_eq_u32_e32 vcc, 30, v34
	s_waitcnt vmcnt(1)
	;; [unrolled: 3-line block ×3, first 2 shown]
	v_cndmask_b32_e32 v39, v39, v33, vcc
	v_add_u32_e32 v37, 4, v37
	s_waitcnt lgkmcnt(0)
	v_fmac_f32_e32 v36, v39, v38
	s_andn2_b64 exec, exec, s[8:9]
	s_cbranch_execnz .LBB31_761
; %bb.762:
	s_or_b64 exec, exec, s[8:9]
.LBB31_763:
	s_or_b64 exec, exec, s[6:7]
	v_mov_b32_e32 v30, 0
	ds_read_b32 v30, v30 offset:112
	s_waitcnt lgkmcnt(0)
	v_mul_f32_e32 v30, v36, v30
.LBB31_764:
	s_or_b64 exec, exec, s[4:5]
	v_cmp_gt_u32_e32 vcc, 29, v0
	s_waitcnt vmcnt(2)
	ds_write_b32 v130, v31
	s_waitcnt lgkmcnt(0)
	; wave barrier
	s_and_saveexec_b64 s[4:5], vcc
	s_cbranch_execz .LBB31_774
; %bb.765:
	s_and_b64 vcc, exec, s[0:1]
	s_cbranch_vccnz .LBB31_767
; %bb.766:
	v_cmp_eq_u32_e32 vcc, 1, v0
	v_cndmask_b32_e32 v34, v2, v3, vcc
	v_cmp_eq_u32_e32 vcc, 2, v0
	v_cndmask_b32_e32 v34, v34, v4, vcc
	;; [unrolled: 2-line block ×27, first 2 shown]
	v_cmp_eq_u32_e32 vcc, 28, v0
	ds_read_b32 v35, v130
	v_cndmask_b32_e32 v34, v34, v30, vcc
	v_cmp_eq_u32_e32 vcc, 29, v0
	v_cndmask_b32_e32 v34, v34, v31, vcc
	v_cmp_eq_u32_e32 vcc, 30, v0
	s_waitcnt vmcnt(1)
	v_cndmask_b32_e32 v34, v34, v32, vcc
	v_cmp_eq_u32_e32 vcc, 31, v0
	s_waitcnt vmcnt(0)
	v_cndmask_b32_e32 v34, v34, v33, vcc
	s_waitcnt lgkmcnt(0)
	v_mul_f32_e32 v36, v34, v35
	s_cbranch_execz .LBB31_768
	s_branch .LBB31_769
.LBB31_767:
                                        ; implicit-def: $vgpr36
.LBB31_768:
	ds_read_b32 v36, v130
.LBB31_769:
	v_cmp_ne_u32_e32 vcc, 28, v0
	s_and_saveexec_b64 s[6:7], vcc
	s_cbranch_execz .LBB31_773
; %bb.770:
	v_mov_b32_e32 v34, 0x84
	v_lshl_add_u32 v37, v0, 2, v34
	v_mov_b32_e32 v35, v1
	s_mov_b64 s[8:9], 0
	v_mov_b32_e32 v34, v0
.LBB31_771:                             ; =>This Inner Loop Header: Depth=1
	v_add_co_u32_e32 v34, vcc, 1, v34
	v_addc_co_u32_e32 v35, vcc, 0, v35, vcc
	v_cmp_eq_u32_e32 vcc, 1, v34
	v_cndmask_b32_e32 v39, v2, v3, vcc
	v_cmp_lt_u32_e32 vcc, 27, v34
	v_cmp_eq_u32_e64 s[2:3], 2, v34
	v_cndmask_b32_e64 v39, v39, v4, s[2:3]
	s_or_b64 s[8:9], vcc, s[8:9]
	v_cmp_eq_u32_e32 vcc, 3, v34
	v_cndmask_b32_e32 v39, v39, v5, vcc
	v_cmp_eq_u32_e32 vcc, 4, v34
	v_cndmask_b32_e32 v39, v39, v6, vcc
	;; [unrolled: 2-line block ×24, first 2 shown]
	v_cmp_eq_u32_e32 vcc, 27, v34
	ds_read_b32 v38, v37
	v_cndmask_b32_e32 v39, v39, v29, vcc
	v_cmp_eq_u32_e32 vcc, 28, v34
	v_cndmask_b32_e32 v39, v39, v30, vcc
	v_cmp_eq_u32_e32 vcc, 29, v34
	;; [unrolled: 2-line block ×3, first 2 shown]
	s_waitcnt vmcnt(1)
	v_cndmask_b32_e32 v39, v39, v32, vcc
	v_cmp_eq_u32_e32 vcc, 31, v34
	s_waitcnt vmcnt(0)
	v_cndmask_b32_e32 v39, v39, v33, vcc
	v_add_u32_e32 v37, 4, v37
	s_waitcnt lgkmcnt(0)
	v_fmac_f32_e32 v36, v39, v38
	s_andn2_b64 exec, exec, s[8:9]
	s_cbranch_execnz .LBB31_771
; %bb.772:
	s_or_b64 exec, exec, s[8:9]
.LBB31_773:
	s_or_b64 exec, exec, s[6:7]
	v_mov_b32_e32 v31, 0
	ds_read_b32 v31, v31 offset:116
	s_waitcnt lgkmcnt(0)
	v_mul_f32_e32 v31, v36, v31
.LBB31_774:
	s_or_b64 exec, exec, s[4:5]
	v_cmp_gt_u32_e64 s[2:3], 30, v0
	s_waitcnt vmcnt(1)
	ds_write_b32 v130, v32
	s_waitcnt lgkmcnt(0)
	; wave barrier
	s_and_saveexec_b64 s[6:7], s[2:3]
	s_cbranch_execz .LBB31_784
; %bb.775:
	s_and_b64 vcc, exec, s[0:1]
	s_cbranch_vccnz .LBB31_777
; %bb.776:
	v_cmp_eq_u32_e32 vcc, 1, v0
	v_cndmask_b32_e32 v34, v2, v3, vcc
	v_cmp_eq_u32_e32 vcc, 2, v0
	v_cndmask_b32_e32 v34, v34, v4, vcc
	v_cmp_eq_u32_e32 vcc, 3, v0
	v_cndmask_b32_e32 v34, v34, v5, vcc
	v_cmp_eq_u32_e32 vcc, 4, v0
	v_cndmask_b32_e32 v34, v34, v6, vcc
	v_cmp_eq_u32_e32 vcc, 5, v0
	v_cndmask_b32_e32 v34, v34, v7, vcc
	v_cmp_eq_u32_e32 vcc, 6, v0
	v_cndmask_b32_e32 v34, v34, v8, vcc
	v_cmp_eq_u32_e32 vcc, 7, v0
	v_cndmask_b32_e32 v34, v34, v9, vcc
	v_cmp_eq_u32_e32 vcc, 8, v0
	v_cndmask_b32_e32 v34, v34, v10, vcc
	v_cmp_eq_u32_e32 vcc, 9, v0
	v_cndmask_b32_e32 v34, v34, v11, vcc
	v_cmp_eq_u32_e32 vcc, 10, v0
	v_cndmask_b32_e32 v34, v34, v12, vcc
	v_cmp_eq_u32_e32 vcc, 11, v0
	v_cndmask_b32_e32 v34, v34, v13, vcc
	v_cmp_eq_u32_e32 vcc, 12, v0
	v_cndmask_b32_e32 v34, v34, v14, vcc
	v_cmp_eq_u32_e32 vcc, 13, v0
	v_cndmask_b32_e32 v34, v34, v15, vcc
	v_cmp_eq_u32_e32 vcc, 14, v0
	v_cndmask_b32_e32 v34, v34, v16, vcc
	v_cmp_eq_u32_e32 vcc, 15, v0
	v_cndmask_b32_e32 v34, v34, v17, vcc
	v_cmp_eq_u32_e32 vcc, 16, v0
	v_cndmask_b32_e32 v34, v34, v18, vcc
	v_cmp_eq_u32_e32 vcc, 17, v0
	v_cndmask_b32_e32 v34, v34, v19, vcc
	v_cmp_eq_u32_e32 vcc, 18, v0
	v_cndmask_b32_e32 v34, v34, v20, vcc
	v_cmp_eq_u32_e32 vcc, 19, v0
	v_cndmask_b32_e32 v34, v34, v21, vcc
	v_cmp_eq_u32_e32 vcc, 20, v0
	v_cndmask_b32_e32 v34, v34, v22, vcc
	v_cmp_eq_u32_e32 vcc, 21, v0
	v_cndmask_b32_e32 v34, v34, v23, vcc
	v_cmp_eq_u32_e32 vcc, 22, v0
	v_cndmask_b32_e32 v34, v34, v24, vcc
	v_cmp_eq_u32_e32 vcc, 23, v0
	v_cndmask_b32_e32 v34, v34, v25, vcc
	v_cmp_eq_u32_e32 vcc, 24, v0
	v_cndmask_b32_e32 v34, v34, v26, vcc
	v_cmp_eq_u32_e32 vcc, 25, v0
	v_cndmask_b32_e32 v34, v34, v27, vcc
	v_cmp_eq_u32_e32 vcc, 26, v0
	v_cndmask_b32_e32 v34, v34, v28, vcc
	v_cmp_eq_u32_e32 vcc, 27, v0
	v_cndmask_b32_e32 v34, v34, v29, vcc
	v_cmp_eq_u32_e32 vcc, 28, v0
	ds_read_b32 v35, v130
	v_cndmask_b32_e32 v34, v34, v30, vcc
	v_cmp_eq_u32_e32 vcc, 29, v0
	v_cndmask_b32_e32 v34, v34, v31, vcc
	v_cmp_eq_u32_e32 vcc, 30, v0
	;; [unrolled: 2-line block ×3, first 2 shown]
	s_waitcnt vmcnt(0)
	v_cndmask_b32_e32 v34, v34, v33, vcc
	s_waitcnt lgkmcnt(0)
	v_mul_f32_e32 v36, v34, v35
	s_cbranch_execz .LBB31_778
	s_branch .LBB31_779
.LBB31_777:
                                        ; implicit-def: $vgpr36
.LBB31_778:
	ds_read_b32 v36, v130
.LBB31_779:
	v_cmp_ne_u32_e32 vcc, 29, v0
	s_and_saveexec_b64 s[8:9], vcc
	s_cbranch_execz .LBB31_783
; %bb.780:
	v_mov_b32_e32 v34, 0x84
	v_lshl_add_u32 v37, v0, 2, v34
	v_mov_b32_e32 v35, v1
	s_mov_b64 s[10:11], 0
	v_mov_b32_e32 v34, v0
.LBB31_781:                             ; =>This Inner Loop Header: Depth=1
	v_add_co_u32_e32 v34, vcc, 1, v34
	v_addc_co_u32_e32 v35, vcc, 0, v35, vcc
	v_cmp_eq_u32_e32 vcc, 1, v34
	v_cndmask_b32_e32 v39, v2, v3, vcc
	v_cmp_lt_u32_e32 vcc, 28, v34
	v_cmp_eq_u32_e64 s[4:5], 2, v34
	v_cndmask_b32_e64 v39, v39, v4, s[4:5]
	s_or_b64 s[10:11], vcc, s[10:11]
	v_cmp_eq_u32_e32 vcc, 3, v34
	v_cndmask_b32_e32 v39, v39, v5, vcc
	v_cmp_eq_u32_e32 vcc, 4, v34
	v_cndmask_b32_e32 v39, v39, v6, vcc
	;; [unrolled: 2-line block ×24, first 2 shown]
	v_cmp_eq_u32_e32 vcc, 27, v34
	ds_read_b32 v38, v37
	v_cndmask_b32_e32 v39, v39, v29, vcc
	v_cmp_eq_u32_e32 vcc, 28, v34
	v_cndmask_b32_e32 v39, v39, v30, vcc
	v_cmp_eq_u32_e32 vcc, 29, v34
	;; [unrolled: 2-line block ×4, first 2 shown]
	s_waitcnt vmcnt(0)
	v_cndmask_b32_e32 v39, v39, v33, vcc
	v_add_u32_e32 v37, 4, v37
	s_waitcnt lgkmcnt(0)
	v_fmac_f32_e32 v36, v39, v38
	s_andn2_b64 exec, exec, s[10:11]
	s_cbranch_execnz .LBB31_781
; %bb.782:
	s_or_b64 exec, exec, s[10:11]
.LBB31_783:
	s_or_b64 exec, exec, s[8:9]
	v_mov_b32_e32 v32, 0
	ds_read_b32 v32, v32 offset:120
	s_waitcnt lgkmcnt(0)
	v_mul_f32_e32 v32, v36, v32
.LBB31_784:
	s_or_b64 exec, exec, s[6:7]
	v_cmp_ne_u32_e32 vcc, 31, v0
	s_waitcnt vmcnt(0)
	ds_write_b32 v130, v33
	s_waitcnt lgkmcnt(0)
	; wave barrier
	s_and_saveexec_b64 s[4:5], vcc
	s_cbranch_execz .LBB31_794
; %bb.785:
	s_and_b64 vcc, exec, s[0:1]
	s_cbranch_vccnz .LBB31_787
; %bb.786:
	v_cmp_eq_u32_e32 vcc, 1, v0
	v_cndmask_b32_e32 v34, v2, v3, vcc
	v_cmp_eq_u32_e32 vcc, 2, v0
	v_cndmask_b32_e32 v34, v34, v4, vcc
	;; [unrolled: 2-line block ×27, first 2 shown]
	v_cmp_eq_u32_e32 vcc, 28, v0
	ds_read_b32 v35, v130
	v_cndmask_b32_e32 v34, v34, v30, vcc
	v_cmp_eq_u32_e32 vcc, 29, v0
	v_cndmask_b32_e32 v34, v34, v31, vcc
	v_cmp_eq_u32_e32 vcc, 30, v0
	;; [unrolled: 2-line block ×3, first 2 shown]
	v_cndmask_b32_e32 v34, v34, v33, vcc
	s_waitcnt lgkmcnt(0)
	v_mul_f32_e32 v34, v34, v35
	s_cbranch_execz .LBB31_788
	s_branch .LBB31_789
.LBB31_787:
                                        ; implicit-def: $vgpr34
.LBB31_788:
	ds_read_b32 v34, v130
.LBB31_789:
	s_and_saveexec_b64 s[6:7], s[2:3]
	s_cbranch_execz .LBB31_793
; %bb.790:
	v_mov_b32_e32 v35, 0x84
	v_lshl_add_u32 v35, v0, 2, v35
	s_mov_b64 s[2:3], 0
.LBB31_791:                             ; =>This Inner Loop Header: Depth=1
	v_add_co_u32_e32 v0, vcc, 1, v0
	v_addc_co_u32_e32 v1, vcc, 0, v1, vcc
	v_cmp_eq_u32_e32 vcc, 1, v0
	v_cndmask_b32_e32 v37, v2, v3, vcc
	v_cmp_lt_u32_e32 vcc, 29, v0
	v_cmp_eq_u32_e64 s[0:1], 2, v0
	v_cndmask_b32_e64 v37, v37, v4, s[0:1]
	s_or_b64 s[2:3], vcc, s[2:3]
	v_cmp_eq_u32_e32 vcc, 3, v0
	v_cndmask_b32_e32 v37, v37, v5, vcc
	v_cmp_eq_u32_e32 vcc, 4, v0
	v_cndmask_b32_e32 v37, v37, v6, vcc
	;; [unrolled: 2-line block ×24, first 2 shown]
	v_cmp_eq_u32_e32 vcc, 27, v0
	ds_read_b32 v36, v35
	v_cndmask_b32_e32 v37, v37, v29, vcc
	v_cmp_eq_u32_e32 vcc, 28, v0
	v_cndmask_b32_e32 v37, v37, v30, vcc
	v_cmp_eq_u32_e32 vcc, 29, v0
	;; [unrolled: 2-line block ×4, first 2 shown]
	v_cndmask_b32_e32 v37, v37, v33, vcc
	v_add_u32_e32 v35, 4, v35
	s_waitcnt lgkmcnt(0)
	v_fmac_f32_e32 v34, v37, v36
	s_andn2_b64 exec, exec, s[2:3]
	s_cbranch_execnz .LBB31_791
; %bb.792:
	s_or_b64 exec, exec, s[2:3]
.LBB31_793:
	s_or_b64 exec, exec, s[6:7]
	v_mov_b32_e32 v0, 0
	ds_read_b32 v0, v0 offset:124
	s_waitcnt lgkmcnt(0)
	v_mul_f32_e32 v33, v34, v0
.LBB31_794:
	s_or_b64 exec, exec, s[4:5]
	v_mov_b32_e32 v65, v33
	v_mov_b32_e32 v64, v32
	;; [unrolled: 1-line block ×32, first 2 shown]
.LBB31_795:
	global_store_dword v[126:127], v34, off
	global_store_dword v[128:129], v35, off
	;; [unrolled: 1-line block ×32, first 2 shown]
.LBB31_796:
	s_endpgm
	.section	.rodata,"a",@progbits
	.p2align	6, 0x0
	.amdhsa_kernel _ZN9rocsolver6v33100L18trti2_kernel_smallILi32EfPfEEv13rocblas_fill_17rocblas_diagonal_T1_iil
		.amdhsa_group_segment_fixed_size 256
		.amdhsa_private_segment_fixed_size 0
		.amdhsa_kernarg_size 32
		.amdhsa_user_sgpr_count 6
		.amdhsa_user_sgpr_private_segment_buffer 1
		.amdhsa_user_sgpr_dispatch_ptr 0
		.amdhsa_user_sgpr_queue_ptr 0
		.amdhsa_user_sgpr_kernarg_segment_ptr 1
		.amdhsa_user_sgpr_dispatch_id 0
		.amdhsa_user_sgpr_flat_scratch_init 0
		.amdhsa_user_sgpr_private_segment_size 0
		.amdhsa_uses_dynamic_stack 0
		.amdhsa_system_sgpr_private_segment_wavefront_offset 0
		.amdhsa_system_sgpr_workgroup_id_x 1
		.amdhsa_system_sgpr_workgroup_id_y 0
		.amdhsa_system_sgpr_workgroup_id_z 0
		.amdhsa_system_sgpr_workgroup_info 0
		.amdhsa_system_vgpr_workitem_id 0
		.amdhsa_next_free_vgpr 148
		.amdhsa_next_free_sgpr 76
		.amdhsa_reserve_vcc 1
		.amdhsa_reserve_flat_scratch 0
		.amdhsa_float_round_mode_32 0
		.amdhsa_float_round_mode_16_64 0
		.amdhsa_float_denorm_mode_32 3
		.amdhsa_float_denorm_mode_16_64 3
		.amdhsa_dx10_clamp 1
		.amdhsa_ieee_mode 1
		.amdhsa_fp16_overflow 0
		.amdhsa_exception_fp_ieee_invalid_op 0
		.amdhsa_exception_fp_denorm_src 0
		.amdhsa_exception_fp_ieee_div_zero 0
		.amdhsa_exception_fp_ieee_overflow 0
		.amdhsa_exception_fp_ieee_underflow 0
		.amdhsa_exception_fp_ieee_inexact 0
		.amdhsa_exception_int_div_zero 0
	.end_amdhsa_kernel
	.section	.text._ZN9rocsolver6v33100L18trti2_kernel_smallILi32EfPfEEv13rocblas_fill_17rocblas_diagonal_T1_iil,"axG",@progbits,_ZN9rocsolver6v33100L18trti2_kernel_smallILi32EfPfEEv13rocblas_fill_17rocblas_diagonal_T1_iil,comdat
.Lfunc_end31:
	.size	_ZN9rocsolver6v33100L18trti2_kernel_smallILi32EfPfEEv13rocblas_fill_17rocblas_diagonal_T1_iil, .Lfunc_end31-_ZN9rocsolver6v33100L18trti2_kernel_smallILi32EfPfEEv13rocblas_fill_17rocblas_diagonal_T1_iil
                                        ; -- End function
	.set _ZN9rocsolver6v33100L18trti2_kernel_smallILi32EfPfEEv13rocblas_fill_17rocblas_diagonal_T1_iil.num_vgpr, 148
	.set _ZN9rocsolver6v33100L18trti2_kernel_smallILi32EfPfEEv13rocblas_fill_17rocblas_diagonal_T1_iil.num_agpr, 0
	.set _ZN9rocsolver6v33100L18trti2_kernel_smallILi32EfPfEEv13rocblas_fill_17rocblas_diagonal_T1_iil.numbered_sgpr, 76
	.set _ZN9rocsolver6v33100L18trti2_kernel_smallILi32EfPfEEv13rocblas_fill_17rocblas_diagonal_T1_iil.num_named_barrier, 0
	.set _ZN9rocsolver6v33100L18trti2_kernel_smallILi32EfPfEEv13rocblas_fill_17rocblas_diagonal_T1_iil.private_seg_size, 0
	.set _ZN9rocsolver6v33100L18trti2_kernel_smallILi32EfPfEEv13rocblas_fill_17rocblas_diagonal_T1_iil.uses_vcc, 1
	.set _ZN9rocsolver6v33100L18trti2_kernel_smallILi32EfPfEEv13rocblas_fill_17rocblas_diagonal_T1_iil.uses_flat_scratch, 0
	.set _ZN9rocsolver6v33100L18trti2_kernel_smallILi32EfPfEEv13rocblas_fill_17rocblas_diagonal_T1_iil.has_dyn_sized_stack, 0
	.set _ZN9rocsolver6v33100L18trti2_kernel_smallILi32EfPfEEv13rocblas_fill_17rocblas_diagonal_T1_iil.has_recursion, 0
	.set _ZN9rocsolver6v33100L18trti2_kernel_smallILi32EfPfEEv13rocblas_fill_17rocblas_diagonal_T1_iil.has_indirect_call, 0
	.section	.AMDGPU.csdata,"",@progbits
; Kernel info:
; codeLenInByte = 56320
; TotalNumSgprs: 80
; NumVgprs: 148
; ScratchSize: 0
; MemoryBound: 0
; FloatMode: 240
; IeeeMode: 1
; LDSByteSize: 256 bytes/workgroup (compile time only)
; SGPRBlocks: 9
; VGPRBlocks: 36
; NumSGPRsForWavesPerEU: 80
; NumVGPRsForWavesPerEU: 148
; Occupancy: 1
; WaveLimiterHint : 0
; COMPUTE_PGM_RSRC2:SCRATCH_EN: 0
; COMPUTE_PGM_RSRC2:USER_SGPR: 6
; COMPUTE_PGM_RSRC2:TRAP_HANDLER: 0
; COMPUTE_PGM_RSRC2:TGID_X_EN: 1
; COMPUTE_PGM_RSRC2:TGID_Y_EN: 0
; COMPUTE_PGM_RSRC2:TGID_Z_EN: 0
; COMPUTE_PGM_RSRC2:TIDIG_COMP_CNT: 0
	.section	.text._ZN9rocsolver6v33100L18trti2_kernel_smallILi33EfPfEEv13rocblas_fill_17rocblas_diagonal_T1_iil,"axG",@progbits,_ZN9rocsolver6v33100L18trti2_kernel_smallILi33EfPfEEv13rocblas_fill_17rocblas_diagonal_T1_iil,comdat
	.globl	_ZN9rocsolver6v33100L18trti2_kernel_smallILi33EfPfEEv13rocblas_fill_17rocblas_diagonal_T1_iil ; -- Begin function _ZN9rocsolver6v33100L18trti2_kernel_smallILi33EfPfEEv13rocblas_fill_17rocblas_diagonal_T1_iil
	.p2align	8
	.type	_ZN9rocsolver6v33100L18trti2_kernel_smallILi33EfPfEEv13rocblas_fill_17rocblas_diagonal_T1_iil,@function
_ZN9rocsolver6v33100L18trti2_kernel_smallILi33EfPfEEv13rocblas_fill_17rocblas_diagonal_T1_iil: ; @_ZN9rocsolver6v33100L18trti2_kernel_smallILi33EfPfEEv13rocblas_fill_17rocblas_diagonal_T1_iil
; %bb.0:
	s_add_u32 s0, s0, s7
	s_addc_u32 s1, s1, 0
	v_cmp_gt_u32_e32 vcc, 33, v0
	s_and_saveexec_b64 s[8:9], vcc
	s_cbranch_execz .LBB32_630
; %bb.1:
	s_load_dwordx8 s[8:15], s[4:5], 0x0
	s_ashr_i32 s7, s6, 31
	v_lshlrev_b32_e32 v67, 2, v0
	s_waitcnt lgkmcnt(0)
	s_ashr_i32 s5, s12, 31
	s_mov_b32 s4, s12
	s_mul_hi_u32 s12, s14, s6
	s_mul_i32 s7, s14, s7
	s_add_i32 s7, s12, s7
	s_mul_i32 s12, s15, s6
	s_add_i32 s7, s7, s12
	s_mul_i32 s6, s14, s6
	s_lshl_b64 s[6:7], s[6:7], 2
	s_add_u32 s6, s10, s6
	s_addc_u32 s7, s11, s7
	s_lshl_b64 s[4:5], s[4:5], 2
	s_add_u32 s4, s6, s4
	s_addc_u32 s5, s7, s5
	s_add_i32 s6, s13, s13
	v_add_u32_e32 v3, s6, v0
	v_ashrrev_i32_e32 v4, 31, v3
	v_lshlrev_b64 v[1:2], 2, v[3:4]
	v_mov_b32_e32 v4, s5
	v_add_co_u32_e32 v1, vcc, s4, v1
	v_add_u32_e32 v3, s13, v3
	v_addc_co_u32_e32 v2, vcc, v4, v2, vcc
	v_ashrrev_i32_e32 v4, 31, v3
	v_lshlrev_b64 v[5:6], 2, v[3:4]
	v_add_u32_e32 v7, s13, v3
	v_mov_b32_e32 v4, s5
	v_add_co_u32_e32 v5, vcc, s4, v5
	v_ashrrev_i32_e32 v8, 31, v7
	v_addc_co_u32_e32 v6, vcc, v4, v6, vcc
	v_lshlrev_b64 v[3:4], 2, v[7:8]
	v_mov_b32_e32 v8, s5
	v_add_co_u32_e32 v3, vcc, s4, v3
	v_add_u32_e32 v7, s13, v7
	v_addc_co_u32_e32 v4, vcc, v8, v4, vcc
	v_ashrrev_i32_e32 v8, 31, v7
	v_lshlrev_b64 v[9:10], 2, v[7:8]
	v_add_u32_e32 v11, s13, v7
	v_mov_b32_e32 v8, s5
	v_add_co_u32_e32 v9, vcc, s4, v9
	v_ashrrev_i32_e32 v12, 31, v11
	v_addc_co_u32_e32 v10, vcc, v8, v10, vcc
	v_lshlrev_b64 v[7:8], 2, v[11:12]
	v_add_u32_e32 v13, s13, v11
	v_mov_b32_e32 v12, s5
	v_add_co_u32_e32 v7, vcc, s4, v7
	v_ashrrev_i32_e32 v14, 31, v13
	v_addc_co_u32_e32 v8, vcc, v12, v8, vcc
	;; [unrolled: 6-line block ×5, first 2 shown]
	v_lshlrev_b64 v[17:18], 2, v[19:20]
	v_mov_b32_e32 v21, s5
	v_add_co_u32_e32 v17, vcc, s4, v17
	v_addc_co_u32_e32 v18, vcc, v21, v18, vcc
	v_add_u32_e32 v21, s13, v19
	v_ashrrev_i32_e32 v22, 31, v21
	v_lshlrev_b64 v[19:20], 2, v[21:22]
	v_mov_b32_e32 v23, s5
	v_add_co_u32_e32 v19, vcc, s4, v19
	v_addc_co_u32_e32 v20, vcc, v23, v20, vcc
	v_add_u32_e32 v23, s13, v21
	v_ashrrev_i32_e32 v24, 31, v23
	;; [unrolled: 6-line block ×13, first 2 shown]
	v_lshlrev_b64 v[43:44], 2, v[45:46]
	v_mov_b32_e32 v47, s5
	v_add_co_u32_e32 v43, vcc, s4, v43
	v_addc_co_u32_e32 v44, vcc, v47, v44, vcc
	v_add_u32_e32 v47, s13, v45
	v_mov_b32_e32 v45, s5
	v_add_co_u32_e32 v65, vcc, s4, v67
	s_ashr_i32 s7, s13, 31
	s_mov_b32 s6, s13
	v_addc_co_u32_e32 v66, vcc, 0, v45, vcc
	s_lshl_b64 s[6:7], s[6:7], 2
	v_mov_b32_e32 v45, s7
	v_add_co_u32_e32 v63, vcc, s6, v65
	v_addc_co_u32_e32 v64, vcc, v66, v45, vcc
	global_load_dword v68, v67, s[4:5]
	global_load_dword v69, v[63:64], off
	global_load_dword v70, v[1:2], off
	;; [unrolled: 1-line block ×8, first 2 shown]
	v_ashrrev_i32_e32 v48, 31, v47
	v_lshlrev_b64 v[45:46], 2, v[47:48]
	v_mov_b32_e32 v49, s5
	v_add_co_u32_e32 v45, vcc, s4, v45
	v_addc_co_u32_e32 v46, vcc, v49, v46, vcc
	v_add_u32_e32 v49, s13, v47
	v_ashrrev_i32_e32 v50, 31, v49
	v_lshlrev_b64 v[47:48], 2, v[49:50]
	v_mov_b32_e32 v51, s5
	v_add_co_u32_e32 v47, vcc, s4, v47
	v_addc_co_u32_e32 v48, vcc, v51, v48, vcc
	v_add_u32_e32 v51, s13, v49
	;; [unrolled: 6-line block ×7, first 2 shown]
	v_ashrrev_i32_e32 v62, 31, v61
	v_lshlrev_b64 v[59:60], 2, v[61:62]
	v_add_u32_e32 v61, s13, v61
	v_ashrrev_i32_e32 v62, 31, v61
	v_mov_b32_e32 v77, s5
	v_add_co_u32_e32 v59, vcc, s4, v59
	v_lshlrev_b64 v[61:62], 2, v[61:62]
	v_addc_co_u32_e32 v60, vcc, v77, v60, vcc
	v_add_co_u32_e32 v61, vcc, s4, v61
	s_waitcnt vmcnt(8)
	buffer_store_dword v68, off, s[0:3], 0
	s_waitcnt vmcnt(8)
	buffer_store_dword v69, off, s[0:3], 0 offset:4
	s_waitcnt vmcnt(8)
	buffer_store_dword v70, off, s[0:3], 0 offset:8
	;; [unrolled: 2-line block ×4, first 2 shown]
	v_addc_co_u32_e32 v62, vcc, v77, v62, vcc
	global_load_dword v68, v[15:16], off
	global_load_dword v69, v[17:18], off
	;; [unrolled: 1-line block ×8, first 2 shown]
	s_waitcnt vmcnt(16)
	buffer_store_dword v73, off, s[0:3], 0 offset:20
	s_waitcnt vmcnt(16)
	buffer_store_dword v74, off, s[0:3], 0 offset:24
	;; [unrolled: 2-line block ×4, first 2 shown]
	global_load_dword v73, v[31:32], off
	global_load_dword v74, v[33:34], off
	;; [unrolled: 1-line block ×3, first 2 shown]
	s_nop 0
	global_load_dword v76, v[37:38], off
	s_waitcnt vmcnt(15)
	buffer_store_dword v68, off, s[0:3], 0 offset:36
	s_waitcnt vmcnt(15)
	buffer_store_dword v69, off, s[0:3], 0 offset:40
	;; [unrolled: 2-line block ×8, first 2 shown]
	global_load_dword v68, v[39:40], off
	global_load_dword v69, v[41:42], off
	;; [unrolled: 1-line block ×4, first 2 shown]
	s_waitcnt vmcnt(15)
	buffer_store_dword v73, off, s[0:3], 0 offset:68
	s_waitcnt vmcnt(15)
	buffer_store_dword v74, off, s[0:3], 0 offset:72
	;; [unrolled: 2-line block ×4, first 2 shown]
	global_load_dword v72, v[47:48], off
	global_load_dword v73, v[49:50], off
	;; [unrolled: 1-line block ×4, first 2 shown]
	s_nop 0
	global_load_dword v76, v[55:56], off
	global_load_dword v77, v[57:58], off
	;; [unrolled: 1-line block ×4, first 2 shown]
	s_cmpk_lg_i32 s9, 0x84
	s_waitcnt vmcnt(15)
	buffer_store_dword v68, off, s[0:3], 0 offset:84
	s_waitcnt vmcnt(15)
	buffer_store_dword v69, off, s[0:3], 0 offset:88
	;; [unrolled: 2-line block ×12, first 2 shown]
	s_cselect_b64 s[10:11], -1, 0
	s_cmpk_eq_i32 s9, 0x84
	v_mov_b32_e32 v68, -1.0
	s_cbranch_scc1 .LBB32_3
; %bb.2:
	v_mov_b32_e32 v68, 0
	v_lshl_add_u32 v68, v0, 2, v68
	buffer_load_dword v69, v68, s[0:3], 0 offen
	s_waitcnt vmcnt(0)
	v_div_scale_f32 v70, s[4:5], v69, v69, 1.0
	v_div_scale_f32 v71, vcc, 1.0, v69, 1.0
	v_rcp_f32_e32 v72, v70
	v_fma_f32 v73, -v70, v72, 1.0
	v_fmac_f32_e32 v72, v73, v72
	v_mul_f32_e32 v73, v71, v72
	v_fma_f32 v74, -v70, v73, v71
	v_fmac_f32_e32 v73, v74, v72
	v_fma_f32 v70, -v70, v73, v71
	v_div_fmas_f32 v70, v70, v72, v73
	v_div_fixup_f32 v69, v70, v69, 1.0
	buffer_store_dword v69, v68, s[0:3], 0 offen
	v_xor_b32_e32 v68, 0x80000000, v69
.LBB32_3:
	ds_write_b32 v67, v68
	s_cmpk_eq_i32 s8, 0x79
	v_add_u32_e32 v68, 0x90, v67
	v_mov_b32_e32 v69, v67
	s_mov_b64 s[4:5], -1
	s_cbranch_scc1 .LBB32_317
; %bb.4:
	buffer_load_dword v70, off, s[0:3], 0 offset:124
	s_movk_i32 s12, 0x44
	s_movk_i32 s13, 0x48
	;; [unrolled: 1-line block ×14, first 2 shown]
	v_cmp_eq_u32_e64 s[4:5], 32, v0
	s_waitcnt vmcnt(0)
	ds_write_b32 v68, v70
	s_waitcnt lgkmcnt(0)
	; wave barrier
	s_and_saveexec_b64 s[6:7], s[4:5]
	s_cbranch_execz .LBB32_10
; %bb.5:
	s_and_b64 vcc, exec, s[10:11]
	s_cbranch_vccz .LBB32_7
; %bb.6:
	buffer_load_dword v70, v69, s[0:3], 0 offen
	ds_read_b32 v71, v68
	s_waitcnt vmcnt(0) lgkmcnt(0)
	v_mul_f32_e32 v70, v70, v71
	s_cbranch_execz .LBB32_8
	s_branch .LBB32_9
.LBB32_7:
                                        ; implicit-def: $vgpr70
.LBB32_8:
	ds_read_b32 v70, v68
.LBB32_9:
	v_mov_b32_e32 v71, 0
	ds_read_b32 v71, v71 offset:124
	s_waitcnt lgkmcnt(0)
	v_mul_f32_e32 v70, v70, v71
	buffer_store_dword v70, off, s[0:3], 0 offset:124
.LBB32_10:
	s_or_b64 exec, exec, s[6:7]
	buffer_load_dword v70, off, s[0:3], 0 offset:120
	s_or_b32 s14, 0, 4
	s_or_b32 s15, 0, 8
	;; [unrolled: 1-line block ×3, first 2 shown]
	s_mov_b32 s17, 16
	s_mov_b32 s18, 20
	s_mov_b32 s19, 24
	s_mov_b32 s20, 28
	s_mov_b32 s21, 32
	s_mov_b32 s22, 36
	s_mov_b32 s23, 40
	s_mov_b32 s24, 44
	s_mov_b32 s25, 48
	s_mov_b32 s26, 52
	s_mov_b32 s27, 56
	s_mov_b32 s28, 60
	s_mov_b32 s29, 64
	s_mov_b32 s30, s12
	s_mov_b32 s31, s13
	v_cmp_lt_u32_e64 s[6:7], 30, v0
	s_waitcnt vmcnt(0)
	ds_write_b32 v68, v70
	s_waitcnt lgkmcnt(0)
	; wave barrier
	s_and_saveexec_b64 s[8:9], s[6:7]
	s_cbranch_execz .LBB32_16
; %bb.11:
	s_andn2_b64 vcc, exec, s[10:11]
	s_cbranch_vccnz .LBB32_13
; %bb.12:
	buffer_load_dword v70, v69, s[0:3], 0 offen
	ds_read_b32 v71, v68
	s_waitcnt vmcnt(0) lgkmcnt(0)
	v_mul_f32_e32 v70, v70, v71
	s_cbranch_execz .LBB32_14
	s_branch .LBB32_15
.LBB32_13:
                                        ; implicit-def: $vgpr70
.LBB32_14:
	ds_read_b32 v70, v68
.LBB32_15:
	buffer_load_dword v73, off, s[0:3], 0 offset:124
	v_mov_b32_e32 v71, 0
	ds_read2_b32 v[71:72], v71 offset0:30 offset1:67
	s_waitcnt vmcnt(0) lgkmcnt(0)
	v_fma_f32 v72, v73, v72, v70
	v_cndmask_b32_e64 v70, v70, v72, s[4:5]
	v_mul_f32_e32 v70, v70, v71
	buffer_store_dword v70, off, s[0:3], 0 offset:120
.LBB32_16:
	s_or_b64 exec, exec, s[8:9]
	buffer_load_dword v70, off, s[0:3], 0 offset:116
	v_cmp_lt_u32_e64 s[4:5], 29, v0
	s_waitcnt vmcnt(0)
	ds_write_b32 v68, v70
	s_waitcnt lgkmcnt(0)
	; wave barrier
	s_and_saveexec_b64 s[8:9], s[4:5]
	s_cbranch_execz .LBB32_26
; %bb.17:
	s_andn2_b64 vcc, exec, s[10:11]
	s_cbranch_vccnz .LBB32_19
; %bb.18:
	buffer_load_dword v70, v69, s[0:3], 0 offen
	ds_read_b32 v71, v68
	s_waitcnt vmcnt(0) lgkmcnt(0)
	v_mul_f32_e32 v70, v70, v71
	s_cbranch_execz .LBB32_20
	s_branch .LBB32_21
.LBB32_19:
                                        ; implicit-def: $vgpr70
.LBB32_20:
	ds_read_b32 v70, v68
.LBB32_21:
	s_and_saveexec_b64 s[12:13], s[6:7]
	s_cbranch_execz .LBB32_25
; %bb.22:
	v_subrev_u32_e32 v71, 30, v0
	s_movk_i32 s45, 0x108
	s_mov_b64 s[6:7], 0
.LBB32_23:                              ; =>This Inner Loop Header: Depth=1
	v_mov_b32_e32 v72, s44
	buffer_load_dword v72, v72, s[0:3], 0 offen
	v_mov_b32_e32 v73, s45
	ds_read_b32 v73, v73
	v_add_u32_e32 v71, -1, v71
	s_add_i32 s45, s45, 4
	s_add_i32 s44, s44, 4
	v_cmp_eq_u32_e32 vcc, 0, v71
	s_or_b64 s[6:7], vcc, s[6:7]
	s_waitcnt vmcnt(0) lgkmcnt(0)
	v_fmac_f32_e32 v70, v72, v73
	s_andn2_b64 exec, exec, s[6:7]
	s_cbranch_execnz .LBB32_23
; %bb.24:
	s_or_b64 exec, exec, s[6:7]
.LBB32_25:
	s_or_b64 exec, exec, s[12:13]
	v_mov_b32_e32 v71, 0
	ds_read_b32 v71, v71 offset:116
	s_waitcnt lgkmcnt(0)
	v_mul_f32_e32 v70, v70, v71
	buffer_store_dword v70, off, s[0:3], 0 offset:116
.LBB32_26:
	s_or_b64 exec, exec, s[8:9]
	buffer_load_dword v70, off, s[0:3], 0 offset:112
	v_cmp_lt_u32_e64 s[6:7], 28, v0
	s_waitcnt vmcnt(0)
	ds_write_b32 v68, v70
	s_waitcnt lgkmcnt(0)
	; wave barrier
	s_and_saveexec_b64 s[8:9], s[6:7]
	s_cbranch_execz .LBB32_36
; %bb.27:
	s_andn2_b64 vcc, exec, s[10:11]
	s_cbranch_vccnz .LBB32_29
; %bb.28:
	buffer_load_dword v70, v69, s[0:3], 0 offen
	ds_read_b32 v71, v68
	s_waitcnt vmcnt(0) lgkmcnt(0)
	v_mul_f32_e32 v70, v70, v71
	s_cbranch_execz .LBB32_30
	s_branch .LBB32_31
.LBB32_29:
                                        ; implicit-def: $vgpr70
.LBB32_30:
	ds_read_b32 v70, v68
.LBB32_31:
	s_and_saveexec_b64 s[12:13], s[4:5]
	s_cbranch_execz .LBB32_35
; %bb.32:
	v_subrev_u32_e32 v71, 29, v0
	s_movk_i32 s44, 0x104
	s_mov_b64 s[4:5], 0
.LBB32_33:                              ; =>This Inner Loop Header: Depth=1
	v_mov_b32_e32 v72, s43
	buffer_load_dword v72, v72, s[0:3], 0 offen
	v_mov_b32_e32 v73, s44
	ds_read_b32 v73, v73
	v_add_u32_e32 v71, -1, v71
	s_add_i32 s44, s44, 4
	s_add_i32 s43, s43, 4
	v_cmp_eq_u32_e32 vcc, 0, v71
	s_or_b64 s[4:5], vcc, s[4:5]
	s_waitcnt vmcnt(0) lgkmcnt(0)
	v_fmac_f32_e32 v70, v72, v73
	s_andn2_b64 exec, exec, s[4:5]
	s_cbranch_execnz .LBB32_33
; %bb.34:
	s_or_b64 exec, exec, s[4:5]
.LBB32_35:
	s_or_b64 exec, exec, s[12:13]
	v_mov_b32_e32 v71, 0
	ds_read_b32 v71, v71 offset:112
	s_waitcnt lgkmcnt(0)
	v_mul_f32_e32 v70, v70, v71
	buffer_store_dword v70, off, s[0:3], 0 offset:112
.LBB32_36:
	;; [unrolled: 54-line block ×8, first 2 shown]
	s_or_b64 exec, exec, s[8:9]
	buffer_load_dword v70, off, s[0:3], 0 offset:84
	v_cmp_lt_u32_e64 s[4:5], 21, v0
	s_waitcnt vmcnt(0)
	ds_write_b32 v68, v70
	s_waitcnt lgkmcnt(0)
	; wave barrier
	s_and_saveexec_b64 s[8:9], s[4:5]
	s_cbranch_execz .LBB32_106
; %bb.97:
	s_andn2_b64 vcc, exec, s[10:11]
	s_cbranch_vccnz .LBB32_99
; %bb.98:
	buffer_load_dword v70, v69, s[0:3], 0 offen
	ds_read_b32 v71, v68
	s_waitcnt vmcnt(0) lgkmcnt(0)
	v_mul_f32_e32 v70, v70, v71
	s_cbranch_execz .LBB32_100
	s_branch .LBB32_101
.LBB32_99:
                                        ; implicit-def: $vgpr70
.LBB32_100:
	ds_read_b32 v70, v68
.LBB32_101:
	s_and_saveexec_b64 s[12:13], s[6:7]
	s_cbranch_execz .LBB32_105
; %bb.102:
	v_subrev_u32_e32 v71, 22, v0
	s_movk_i32 s37, 0xe8
	s_mov_b64 s[6:7], 0
.LBB32_103:                             ; =>This Inner Loop Header: Depth=1
	v_mov_b32_e32 v72, s36
	buffer_load_dword v72, v72, s[0:3], 0 offen
	v_mov_b32_e32 v73, s37
	ds_read_b32 v73, v73
	v_add_u32_e32 v71, -1, v71
	s_add_i32 s37, s37, 4
	s_add_i32 s36, s36, 4
	v_cmp_eq_u32_e32 vcc, 0, v71
	s_or_b64 s[6:7], vcc, s[6:7]
	s_waitcnt vmcnt(0) lgkmcnt(0)
	v_fmac_f32_e32 v70, v72, v73
	s_andn2_b64 exec, exec, s[6:7]
	s_cbranch_execnz .LBB32_103
; %bb.104:
	s_or_b64 exec, exec, s[6:7]
.LBB32_105:
	s_or_b64 exec, exec, s[12:13]
	v_mov_b32_e32 v71, 0
	ds_read_b32 v71, v71 offset:84
	s_waitcnt lgkmcnt(0)
	v_mul_f32_e32 v70, v70, v71
	buffer_store_dword v70, off, s[0:3], 0 offset:84
.LBB32_106:
	s_or_b64 exec, exec, s[8:9]
	buffer_load_dword v70, off, s[0:3], 0 offset:80
	v_cmp_lt_u32_e64 s[6:7], 20, v0
	s_waitcnt vmcnt(0)
	ds_write_b32 v68, v70
	s_waitcnt lgkmcnt(0)
	; wave barrier
	s_and_saveexec_b64 s[8:9], s[6:7]
	s_cbranch_execz .LBB32_116
; %bb.107:
	s_andn2_b64 vcc, exec, s[10:11]
	s_cbranch_vccnz .LBB32_109
; %bb.108:
	buffer_load_dword v70, v69, s[0:3], 0 offen
	ds_read_b32 v71, v68
	s_waitcnt vmcnt(0) lgkmcnt(0)
	v_mul_f32_e32 v70, v70, v71
	s_cbranch_execz .LBB32_110
	s_branch .LBB32_111
.LBB32_109:
                                        ; implicit-def: $vgpr70
.LBB32_110:
	ds_read_b32 v70, v68
.LBB32_111:
	s_and_saveexec_b64 s[12:13], s[4:5]
	s_cbranch_execz .LBB32_115
; %bb.112:
	v_subrev_u32_e32 v71, 21, v0
	s_movk_i32 s36, 0xe4
	s_mov_b64 s[4:5], 0
.LBB32_113:                             ; =>This Inner Loop Header: Depth=1
	v_mov_b32_e32 v72, s35
	buffer_load_dword v72, v72, s[0:3], 0 offen
	v_mov_b32_e32 v73, s36
	ds_read_b32 v73, v73
	v_add_u32_e32 v71, -1, v71
	s_add_i32 s36, s36, 4
	s_add_i32 s35, s35, 4
	v_cmp_eq_u32_e32 vcc, 0, v71
	s_or_b64 s[4:5], vcc, s[4:5]
	s_waitcnt vmcnt(0) lgkmcnt(0)
	v_fmac_f32_e32 v70, v72, v73
	s_andn2_b64 exec, exec, s[4:5]
	s_cbranch_execnz .LBB32_113
; %bb.114:
	s_or_b64 exec, exec, s[4:5]
.LBB32_115:
	s_or_b64 exec, exec, s[12:13]
	v_mov_b32_e32 v71, 0
	ds_read_b32 v71, v71 offset:80
	s_waitcnt lgkmcnt(0)
	v_mul_f32_e32 v70, v70, v71
	buffer_store_dword v70, off, s[0:3], 0 offset:80
.LBB32_116:
	;; [unrolled: 54-line block ×6, first 2 shown]
	s_or_b64 exec, exec, s[8:9]
	buffer_load_dword v70, off, s[0:3], 0 offset:60
	v_cmp_lt_u32_e64 s[4:5], 15, v0
	s_waitcnt vmcnt(0)
	ds_write_b32 v68, v70
	s_waitcnt lgkmcnt(0)
	; wave barrier
	s_and_saveexec_b64 s[8:9], s[4:5]
	s_cbranch_execz .LBB32_166
; %bb.157:
	s_andn2_b64 vcc, exec, s[10:11]
	s_cbranch_vccnz .LBB32_159
; %bb.158:
	buffer_load_dword v70, v69, s[0:3], 0 offen
	ds_read_b32 v71, v68
	s_waitcnt vmcnt(0) lgkmcnt(0)
	v_mul_f32_e32 v70, v70, v71
	s_cbranch_execz .LBB32_160
	s_branch .LBB32_161
.LBB32_159:
                                        ; implicit-def: $vgpr70
.LBB32_160:
	ds_read_b32 v70, v68
.LBB32_161:
	s_and_saveexec_b64 s[12:13], s[6:7]
	s_cbranch_execz .LBB32_165
; %bb.162:
	v_add_u32_e32 v71, -16, v0
	s_movk_i32 s30, 0xd0
	s_mov_b64 s[6:7], 0
.LBB32_163:                             ; =>This Inner Loop Header: Depth=1
	v_mov_b32_e32 v72, s29
	buffer_load_dword v72, v72, s[0:3], 0 offen
	v_mov_b32_e32 v73, s30
	ds_read_b32 v73, v73
	v_add_u32_e32 v71, -1, v71
	s_add_i32 s30, s30, 4
	s_add_i32 s29, s29, 4
	v_cmp_eq_u32_e32 vcc, 0, v71
	s_or_b64 s[6:7], vcc, s[6:7]
	s_waitcnt vmcnt(0) lgkmcnt(0)
	v_fmac_f32_e32 v70, v72, v73
	s_andn2_b64 exec, exec, s[6:7]
	s_cbranch_execnz .LBB32_163
; %bb.164:
	s_or_b64 exec, exec, s[6:7]
.LBB32_165:
	s_or_b64 exec, exec, s[12:13]
	v_mov_b32_e32 v71, 0
	ds_read_b32 v71, v71 offset:60
	s_waitcnt lgkmcnt(0)
	v_mul_f32_e32 v70, v70, v71
	buffer_store_dword v70, off, s[0:3], 0 offset:60
.LBB32_166:
	s_or_b64 exec, exec, s[8:9]
	buffer_load_dword v70, off, s[0:3], 0 offset:56
	v_cmp_lt_u32_e64 s[6:7], 14, v0
	s_waitcnt vmcnt(0)
	ds_write_b32 v68, v70
	s_waitcnt lgkmcnt(0)
	; wave barrier
	s_and_saveexec_b64 s[8:9], s[6:7]
	s_cbranch_execz .LBB32_176
; %bb.167:
	s_andn2_b64 vcc, exec, s[10:11]
	s_cbranch_vccnz .LBB32_169
; %bb.168:
	buffer_load_dword v70, v69, s[0:3], 0 offen
	ds_read_b32 v71, v68
	s_waitcnt vmcnt(0) lgkmcnt(0)
	v_mul_f32_e32 v70, v70, v71
	s_cbranch_execz .LBB32_170
	s_branch .LBB32_171
.LBB32_169:
                                        ; implicit-def: $vgpr70
.LBB32_170:
	ds_read_b32 v70, v68
.LBB32_171:
	s_and_saveexec_b64 s[12:13], s[4:5]
	s_cbranch_execz .LBB32_175
; %bb.172:
	v_add_u32_e32 v71, -15, v0
	s_movk_i32 s29, 0xcc
	s_mov_b64 s[4:5], 0
.LBB32_173:                             ; =>This Inner Loop Header: Depth=1
	v_mov_b32_e32 v72, s28
	buffer_load_dword v72, v72, s[0:3], 0 offen
	v_mov_b32_e32 v73, s29
	ds_read_b32 v73, v73
	v_add_u32_e32 v71, -1, v71
	s_add_i32 s29, s29, 4
	s_add_i32 s28, s28, 4
	v_cmp_eq_u32_e32 vcc, 0, v71
	s_or_b64 s[4:5], vcc, s[4:5]
	s_waitcnt vmcnt(0) lgkmcnt(0)
	v_fmac_f32_e32 v70, v72, v73
	s_andn2_b64 exec, exec, s[4:5]
	s_cbranch_execnz .LBB32_173
; %bb.174:
	s_or_b64 exec, exec, s[4:5]
.LBB32_175:
	s_or_b64 exec, exec, s[12:13]
	v_mov_b32_e32 v71, 0
	ds_read_b32 v71, v71 offset:56
	s_waitcnt lgkmcnt(0)
	v_mul_f32_e32 v70, v70, v71
	buffer_store_dword v70, off, s[0:3], 0 offset:56
.LBB32_176:
	;; [unrolled: 54-line block ×15, first 2 shown]
	s_or_b64 exec, exec, s[8:9]
	buffer_load_dword v70, off, s[0:3], 0
	v_cmp_ne_u32_e32 vcc, 0, v0
	s_waitcnt vmcnt(0)
	ds_write_b32 v68, v70
	s_waitcnt lgkmcnt(0)
	; wave barrier
	s_and_saveexec_b64 s[6:7], vcc
	s_cbranch_execz .LBB32_316
; %bb.307:
	s_andn2_b64 vcc, exec, s[10:11]
	s_cbranch_vccnz .LBB32_309
; %bb.308:
	buffer_load_dword v70, v69, s[0:3], 0 offen
	ds_read_b32 v71, v68
	s_waitcnt vmcnt(0) lgkmcnt(0)
	v_mul_f32_e32 v70, v70, v71
	s_cbranch_execz .LBB32_310
	s_branch .LBB32_311
.LBB32_309:
                                        ; implicit-def: $vgpr70
.LBB32_310:
	ds_read_b32 v70, v68
.LBB32_311:
	s_and_saveexec_b64 s[8:9], s[4:5]
	s_cbranch_execz .LBB32_315
; %bb.312:
	v_add_u32_e32 v71, -1, v0
	s_movk_i32 s12, 0x94
	s_mov_b64 s[4:5], 0
.LBB32_313:                             ; =>This Inner Loop Header: Depth=1
	v_mov_b32_e32 v72, s14
	buffer_load_dword v72, v72, s[0:3], 0 offen
	v_mov_b32_e32 v73, s12
	ds_read_b32 v73, v73
	v_add_u32_e32 v71, -1, v71
	s_add_i32 s12, s12, 4
	s_add_i32 s14, s14, 4
	v_cmp_eq_u32_e32 vcc, 0, v71
	s_or_b64 s[4:5], vcc, s[4:5]
	s_waitcnt vmcnt(0) lgkmcnt(0)
	v_fmac_f32_e32 v70, v72, v73
	s_andn2_b64 exec, exec, s[4:5]
	s_cbranch_execnz .LBB32_313
; %bb.314:
	s_or_b64 exec, exec, s[4:5]
.LBB32_315:
	s_or_b64 exec, exec, s[8:9]
	v_mov_b32_e32 v71, 0
	ds_read_b32 v71, v71
	s_waitcnt lgkmcnt(0)
	v_mul_f32_e32 v70, v70, v71
	buffer_store_dword v70, off, s[0:3], 0
.LBB32_316:
	s_or_b64 exec, exec, s[6:7]
	s_mov_b64 s[4:5], 0
.LBB32_317:
	s_and_b64 vcc, exec, s[4:5]
	s_cbranch_vccz .LBB32_629
; %bb.318:
	buffer_load_dword v70, off, s[0:3], 0 offset:4
	v_cmp_eq_u32_e64 s[6:7], 0, v0
	s_waitcnt vmcnt(0)
	ds_write_b32 v68, v70
	s_waitcnt lgkmcnt(0)
	; wave barrier
	s_and_saveexec_b64 s[4:5], s[6:7]
	s_cbranch_execz .LBB32_324
; %bb.319:
	s_and_b64 vcc, exec, s[10:11]
	s_cbranch_vccz .LBB32_321
; %bb.320:
	buffer_load_dword v70, v69, s[0:3], 0 offen
	ds_read_b32 v71, v68
	s_waitcnt vmcnt(0) lgkmcnt(0)
	v_mul_f32_e32 v70, v70, v71
	s_cbranch_execz .LBB32_322
	s_branch .LBB32_323
.LBB32_321:
                                        ; implicit-def: $vgpr70
.LBB32_322:
	ds_read_b32 v70, v68
.LBB32_323:
	v_mov_b32_e32 v71, 0
	ds_read_b32 v71, v71 offset:4
	s_waitcnt lgkmcnt(0)
	v_mul_f32_e32 v70, v70, v71
	buffer_store_dword v70, off, s[0:3], 0 offset:4
.LBB32_324:
	s_or_b64 exec, exec, s[4:5]
	buffer_load_dword v70, off, s[0:3], 0 offset:8
	v_cndmask_b32_e64 v71, 0, 1, s[10:11]
	v_cmp_gt_u32_e32 vcc, 2, v0
	v_cmp_ne_u32_e64 s[4:5], 1, v71
	s_waitcnt vmcnt(0)
	ds_write_b32 v68, v70
	s_waitcnt lgkmcnt(0)
	; wave barrier
	s_and_saveexec_b64 s[8:9], vcc
	s_cbranch_execz .LBB32_330
; %bb.325:
	s_and_b64 vcc, exec, s[4:5]
	s_cbranch_vccnz .LBB32_327
; %bb.326:
	buffer_load_dword v70, v69, s[0:3], 0 offen
	ds_read_b32 v71, v68
	s_waitcnt vmcnt(0) lgkmcnt(0)
	v_mul_f32_e32 v70, v70, v71
	s_cbranch_execz .LBB32_328
	s_branch .LBB32_329
.LBB32_327:
                                        ; implicit-def: $vgpr70
.LBB32_328:
	ds_read_b32 v70, v68
.LBB32_329:
	buffer_load_dword v73, off, s[0:3], 0 offset:4
	v_mov_b32_e32 v71, 0
	ds_read2_b32 v[71:72], v71 offset0:2 offset1:37
	s_waitcnt vmcnt(0) lgkmcnt(0)
	v_fma_f32 v72, v73, v72, v70
	v_cndmask_b32_e64 v70, v70, v72, s[6:7]
	v_mul_f32_e32 v70, v70, v71
	buffer_store_dword v70, off, s[0:3], 0 offset:8
.LBB32_330:
	s_or_b64 exec, exec, s[8:9]
	buffer_load_dword v70, off, s[0:3], 0 offset:12
	v_cmp_gt_u32_e32 vcc, 3, v0
	s_waitcnt vmcnt(0)
	ds_write_b32 v68, v70
	s_waitcnt lgkmcnt(0)
	; wave barrier
	s_and_saveexec_b64 s[8:9], vcc
	s_cbranch_execz .LBB32_338
; %bb.331:
	s_and_b64 vcc, exec, s[4:5]
	s_cbranch_vccnz .LBB32_333
; %bb.332:
	buffer_load_dword v70, v69, s[0:3], 0 offen
	ds_read_b32 v71, v68
	s_waitcnt vmcnt(0) lgkmcnt(0)
	v_mul_f32_e32 v70, v70, v71
	s_cbranch_execz .LBB32_334
	s_branch .LBB32_335
.LBB32_333:
                                        ; implicit-def: $vgpr70
.LBB32_334:
	ds_read_b32 v70, v68
.LBB32_335:
	v_cmp_ne_u32_e32 vcc, 2, v0
	s_and_saveexec_b64 s[10:11], vcc
	s_cbranch_execz .LBB32_337
; %bb.336:
	buffer_load_dword v71, v69, s[0:3], 0 offen offset:4
	buffer_load_dword v72, off, s[0:3], 0 offset:8
	v_mov_b32_e32 v73, 0
	ds_read_b32 v74, v68 offset:4
	ds_read_b32 v73, v73 offset:152
	s_waitcnt vmcnt(1) lgkmcnt(1)
	v_fmac_f32_e32 v70, v71, v74
	s_waitcnt vmcnt(0) lgkmcnt(0)
	v_fma_f32 v71, v72, v73, v70
	v_cndmask_b32_e64 v70, v70, v71, s[6:7]
.LBB32_337:
	s_or_b64 exec, exec, s[10:11]
	v_mov_b32_e32 v71, 0
	ds_read_b32 v71, v71 offset:12
	s_waitcnt lgkmcnt(0)
	v_mul_f32_e32 v70, v70, v71
	buffer_store_dword v70, off, s[0:3], 0 offset:12
.LBB32_338:
	s_or_b64 exec, exec, s[8:9]
	buffer_load_dword v70, off, s[0:3], 0 offset:16
	v_cmp_gt_u32_e32 vcc, 4, v0
	s_waitcnt vmcnt(0)
	ds_write_b32 v68, v70
	s_waitcnt lgkmcnt(0)
	; wave barrier
	s_and_saveexec_b64 s[6:7], vcc
	s_cbranch_execz .LBB32_348
; %bb.339:
	s_and_b64 vcc, exec, s[4:5]
	s_cbranch_vccnz .LBB32_341
; %bb.340:
	buffer_load_dword v70, v69, s[0:3], 0 offen
	ds_read_b32 v71, v68
	s_waitcnt vmcnt(0) lgkmcnt(0)
	v_mul_f32_e32 v70, v70, v71
	s_cbranch_execz .LBB32_342
	s_branch .LBB32_343
.LBB32_341:
                                        ; implicit-def: $vgpr70
.LBB32_342:
	ds_read_b32 v70, v68
.LBB32_343:
	v_cmp_ne_u32_e32 vcc, 3, v0
	s_and_saveexec_b64 s[8:9], vcc
	s_cbranch_execz .LBB32_347
; %bb.344:
	s_mov_b32 s10, 0
	v_add_u32_e32 v71, 0x94, v67
	v_add3_u32 v72, v67, s10, 4
	s_mov_b64 s[10:11], 0
	v_mov_b32_e32 v73, v0
.LBB32_345:                             ; =>This Inner Loop Header: Depth=1
	buffer_load_dword v74, v72, s[0:3], 0 offen
	ds_read_b32 v75, v71
	v_add_u32_e32 v73, 1, v73
	v_cmp_lt_u32_e32 vcc, 2, v73
	v_add_u32_e32 v71, 4, v71
	v_add_u32_e32 v72, 4, v72
	s_or_b64 s[10:11], vcc, s[10:11]
	s_waitcnt vmcnt(0) lgkmcnt(0)
	v_fmac_f32_e32 v70, v74, v75
	s_andn2_b64 exec, exec, s[10:11]
	s_cbranch_execnz .LBB32_345
; %bb.346:
	s_or_b64 exec, exec, s[10:11]
.LBB32_347:
	s_or_b64 exec, exec, s[8:9]
	v_mov_b32_e32 v71, 0
	ds_read_b32 v71, v71 offset:16
	s_waitcnt lgkmcnt(0)
	v_mul_f32_e32 v70, v70, v71
	buffer_store_dword v70, off, s[0:3], 0 offset:16
.LBB32_348:
	s_or_b64 exec, exec, s[6:7]
	buffer_load_dword v70, off, s[0:3], 0 offset:20
	v_cmp_gt_u32_e32 vcc, 5, v0
	s_waitcnt vmcnt(0)
	ds_write_b32 v68, v70
	s_waitcnt lgkmcnt(0)
	; wave barrier
	s_and_saveexec_b64 s[6:7], vcc
	s_cbranch_execz .LBB32_358
; %bb.349:
	s_and_b64 vcc, exec, s[4:5]
	s_cbranch_vccnz .LBB32_351
; %bb.350:
	buffer_load_dword v70, v69, s[0:3], 0 offen
	ds_read_b32 v71, v68
	s_waitcnt vmcnt(0) lgkmcnt(0)
	v_mul_f32_e32 v70, v70, v71
	s_cbranch_execz .LBB32_352
	s_branch .LBB32_353
.LBB32_351:
                                        ; implicit-def: $vgpr70
.LBB32_352:
	ds_read_b32 v70, v68
.LBB32_353:
	v_cmp_ne_u32_e32 vcc, 4, v0
	s_and_saveexec_b64 s[8:9], vcc
	s_cbranch_execz .LBB32_357
; %bb.354:
	s_mov_b32 s10, 0
	v_add_u32_e32 v71, 0x94, v67
	v_add3_u32 v72, v67, s10, 4
	s_mov_b64 s[10:11], 0
	v_mov_b32_e32 v73, v0
.LBB32_355:                             ; =>This Inner Loop Header: Depth=1
	buffer_load_dword v74, v72, s[0:3], 0 offen
	ds_read_b32 v75, v71
	v_add_u32_e32 v73, 1, v73
	v_cmp_lt_u32_e32 vcc, 3, v73
	v_add_u32_e32 v71, 4, v71
	v_add_u32_e32 v72, 4, v72
	s_or_b64 s[10:11], vcc, s[10:11]
	s_waitcnt vmcnt(0) lgkmcnt(0)
	v_fmac_f32_e32 v70, v74, v75
	s_andn2_b64 exec, exec, s[10:11]
	s_cbranch_execnz .LBB32_355
; %bb.356:
	s_or_b64 exec, exec, s[10:11]
.LBB32_357:
	s_or_b64 exec, exec, s[8:9]
	v_mov_b32_e32 v71, 0
	ds_read_b32 v71, v71 offset:20
	s_waitcnt lgkmcnt(0)
	v_mul_f32_e32 v70, v70, v71
	buffer_store_dword v70, off, s[0:3], 0 offset:20
.LBB32_358:
	s_or_b64 exec, exec, s[6:7]
	buffer_load_dword v70, off, s[0:3], 0 offset:24
	v_cmp_gt_u32_e32 vcc, 6, v0
	s_waitcnt vmcnt(0)
	ds_write_b32 v68, v70
	s_waitcnt lgkmcnt(0)
	; wave barrier
	s_and_saveexec_b64 s[6:7], vcc
	s_cbranch_execz .LBB32_368
; %bb.359:
	s_and_b64 vcc, exec, s[4:5]
	s_cbranch_vccnz .LBB32_361
; %bb.360:
	buffer_load_dword v70, v69, s[0:3], 0 offen
	ds_read_b32 v71, v68
	s_waitcnt vmcnt(0) lgkmcnt(0)
	v_mul_f32_e32 v70, v70, v71
	s_cbranch_execz .LBB32_362
	s_branch .LBB32_363
.LBB32_361:
                                        ; implicit-def: $vgpr70
.LBB32_362:
	ds_read_b32 v70, v68
.LBB32_363:
	v_cmp_ne_u32_e32 vcc, 5, v0
	s_and_saveexec_b64 s[8:9], vcc
	s_cbranch_execz .LBB32_367
; %bb.364:
	s_mov_b32 s10, 0
	v_add_u32_e32 v71, 0x94, v67
	v_add3_u32 v72, v67, s10, 4
	s_mov_b64 s[10:11], 0
	v_mov_b32_e32 v73, v0
.LBB32_365:                             ; =>This Inner Loop Header: Depth=1
	buffer_load_dword v74, v72, s[0:3], 0 offen
	ds_read_b32 v75, v71
	v_add_u32_e32 v73, 1, v73
	v_cmp_lt_u32_e32 vcc, 4, v73
	v_add_u32_e32 v71, 4, v71
	v_add_u32_e32 v72, 4, v72
	s_or_b64 s[10:11], vcc, s[10:11]
	s_waitcnt vmcnt(0) lgkmcnt(0)
	v_fmac_f32_e32 v70, v74, v75
	s_andn2_b64 exec, exec, s[10:11]
	s_cbranch_execnz .LBB32_365
; %bb.366:
	s_or_b64 exec, exec, s[10:11]
.LBB32_367:
	s_or_b64 exec, exec, s[8:9]
	v_mov_b32_e32 v71, 0
	ds_read_b32 v71, v71 offset:24
	s_waitcnt lgkmcnt(0)
	v_mul_f32_e32 v70, v70, v71
	buffer_store_dword v70, off, s[0:3], 0 offset:24
.LBB32_368:
	s_or_b64 exec, exec, s[6:7]
	buffer_load_dword v70, off, s[0:3], 0 offset:28
	v_cmp_gt_u32_e32 vcc, 7, v0
	s_waitcnt vmcnt(0)
	ds_write_b32 v68, v70
	s_waitcnt lgkmcnt(0)
	; wave barrier
	s_and_saveexec_b64 s[6:7], vcc
	s_cbranch_execz .LBB32_378
; %bb.369:
	s_and_b64 vcc, exec, s[4:5]
	s_cbranch_vccnz .LBB32_371
; %bb.370:
	buffer_load_dword v70, v69, s[0:3], 0 offen
	ds_read_b32 v71, v68
	s_waitcnt vmcnt(0) lgkmcnt(0)
	v_mul_f32_e32 v70, v70, v71
	s_cbranch_execz .LBB32_372
	s_branch .LBB32_373
.LBB32_371:
                                        ; implicit-def: $vgpr70
.LBB32_372:
	ds_read_b32 v70, v68
.LBB32_373:
	v_cmp_ne_u32_e32 vcc, 6, v0
	s_and_saveexec_b64 s[8:9], vcc
	s_cbranch_execz .LBB32_377
; %bb.374:
	s_mov_b32 s10, 0
	v_add_u32_e32 v71, 0x94, v67
	v_add3_u32 v72, v67, s10, 4
	s_mov_b64 s[10:11], 0
	v_mov_b32_e32 v73, v0
.LBB32_375:                             ; =>This Inner Loop Header: Depth=1
	buffer_load_dword v74, v72, s[0:3], 0 offen
	ds_read_b32 v75, v71
	v_add_u32_e32 v73, 1, v73
	v_cmp_lt_u32_e32 vcc, 5, v73
	v_add_u32_e32 v71, 4, v71
	v_add_u32_e32 v72, 4, v72
	s_or_b64 s[10:11], vcc, s[10:11]
	s_waitcnt vmcnt(0) lgkmcnt(0)
	v_fmac_f32_e32 v70, v74, v75
	s_andn2_b64 exec, exec, s[10:11]
	s_cbranch_execnz .LBB32_375
; %bb.376:
	s_or_b64 exec, exec, s[10:11]
.LBB32_377:
	s_or_b64 exec, exec, s[8:9]
	v_mov_b32_e32 v71, 0
	ds_read_b32 v71, v71 offset:28
	s_waitcnt lgkmcnt(0)
	v_mul_f32_e32 v70, v70, v71
	buffer_store_dword v70, off, s[0:3], 0 offset:28
.LBB32_378:
	s_or_b64 exec, exec, s[6:7]
	buffer_load_dword v70, off, s[0:3], 0 offset:32
	v_cmp_gt_u32_e32 vcc, 8, v0
	s_waitcnt vmcnt(0)
	ds_write_b32 v68, v70
	s_waitcnt lgkmcnt(0)
	; wave barrier
	s_and_saveexec_b64 s[6:7], vcc
	s_cbranch_execz .LBB32_388
; %bb.379:
	s_and_b64 vcc, exec, s[4:5]
	s_cbranch_vccnz .LBB32_381
; %bb.380:
	buffer_load_dword v70, v69, s[0:3], 0 offen
	ds_read_b32 v71, v68
	s_waitcnt vmcnt(0) lgkmcnt(0)
	v_mul_f32_e32 v70, v70, v71
	s_cbranch_execz .LBB32_382
	s_branch .LBB32_383
.LBB32_381:
                                        ; implicit-def: $vgpr70
.LBB32_382:
	ds_read_b32 v70, v68
.LBB32_383:
	v_cmp_ne_u32_e32 vcc, 7, v0
	s_and_saveexec_b64 s[8:9], vcc
	s_cbranch_execz .LBB32_387
; %bb.384:
	s_mov_b32 s10, 0
	v_add_u32_e32 v71, 0x94, v67
	v_add3_u32 v72, v67, s10, 4
	s_mov_b64 s[10:11], 0
	v_mov_b32_e32 v73, v0
.LBB32_385:                             ; =>This Inner Loop Header: Depth=1
	buffer_load_dword v74, v72, s[0:3], 0 offen
	ds_read_b32 v75, v71
	v_add_u32_e32 v73, 1, v73
	v_cmp_lt_u32_e32 vcc, 6, v73
	v_add_u32_e32 v71, 4, v71
	v_add_u32_e32 v72, 4, v72
	s_or_b64 s[10:11], vcc, s[10:11]
	s_waitcnt vmcnt(0) lgkmcnt(0)
	v_fmac_f32_e32 v70, v74, v75
	s_andn2_b64 exec, exec, s[10:11]
	s_cbranch_execnz .LBB32_385
; %bb.386:
	s_or_b64 exec, exec, s[10:11]
.LBB32_387:
	s_or_b64 exec, exec, s[8:9]
	v_mov_b32_e32 v71, 0
	ds_read_b32 v71, v71 offset:32
	s_waitcnt lgkmcnt(0)
	v_mul_f32_e32 v70, v70, v71
	buffer_store_dword v70, off, s[0:3], 0 offset:32
.LBB32_388:
	s_or_b64 exec, exec, s[6:7]
	buffer_load_dword v70, off, s[0:3], 0 offset:36
	v_cmp_gt_u32_e32 vcc, 9, v0
	s_waitcnt vmcnt(0)
	ds_write_b32 v68, v70
	s_waitcnt lgkmcnt(0)
	; wave barrier
	s_and_saveexec_b64 s[6:7], vcc
	s_cbranch_execz .LBB32_398
; %bb.389:
	s_and_b64 vcc, exec, s[4:5]
	s_cbranch_vccnz .LBB32_391
; %bb.390:
	buffer_load_dword v70, v69, s[0:3], 0 offen
	ds_read_b32 v71, v68
	s_waitcnt vmcnt(0) lgkmcnt(0)
	v_mul_f32_e32 v70, v70, v71
	s_cbranch_execz .LBB32_392
	s_branch .LBB32_393
.LBB32_391:
                                        ; implicit-def: $vgpr70
.LBB32_392:
	ds_read_b32 v70, v68
.LBB32_393:
	v_cmp_ne_u32_e32 vcc, 8, v0
	s_and_saveexec_b64 s[8:9], vcc
	s_cbranch_execz .LBB32_397
; %bb.394:
	s_mov_b32 s10, 0
	v_add_u32_e32 v71, 0x94, v67
	v_add3_u32 v72, v67, s10, 4
	s_mov_b64 s[10:11], 0
	v_mov_b32_e32 v73, v0
.LBB32_395:                             ; =>This Inner Loop Header: Depth=1
	buffer_load_dword v74, v72, s[0:3], 0 offen
	ds_read_b32 v75, v71
	v_add_u32_e32 v73, 1, v73
	v_cmp_lt_u32_e32 vcc, 7, v73
	v_add_u32_e32 v71, 4, v71
	v_add_u32_e32 v72, 4, v72
	s_or_b64 s[10:11], vcc, s[10:11]
	s_waitcnt vmcnt(0) lgkmcnt(0)
	v_fmac_f32_e32 v70, v74, v75
	s_andn2_b64 exec, exec, s[10:11]
	s_cbranch_execnz .LBB32_395
; %bb.396:
	s_or_b64 exec, exec, s[10:11]
.LBB32_397:
	s_or_b64 exec, exec, s[8:9]
	v_mov_b32_e32 v71, 0
	ds_read_b32 v71, v71 offset:36
	s_waitcnt lgkmcnt(0)
	v_mul_f32_e32 v70, v70, v71
	buffer_store_dword v70, off, s[0:3], 0 offset:36
.LBB32_398:
	s_or_b64 exec, exec, s[6:7]
	buffer_load_dword v70, off, s[0:3], 0 offset:40
	v_cmp_gt_u32_e32 vcc, 10, v0
	s_waitcnt vmcnt(0)
	ds_write_b32 v68, v70
	s_waitcnt lgkmcnt(0)
	; wave barrier
	s_and_saveexec_b64 s[6:7], vcc
	s_cbranch_execz .LBB32_408
; %bb.399:
	s_and_b64 vcc, exec, s[4:5]
	s_cbranch_vccnz .LBB32_401
; %bb.400:
	buffer_load_dword v70, v69, s[0:3], 0 offen
	ds_read_b32 v71, v68
	s_waitcnt vmcnt(0) lgkmcnt(0)
	v_mul_f32_e32 v70, v70, v71
	s_cbranch_execz .LBB32_402
	s_branch .LBB32_403
.LBB32_401:
                                        ; implicit-def: $vgpr70
.LBB32_402:
	ds_read_b32 v70, v68
.LBB32_403:
	v_cmp_ne_u32_e32 vcc, 9, v0
	s_and_saveexec_b64 s[8:9], vcc
	s_cbranch_execz .LBB32_407
; %bb.404:
	s_mov_b32 s10, 0
	v_add_u32_e32 v71, 0x94, v67
	v_add3_u32 v72, v67, s10, 4
	s_mov_b64 s[10:11], 0
	v_mov_b32_e32 v73, v0
.LBB32_405:                             ; =>This Inner Loop Header: Depth=1
	buffer_load_dword v74, v72, s[0:3], 0 offen
	ds_read_b32 v75, v71
	v_add_u32_e32 v73, 1, v73
	v_cmp_lt_u32_e32 vcc, 8, v73
	v_add_u32_e32 v71, 4, v71
	v_add_u32_e32 v72, 4, v72
	s_or_b64 s[10:11], vcc, s[10:11]
	s_waitcnt vmcnt(0) lgkmcnt(0)
	v_fmac_f32_e32 v70, v74, v75
	s_andn2_b64 exec, exec, s[10:11]
	s_cbranch_execnz .LBB32_405
; %bb.406:
	s_or_b64 exec, exec, s[10:11]
.LBB32_407:
	s_or_b64 exec, exec, s[8:9]
	v_mov_b32_e32 v71, 0
	ds_read_b32 v71, v71 offset:40
	s_waitcnt lgkmcnt(0)
	v_mul_f32_e32 v70, v70, v71
	buffer_store_dword v70, off, s[0:3], 0 offset:40
.LBB32_408:
	s_or_b64 exec, exec, s[6:7]
	buffer_load_dword v70, off, s[0:3], 0 offset:44
	v_cmp_gt_u32_e32 vcc, 11, v0
	s_waitcnt vmcnt(0)
	ds_write_b32 v68, v70
	s_waitcnt lgkmcnt(0)
	; wave barrier
	s_and_saveexec_b64 s[6:7], vcc
	s_cbranch_execz .LBB32_418
; %bb.409:
	s_and_b64 vcc, exec, s[4:5]
	s_cbranch_vccnz .LBB32_411
; %bb.410:
	buffer_load_dword v70, v69, s[0:3], 0 offen
	ds_read_b32 v71, v68
	s_waitcnt vmcnt(0) lgkmcnt(0)
	v_mul_f32_e32 v70, v70, v71
	s_cbranch_execz .LBB32_412
	s_branch .LBB32_413
.LBB32_411:
                                        ; implicit-def: $vgpr70
.LBB32_412:
	ds_read_b32 v70, v68
.LBB32_413:
	v_cmp_ne_u32_e32 vcc, 10, v0
	s_and_saveexec_b64 s[8:9], vcc
	s_cbranch_execz .LBB32_417
; %bb.414:
	s_mov_b32 s10, 0
	v_add_u32_e32 v71, 0x94, v67
	v_add3_u32 v72, v67, s10, 4
	s_mov_b64 s[10:11], 0
	v_mov_b32_e32 v73, v0
.LBB32_415:                             ; =>This Inner Loop Header: Depth=1
	buffer_load_dword v74, v72, s[0:3], 0 offen
	ds_read_b32 v75, v71
	v_add_u32_e32 v73, 1, v73
	v_cmp_lt_u32_e32 vcc, 9, v73
	v_add_u32_e32 v71, 4, v71
	v_add_u32_e32 v72, 4, v72
	s_or_b64 s[10:11], vcc, s[10:11]
	s_waitcnt vmcnt(0) lgkmcnt(0)
	v_fmac_f32_e32 v70, v74, v75
	s_andn2_b64 exec, exec, s[10:11]
	s_cbranch_execnz .LBB32_415
; %bb.416:
	s_or_b64 exec, exec, s[10:11]
.LBB32_417:
	s_or_b64 exec, exec, s[8:9]
	v_mov_b32_e32 v71, 0
	ds_read_b32 v71, v71 offset:44
	s_waitcnt lgkmcnt(0)
	v_mul_f32_e32 v70, v70, v71
	buffer_store_dword v70, off, s[0:3], 0 offset:44
.LBB32_418:
	s_or_b64 exec, exec, s[6:7]
	buffer_load_dword v70, off, s[0:3], 0 offset:48
	v_cmp_gt_u32_e32 vcc, 12, v0
	s_waitcnt vmcnt(0)
	ds_write_b32 v68, v70
	s_waitcnt lgkmcnt(0)
	; wave barrier
	s_and_saveexec_b64 s[6:7], vcc
	s_cbranch_execz .LBB32_428
; %bb.419:
	s_and_b64 vcc, exec, s[4:5]
	s_cbranch_vccnz .LBB32_421
; %bb.420:
	buffer_load_dword v70, v69, s[0:3], 0 offen
	ds_read_b32 v71, v68
	s_waitcnt vmcnt(0) lgkmcnt(0)
	v_mul_f32_e32 v70, v70, v71
	s_cbranch_execz .LBB32_422
	s_branch .LBB32_423
.LBB32_421:
                                        ; implicit-def: $vgpr70
.LBB32_422:
	ds_read_b32 v70, v68
.LBB32_423:
	v_cmp_ne_u32_e32 vcc, 11, v0
	s_and_saveexec_b64 s[8:9], vcc
	s_cbranch_execz .LBB32_427
; %bb.424:
	s_mov_b32 s10, 0
	v_add_u32_e32 v71, 0x94, v67
	v_add3_u32 v72, v67, s10, 4
	s_mov_b64 s[10:11], 0
	v_mov_b32_e32 v73, v0
.LBB32_425:                             ; =>This Inner Loop Header: Depth=1
	buffer_load_dword v74, v72, s[0:3], 0 offen
	ds_read_b32 v75, v71
	v_add_u32_e32 v73, 1, v73
	v_cmp_lt_u32_e32 vcc, 10, v73
	v_add_u32_e32 v71, 4, v71
	v_add_u32_e32 v72, 4, v72
	s_or_b64 s[10:11], vcc, s[10:11]
	s_waitcnt vmcnt(0) lgkmcnt(0)
	v_fmac_f32_e32 v70, v74, v75
	s_andn2_b64 exec, exec, s[10:11]
	s_cbranch_execnz .LBB32_425
; %bb.426:
	s_or_b64 exec, exec, s[10:11]
.LBB32_427:
	s_or_b64 exec, exec, s[8:9]
	v_mov_b32_e32 v71, 0
	ds_read_b32 v71, v71 offset:48
	s_waitcnt lgkmcnt(0)
	v_mul_f32_e32 v70, v70, v71
	buffer_store_dword v70, off, s[0:3], 0 offset:48
.LBB32_428:
	s_or_b64 exec, exec, s[6:7]
	buffer_load_dword v70, off, s[0:3], 0 offset:52
	v_cmp_gt_u32_e32 vcc, 13, v0
	s_waitcnt vmcnt(0)
	ds_write_b32 v68, v70
	s_waitcnt lgkmcnt(0)
	; wave barrier
	s_and_saveexec_b64 s[6:7], vcc
	s_cbranch_execz .LBB32_438
; %bb.429:
	s_and_b64 vcc, exec, s[4:5]
	s_cbranch_vccnz .LBB32_431
; %bb.430:
	buffer_load_dword v70, v69, s[0:3], 0 offen
	ds_read_b32 v71, v68
	s_waitcnt vmcnt(0) lgkmcnt(0)
	v_mul_f32_e32 v70, v70, v71
	s_cbranch_execz .LBB32_432
	s_branch .LBB32_433
.LBB32_431:
                                        ; implicit-def: $vgpr70
.LBB32_432:
	ds_read_b32 v70, v68
.LBB32_433:
	v_cmp_ne_u32_e32 vcc, 12, v0
	s_and_saveexec_b64 s[8:9], vcc
	s_cbranch_execz .LBB32_437
; %bb.434:
	s_mov_b32 s10, 0
	v_add_u32_e32 v71, 0x94, v67
	v_add3_u32 v72, v67, s10, 4
	s_mov_b64 s[10:11], 0
	v_mov_b32_e32 v73, v0
.LBB32_435:                             ; =>This Inner Loop Header: Depth=1
	buffer_load_dword v74, v72, s[0:3], 0 offen
	ds_read_b32 v75, v71
	v_add_u32_e32 v73, 1, v73
	v_cmp_lt_u32_e32 vcc, 11, v73
	v_add_u32_e32 v71, 4, v71
	v_add_u32_e32 v72, 4, v72
	s_or_b64 s[10:11], vcc, s[10:11]
	s_waitcnt vmcnt(0) lgkmcnt(0)
	v_fmac_f32_e32 v70, v74, v75
	s_andn2_b64 exec, exec, s[10:11]
	s_cbranch_execnz .LBB32_435
; %bb.436:
	s_or_b64 exec, exec, s[10:11]
.LBB32_437:
	s_or_b64 exec, exec, s[8:9]
	v_mov_b32_e32 v71, 0
	ds_read_b32 v71, v71 offset:52
	s_waitcnt lgkmcnt(0)
	v_mul_f32_e32 v70, v70, v71
	buffer_store_dword v70, off, s[0:3], 0 offset:52
.LBB32_438:
	s_or_b64 exec, exec, s[6:7]
	buffer_load_dword v70, off, s[0:3], 0 offset:56
	v_cmp_gt_u32_e32 vcc, 14, v0
	s_waitcnt vmcnt(0)
	ds_write_b32 v68, v70
	s_waitcnt lgkmcnt(0)
	; wave barrier
	s_and_saveexec_b64 s[6:7], vcc
	s_cbranch_execz .LBB32_448
; %bb.439:
	s_and_b64 vcc, exec, s[4:5]
	s_cbranch_vccnz .LBB32_441
; %bb.440:
	buffer_load_dword v70, v69, s[0:3], 0 offen
	ds_read_b32 v71, v68
	s_waitcnt vmcnt(0) lgkmcnt(0)
	v_mul_f32_e32 v70, v70, v71
	s_cbranch_execz .LBB32_442
	s_branch .LBB32_443
.LBB32_441:
                                        ; implicit-def: $vgpr70
.LBB32_442:
	ds_read_b32 v70, v68
.LBB32_443:
	v_cmp_ne_u32_e32 vcc, 13, v0
	s_and_saveexec_b64 s[8:9], vcc
	s_cbranch_execz .LBB32_447
; %bb.444:
	s_mov_b32 s10, 0
	v_add_u32_e32 v71, 0x94, v67
	v_add3_u32 v72, v67, s10, 4
	s_mov_b64 s[10:11], 0
	v_mov_b32_e32 v73, v0
.LBB32_445:                             ; =>This Inner Loop Header: Depth=1
	buffer_load_dword v74, v72, s[0:3], 0 offen
	ds_read_b32 v75, v71
	v_add_u32_e32 v73, 1, v73
	v_cmp_lt_u32_e32 vcc, 12, v73
	v_add_u32_e32 v71, 4, v71
	v_add_u32_e32 v72, 4, v72
	s_or_b64 s[10:11], vcc, s[10:11]
	s_waitcnt vmcnt(0) lgkmcnt(0)
	v_fmac_f32_e32 v70, v74, v75
	s_andn2_b64 exec, exec, s[10:11]
	s_cbranch_execnz .LBB32_445
; %bb.446:
	s_or_b64 exec, exec, s[10:11]
.LBB32_447:
	s_or_b64 exec, exec, s[8:9]
	v_mov_b32_e32 v71, 0
	ds_read_b32 v71, v71 offset:56
	s_waitcnt lgkmcnt(0)
	v_mul_f32_e32 v70, v70, v71
	buffer_store_dword v70, off, s[0:3], 0 offset:56
.LBB32_448:
	s_or_b64 exec, exec, s[6:7]
	buffer_load_dword v70, off, s[0:3], 0 offset:60
	v_cmp_gt_u32_e32 vcc, 15, v0
	s_waitcnt vmcnt(0)
	ds_write_b32 v68, v70
	s_waitcnt lgkmcnt(0)
	; wave barrier
	s_and_saveexec_b64 s[6:7], vcc
	s_cbranch_execz .LBB32_458
; %bb.449:
	s_and_b64 vcc, exec, s[4:5]
	s_cbranch_vccnz .LBB32_451
; %bb.450:
	buffer_load_dword v70, v69, s[0:3], 0 offen
	ds_read_b32 v71, v68
	s_waitcnt vmcnt(0) lgkmcnt(0)
	v_mul_f32_e32 v70, v70, v71
	s_cbranch_execz .LBB32_452
	s_branch .LBB32_453
.LBB32_451:
                                        ; implicit-def: $vgpr70
.LBB32_452:
	ds_read_b32 v70, v68
.LBB32_453:
	v_cmp_ne_u32_e32 vcc, 14, v0
	s_and_saveexec_b64 s[8:9], vcc
	s_cbranch_execz .LBB32_457
; %bb.454:
	s_mov_b32 s10, 0
	v_add_u32_e32 v71, 0x94, v67
	v_add3_u32 v72, v67, s10, 4
	s_mov_b64 s[10:11], 0
	v_mov_b32_e32 v73, v0
.LBB32_455:                             ; =>This Inner Loop Header: Depth=1
	buffer_load_dword v74, v72, s[0:3], 0 offen
	ds_read_b32 v75, v71
	v_add_u32_e32 v73, 1, v73
	v_cmp_lt_u32_e32 vcc, 13, v73
	v_add_u32_e32 v71, 4, v71
	v_add_u32_e32 v72, 4, v72
	s_or_b64 s[10:11], vcc, s[10:11]
	s_waitcnt vmcnt(0) lgkmcnt(0)
	v_fmac_f32_e32 v70, v74, v75
	s_andn2_b64 exec, exec, s[10:11]
	s_cbranch_execnz .LBB32_455
; %bb.456:
	s_or_b64 exec, exec, s[10:11]
.LBB32_457:
	s_or_b64 exec, exec, s[8:9]
	v_mov_b32_e32 v71, 0
	ds_read_b32 v71, v71 offset:60
	s_waitcnt lgkmcnt(0)
	v_mul_f32_e32 v70, v70, v71
	buffer_store_dword v70, off, s[0:3], 0 offset:60
.LBB32_458:
	s_or_b64 exec, exec, s[6:7]
	buffer_load_dword v70, off, s[0:3], 0 offset:64
	v_cmp_gt_u32_e32 vcc, 16, v0
	s_waitcnt vmcnt(0)
	ds_write_b32 v68, v70
	s_waitcnt lgkmcnt(0)
	; wave barrier
	s_and_saveexec_b64 s[6:7], vcc
	s_cbranch_execz .LBB32_468
; %bb.459:
	s_and_b64 vcc, exec, s[4:5]
	s_cbranch_vccnz .LBB32_461
; %bb.460:
	buffer_load_dword v70, v69, s[0:3], 0 offen
	ds_read_b32 v71, v68
	s_waitcnt vmcnt(0) lgkmcnt(0)
	v_mul_f32_e32 v70, v70, v71
	s_cbranch_execz .LBB32_462
	s_branch .LBB32_463
.LBB32_461:
                                        ; implicit-def: $vgpr70
.LBB32_462:
	ds_read_b32 v70, v68
.LBB32_463:
	v_cmp_ne_u32_e32 vcc, 15, v0
	s_and_saveexec_b64 s[8:9], vcc
	s_cbranch_execz .LBB32_467
; %bb.464:
	s_mov_b32 s10, 0
	v_add_u32_e32 v71, 0x94, v67
	v_add3_u32 v72, v67, s10, 4
	s_mov_b64 s[10:11], 0
	v_mov_b32_e32 v73, v0
.LBB32_465:                             ; =>This Inner Loop Header: Depth=1
	buffer_load_dword v74, v72, s[0:3], 0 offen
	ds_read_b32 v75, v71
	v_add_u32_e32 v73, 1, v73
	v_cmp_lt_u32_e32 vcc, 14, v73
	v_add_u32_e32 v71, 4, v71
	v_add_u32_e32 v72, 4, v72
	s_or_b64 s[10:11], vcc, s[10:11]
	s_waitcnt vmcnt(0) lgkmcnt(0)
	v_fmac_f32_e32 v70, v74, v75
	s_andn2_b64 exec, exec, s[10:11]
	s_cbranch_execnz .LBB32_465
; %bb.466:
	s_or_b64 exec, exec, s[10:11]
.LBB32_467:
	s_or_b64 exec, exec, s[8:9]
	v_mov_b32_e32 v71, 0
	ds_read_b32 v71, v71 offset:64
	s_waitcnt lgkmcnt(0)
	v_mul_f32_e32 v70, v70, v71
	buffer_store_dword v70, off, s[0:3], 0 offset:64
.LBB32_468:
	s_or_b64 exec, exec, s[6:7]
	buffer_load_dword v70, off, s[0:3], 0 offset:68
	v_cmp_gt_u32_e32 vcc, 17, v0
	s_waitcnt vmcnt(0)
	ds_write_b32 v68, v70
	s_waitcnt lgkmcnt(0)
	; wave barrier
	s_and_saveexec_b64 s[6:7], vcc
	s_cbranch_execz .LBB32_478
; %bb.469:
	s_and_b64 vcc, exec, s[4:5]
	s_cbranch_vccnz .LBB32_471
; %bb.470:
	buffer_load_dword v70, v69, s[0:3], 0 offen
	ds_read_b32 v71, v68
	s_waitcnt vmcnt(0) lgkmcnt(0)
	v_mul_f32_e32 v70, v70, v71
	s_cbranch_execz .LBB32_472
	s_branch .LBB32_473
.LBB32_471:
                                        ; implicit-def: $vgpr70
.LBB32_472:
	ds_read_b32 v70, v68
.LBB32_473:
	v_cmp_ne_u32_e32 vcc, 16, v0
	s_and_saveexec_b64 s[8:9], vcc
	s_cbranch_execz .LBB32_477
; %bb.474:
	s_mov_b32 s10, 0
	v_add_u32_e32 v71, 0x94, v67
	v_add3_u32 v72, v67, s10, 4
	s_mov_b64 s[10:11], 0
	v_mov_b32_e32 v73, v0
.LBB32_475:                             ; =>This Inner Loop Header: Depth=1
	buffer_load_dword v74, v72, s[0:3], 0 offen
	ds_read_b32 v75, v71
	v_add_u32_e32 v73, 1, v73
	v_cmp_lt_u32_e32 vcc, 15, v73
	v_add_u32_e32 v71, 4, v71
	v_add_u32_e32 v72, 4, v72
	s_or_b64 s[10:11], vcc, s[10:11]
	s_waitcnt vmcnt(0) lgkmcnt(0)
	v_fmac_f32_e32 v70, v74, v75
	s_andn2_b64 exec, exec, s[10:11]
	s_cbranch_execnz .LBB32_475
; %bb.476:
	s_or_b64 exec, exec, s[10:11]
.LBB32_477:
	s_or_b64 exec, exec, s[8:9]
	v_mov_b32_e32 v71, 0
	ds_read_b32 v71, v71 offset:68
	s_waitcnt lgkmcnt(0)
	v_mul_f32_e32 v70, v70, v71
	buffer_store_dword v70, off, s[0:3], 0 offset:68
.LBB32_478:
	s_or_b64 exec, exec, s[6:7]
	buffer_load_dword v70, off, s[0:3], 0 offset:72
	v_cmp_gt_u32_e32 vcc, 18, v0
	s_waitcnt vmcnt(0)
	ds_write_b32 v68, v70
	s_waitcnt lgkmcnt(0)
	; wave barrier
	s_and_saveexec_b64 s[6:7], vcc
	s_cbranch_execz .LBB32_488
; %bb.479:
	s_and_b64 vcc, exec, s[4:5]
	s_cbranch_vccnz .LBB32_481
; %bb.480:
	buffer_load_dword v70, v69, s[0:3], 0 offen
	ds_read_b32 v71, v68
	s_waitcnt vmcnt(0) lgkmcnt(0)
	v_mul_f32_e32 v70, v70, v71
	s_cbranch_execz .LBB32_482
	s_branch .LBB32_483
.LBB32_481:
                                        ; implicit-def: $vgpr70
.LBB32_482:
	ds_read_b32 v70, v68
.LBB32_483:
	v_cmp_ne_u32_e32 vcc, 17, v0
	s_and_saveexec_b64 s[8:9], vcc
	s_cbranch_execz .LBB32_487
; %bb.484:
	s_mov_b32 s10, 0
	v_add_u32_e32 v71, 0x94, v67
	v_add3_u32 v72, v67, s10, 4
	s_mov_b64 s[10:11], 0
	v_mov_b32_e32 v73, v0
.LBB32_485:                             ; =>This Inner Loop Header: Depth=1
	buffer_load_dword v74, v72, s[0:3], 0 offen
	ds_read_b32 v75, v71
	v_add_u32_e32 v73, 1, v73
	v_cmp_lt_u32_e32 vcc, 16, v73
	v_add_u32_e32 v71, 4, v71
	v_add_u32_e32 v72, 4, v72
	s_or_b64 s[10:11], vcc, s[10:11]
	s_waitcnt vmcnt(0) lgkmcnt(0)
	v_fmac_f32_e32 v70, v74, v75
	s_andn2_b64 exec, exec, s[10:11]
	s_cbranch_execnz .LBB32_485
; %bb.486:
	s_or_b64 exec, exec, s[10:11]
.LBB32_487:
	s_or_b64 exec, exec, s[8:9]
	v_mov_b32_e32 v71, 0
	ds_read_b32 v71, v71 offset:72
	s_waitcnt lgkmcnt(0)
	v_mul_f32_e32 v70, v70, v71
	buffer_store_dword v70, off, s[0:3], 0 offset:72
.LBB32_488:
	s_or_b64 exec, exec, s[6:7]
	buffer_load_dword v70, off, s[0:3], 0 offset:76
	v_cmp_gt_u32_e32 vcc, 19, v0
	s_waitcnt vmcnt(0)
	ds_write_b32 v68, v70
	s_waitcnt lgkmcnt(0)
	; wave barrier
	s_and_saveexec_b64 s[6:7], vcc
	s_cbranch_execz .LBB32_498
; %bb.489:
	s_and_b64 vcc, exec, s[4:5]
	s_cbranch_vccnz .LBB32_491
; %bb.490:
	buffer_load_dword v70, v69, s[0:3], 0 offen
	ds_read_b32 v71, v68
	s_waitcnt vmcnt(0) lgkmcnt(0)
	v_mul_f32_e32 v70, v70, v71
	s_cbranch_execz .LBB32_492
	s_branch .LBB32_493
.LBB32_491:
                                        ; implicit-def: $vgpr70
.LBB32_492:
	ds_read_b32 v70, v68
.LBB32_493:
	v_cmp_ne_u32_e32 vcc, 18, v0
	s_and_saveexec_b64 s[8:9], vcc
	s_cbranch_execz .LBB32_497
; %bb.494:
	s_mov_b32 s10, 0
	v_add_u32_e32 v71, 0x94, v67
	v_add3_u32 v72, v67, s10, 4
	s_mov_b64 s[10:11], 0
	v_mov_b32_e32 v73, v0
.LBB32_495:                             ; =>This Inner Loop Header: Depth=1
	buffer_load_dword v74, v72, s[0:3], 0 offen
	ds_read_b32 v75, v71
	v_add_u32_e32 v73, 1, v73
	v_cmp_lt_u32_e32 vcc, 17, v73
	v_add_u32_e32 v71, 4, v71
	v_add_u32_e32 v72, 4, v72
	s_or_b64 s[10:11], vcc, s[10:11]
	s_waitcnt vmcnt(0) lgkmcnt(0)
	v_fmac_f32_e32 v70, v74, v75
	s_andn2_b64 exec, exec, s[10:11]
	s_cbranch_execnz .LBB32_495
; %bb.496:
	s_or_b64 exec, exec, s[10:11]
.LBB32_497:
	s_or_b64 exec, exec, s[8:9]
	v_mov_b32_e32 v71, 0
	ds_read_b32 v71, v71 offset:76
	s_waitcnt lgkmcnt(0)
	v_mul_f32_e32 v70, v70, v71
	buffer_store_dword v70, off, s[0:3], 0 offset:76
.LBB32_498:
	s_or_b64 exec, exec, s[6:7]
	buffer_load_dword v70, off, s[0:3], 0 offset:80
	v_cmp_gt_u32_e32 vcc, 20, v0
	s_waitcnt vmcnt(0)
	ds_write_b32 v68, v70
	s_waitcnt lgkmcnt(0)
	; wave barrier
	s_and_saveexec_b64 s[6:7], vcc
	s_cbranch_execz .LBB32_508
; %bb.499:
	s_and_b64 vcc, exec, s[4:5]
	s_cbranch_vccnz .LBB32_501
; %bb.500:
	buffer_load_dword v70, v69, s[0:3], 0 offen
	ds_read_b32 v71, v68
	s_waitcnt vmcnt(0) lgkmcnt(0)
	v_mul_f32_e32 v70, v70, v71
	s_cbranch_execz .LBB32_502
	s_branch .LBB32_503
.LBB32_501:
                                        ; implicit-def: $vgpr70
.LBB32_502:
	ds_read_b32 v70, v68
.LBB32_503:
	v_cmp_ne_u32_e32 vcc, 19, v0
	s_and_saveexec_b64 s[8:9], vcc
	s_cbranch_execz .LBB32_507
; %bb.504:
	s_mov_b32 s10, 0
	v_add_u32_e32 v71, 0x94, v67
	v_add3_u32 v72, v67, s10, 4
	s_mov_b64 s[10:11], 0
	v_mov_b32_e32 v73, v0
.LBB32_505:                             ; =>This Inner Loop Header: Depth=1
	buffer_load_dword v74, v72, s[0:3], 0 offen
	ds_read_b32 v75, v71
	v_add_u32_e32 v73, 1, v73
	v_cmp_lt_u32_e32 vcc, 18, v73
	v_add_u32_e32 v71, 4, v71
	v_add_u32_e32 v72, 4, v72
	s_or_b64 s[10:11], vcc, s[10:11]
	s_waitcnt vmcnt(0) lgkmcnt(0)
	v_fmac_f32_e32 v70, v74, v75
	s_andn2_b64 exec, exec, s[10:11]
	s_cbranch_execnz .LBB32_505
; %bb.506:
	s_or_b64 exec, exec, s[10:11]
.LBB32_507:
	s_or_b64 exec, exec, s[8:9]
	v_mov_b32_e32 v71, 0
	ds_read_b32 v71, v71 offset:80
	s_waitcnt lgkmcnt(0)
	v_mul_f32_e32 v70, v70, v71
	buffer_store_dword v70, off, s[0:3], 0 offset:80
.LBB32_508:
	s_or_b64 exec, exec, s[6:7]
	buffer_load_dword v70, off, s[0:3], 0 offset:84
	v_cmp_gt_u32_e32 vcc, 21, v0
	s_waitcnt vmcnt(0)
	ds_write_b32 v68, v70
	s_waitcnt lgkmcnt(0)
	; wave barrier
	s_and_saveexec_b64 s[6:7], vcc
	s_cbranch_execz .LBB32_518
; %bb.509:
	s_and_b64 vcc, exec, s[4:5]
	s_cbranch_vccnz .LBB32_511
; %bb.510:
	buffer_load_dword v70, v69, s[0:3], 0 offen
	ds_read_b32 v71, v68
	s_waitcnt vmcnt(0) lgkmcnt(0)
	v_mul_f32_e32 v70, v70, v71
	s_cbranch_execz .LBB32_512
	s_branch .LBB32_513
.LBB32_511:
                                        ; implicit-def: $vgpr70
.LBB32_512:
	ds_read_b32 v70, v68
.LBB32_513:
	v_cmp_ne_u32_e32 vcc, 20, v0
	s_and_saveexec_b64 s[8:9], vcc
	s_cbranch_execz .LBB32_517
; %bb.514:
	s_mov_b32 s10, 0
	v_add_u32_e32 v71, 0x94, v67
	v_add3_u32 v72, v67, s10, 4
	s_mov_b64 s[10:11], 0
	v_mov_b32_e32 v73, v0
.LBB32_515:                             ; =>This Inner Loop Header: Depth=1
	buffer_load_dword v74, v72, s[0:3], 0 offen
	ds_read_b32 v75, v71
	v_add_u32_e32 v73, 1, v73
	v_cmp_lt_u32_e32 vcc, 19, v73
	v_add_u32_e32 v71, 4, v71
	v_add_u32_e32 v72, 4, v72
	s_or_b64 s[10:11], vcc, s[10:11]
	s_waitcnt vmcnt(0) lgkmcnt(0)
	v_fmac_f32_e32 v70, v74, v75
	s_andn2_b64 exec, exec, s[10:11]
	s_cbranch_execnz .LBB32_515
; %bb.516:
	s_or_b64 exec, exec, s[10:11]
.LBB32_517:
	s_or_b64 exec, exec, s[8:9]
	v_mov_b32_e32 v71, 0
	ds_read_b32 v71, v71 offset:84
	s_waitcnt lgkmcnt(0)
	v_mul_f32_e32 v70, v70, v71
	buffer_store_dword v70, off, s[0:3], 0 offset:84
.LBB32_518:
	s_or_b64 exec, exec, s[6:7]
	buffer_load_dword v70, off, s[0:3], 0 offset:88
	v_cmp_gt_u32_e32 vcc, 22, v0
	s_waitcnt vmcnt(0)
	ds_write_b32 v68, v70
	s_waitcnt lgkmcnt(0)
	; wave barrier
	s_and_saveexec_b64 s[6:7], vcc
	s_cbranch_execz .LBB32_528
; %bb.519:
	s_and_b64 vcc, exec, s[4:5]
	s_cbranch_vccnz .LBB32_521
; %bb.520:
	buffer_load_dword v70, v69, s[0:3], 0 offen
	ds_read_b32 v71, v68
	s_waitcnt vmcnt(0) lgkmcnt(0)
	v_mul_f32_e32 v70, v70, v71
	s_cbranch_execz .LBB32_522
	s_branch .LBB32_523
.LBB32_521:
                                        ; implicit-def: $vgpr70
.LBB32_522:
	ds_read_b32 v70, v68
.LBB32_523:
	v_cmp_ne_u32_e32 vcc, 21, v0
	s_and_saveexec_b64 s[8:9], vcc
	s_cbranch_execz .LBB32_527
; %bb.524:
	s_mov_b32 s10, 0
	v_add_u32_e32 v71, 0x94, v67
	v_add3_u32 v72, v67, s10, 4
	s_mov_b64 s[10:11], 0
	v_mov_b32_e32 v73, v0
.LBB32_525:                             ; =>This Inner Loop Header: Depth=1
	buffer_load_dword v74, v72, s[0:3], 0 offen
	ds_read_b32 v75, v71
	v_add_u32_e32 v73, 1, v73
	v_cmp_lt_u32_e32 vcc, 20, v73
	v_add_u32_e32 v71, 4, v71
	v_add_u32_e32 v72, 4, v72
	s_or_b64 s[10:11], vcc, s[10:11]
	s_waitcnt vmcnt(0) lgkmcnt(0)
	v_fmac_f32_e32 v70, v74, v75
	s_andn2_b64 exec, exec, s[10:11]
	s_cbranch_execnz .LBB32_525
; %bb.526:
	s_or_b64 exec, exec, s[10:11]
.LBB32_527:
	s_or_b64 exec, exec, s[8:9]
	v_mov_b32_e32 v71, 0
	ds_read_b32 v71, v71 offset:88
	s_waitcnt lgkmcnt(0)
	v_mul_f32_e32 v70, v70, v71
	buffer_store_dword v70, off, s[0:3], 0 offset:88
.LBB32_528:
	s_or_b64 exec, exec, s[6:7]
	buffer_load_dword v70, off, s[0:3], 0 offset:92
	v_cmp_gt_u32_e32 vcc, 23, v0
	s_waitcnt vmcnt(0)
	ds_write_b32 v68, v70
	s_waitcnt lgkmcnt(0)
	; wave barrier
	s_and_saveexec_b64 s[6:7], vcc
	s_cbranch_execz .LBB32_538
; %bb.529:
	s_and_b64 vcc, exec, s[4:5]
	s_cbranch_vccnz .LBB32_531
; %bb.530:
	buffer_load_dword v70, v69, s[0:3], 0 offen
	ds_read_b32 v71, v68
	s_waitcnt vmcnt(0) lgkmcnt(0)
	v_mul_f32_e32 v70, v70, v71
	s_cbranch_execz .LBB32_532
	s_branch .LBB32_533
.LBB32_531:
                                        ; implicit-def: $vgpr70
.LBB32_532:
	ds_read_b32 v70, v68
.LBB32_533:
	v_cmp_ne_u32_e32 vcc, 22, v0
	s_and_saveexec_b64 s[8:9], vcc
	s_cbranch_execz .LBB32_537
; %bb.534:
	s_mov_b32 s10, 0
	v_add_u32_e32 v71, 0x94, v67
	v_add3_u32 v72, v67, s10, 4
	s_mov_b64 s[10:11], 0
	v_mov_b32_e32 v73, v0
.LBB32_535:                             ; =>This Inner Loop Header: Depth=1
	buffer_load_dword v74, v72, s[0:3], 0 offen
	ds_read_b32 v75, v71
	v_add_u32_e32 v73, 1, v73
	v_cmp_lt_u32_e32 vcc, 21, v73
	v_add_u32_e32 v71, 4, v71
	v_add_u32_e32 v72, 4, v72
	s_or_b64 s[10:11], vcc, s[10:11]
	s_waitcnt vmcnt(0) lgkmcnt(0)
	v_fmac_f32_e32 v70, v74, v75
	s_andn2_b64 exec, exec, s[10:11]
	s_cbranch_execnz .LBB32_535
; %bb.536:
	s_or_b64 exec, exec, s[10:11]
.LBB32_537:
	s_or_b64 exec, exec, s[8:9]
	v_mov_b32_e32 v71, 0
	ds_read_b32 v71, v71 offset:92
	s_waitcnt lgkmcnt(0)
	v_mul_f32_e32 v70, v70, v71
	buffer_store_dword v70, off, s[0:3], 0 offset:92
.LBB32_538:
	s_or_b64 exec, exec, s[6:7]
	buffer_load_dword v70, off, s[0:3], 0 offset:96
	v_cmp_gt_u32_e32 vcc, 24, v0
	s_waitcnt vmcnt(0)
	ds_write_b32 v68, v70
	s_waitcnt lgkmcnt(0)
	; wave barrier
	s_and_saveexec_b64 s[6:7], vcc
	s_cbranch_execz .LBB32_548
; %bb.539:
	s_and_b64 vcc, exec, s[4:5]
	s_cbranch_vccnz .LBB32_541
; %bb.540:
	buffer_load_dword v70, v69, s[0:3], 0 offen
	ds_read_b32 v71, v68
	s_waitcnt vmcnt(0) lgkmcnt(0)
	v_mul_f32_e32 v70, v70, v71
	s_cbranch_execz .LBB32_542
	s_branch .LBB32_543
.LBB32_541:
                                        ; implicit-def: $vgpr70
.LBB32_542:
	ds_read_b32 v70, v68
.LBB32_543:
	v_cmp_ne_u32_e32 vcc, 23, v0
	s_and_saveexec_b64 s[8:9], vcc
	s_cbranch_execz .LBB32_547
; %bb.544:
	s_mov_b32 s10, 0
	v_add_u32_e32 v71, 0x94, v67
	v_add3_u32 v72, v67, s10, 4
	s_mov_b64 s[10:11], 0
	v_mov_b32_e32 v73, v0
.LBB32_545:                             ; =>This Inner Loop Header: Depth=1
	buffer_load_dword v74, v72, s[0:3], 0 offen
	ds_read_b32 v75, v71
	v_add_u32_e32 v73, 1, v73
	v_cmp_lt_u32_e32 vcc, 22, v73
	v_add_u32_e32 v71, 4, v71
	v_add_u32_e32 v72, 4, v72
	s_or_b64 s[10:11], vcc, s[10:11]
	s_waitcnt vmcnt(0) lgkmcnt(0)
	v_fmac_f32_e32 v70, v74, v75
	s_andn2_b64 exec, exec, s[10:11]
	s_cbranch_execnz .LBB32_545
; %bb.546:
	s_or_b64 exec, exec, s[10:11]
.LBB32_547:
	s_or_b64 exec, exec, s[8:9]
	v_mov_b32_e32 v71, 0
	ds_read_b32 v71, v71 offset:96
	s_waitcnt lgkmcnt(0)
	v_mul_f32_e32 v70, v70, v71
	buffer_store_dword v70, off, s[0:3], 0 offset:96
.LBB32_548:
	s_or_b64 exec, exec, s[6:7]
	buffer_load_dword v70, off, s[0:3], 0 offset:100
	v_cmp_gt_u32_e32 vcc, 25, v0
	s_waitcnt vmcnt(0)
	ds_write_b32 v68, v70
	s_waitcnt lgkmcnt(0)
	; wave barrier
	s_and_saveexec_b64 s[6:7], vcc
	s_cbranch_execz .LBB32_558
; %bb.549:
	s_and_b64 vcc, exec, s[4:5]
	s_cbranch_vccnz .LBB32_551
; %bb.550:
	buffer_load_dword v70, v69, s[0:3], 0 offen
	ds_read_b32 v71, v68
	s_waitcnt vmcnt(0) lgkmcnt(0)
	v_mul_f32_e32 v70, v70, v71
	s_cbranch_execz .LBB32_552
	s_branch .LBB32_553
.LBB32_551:
                                        ; implicit-def: $vgpr70
.LBB32_552:
	ds_read_b32 v70, v68
.LBB32_553:
	v_cmp_ne_u32_e32 vcc, 24, v0
	s_and_saveexec_b64 s[8:9], vcc
	s_cbranch_execz .LBB32_557
; %bb.554:
	s_mov_b32 s10, 0
	v_add_u32_e32 v71, 0x94, v67
	v_add3_u32 v72, v67, s10, 4
	s_mov_b64 s[10:11], 0
	v_mov_b32_e32 v73, v0
.LBB32_555:                             ; =>This Inner Loop Header: Depth=1
	buffer_load_dword v74, v72, s[0:3], 0 offen
	ds_read_b32 v75, v71
	v_add_u32_e32 v73, 1, v73
	v_cmp_lt_u32_e32 vcc, 23, v73
	v_add_u32_e32 v71, 4, v71
	v_add_u32_e32 v72, 4, v72
	s_or_b64 s[10:11], vcc, s[10:11]
	s_waitcnt vmcnt(0) lgkmcnt(0)
	v_fmac_f32_e32 v70, v74, v75
	s_andn2_b64 exec, exec, s[10:11]
	s_cbranch_execnz .LBB32_555
; %bb.556:
	s_or_b64 exec, exec, s[10:11]
.LBB32_557:
	s_or_b64 exec, exec, s[8:9]
	v_mov_b32_e32 v71, 0
	ds_read_b32 v71, v71 offset:100
	s_waitcnt lgkmcnt(0)
	v_mul_f32_e32 v70, v70, v71
	buffer_store_dword v70, off, s[0:3], 0 offset:100
.LBB32_558:
	s_or_b64 exec, exec, s[6:7]
	buffer_load_dword v70, off, s[0:3], 0 offset:104
	v_cmp_gt_u32_e32 vcc, 26, v0
	s_waitcnt vmcnt(0)
	ds_write_b32 v68, v70
	s_waitcnt lgkmcnt(0)
	; wave barrier
	s_and_saveexec_b64 s[6:7], vcc
	s_cbranch_execz .LBB32_568
; %bb.559:
	s_and_b64 vcc, exec, s[4:5]
	s_cbranch_vccnz .LBB32_561
; %bb.560:
	buffer_load_dword v70, v69, s[0:3], 0 offen
	ds_read_b32 v71, v68
	s_waitcnt vmcnt(0) lgkmcnt(0)
	v_mul_f32_e32 v70, v70, v71
	s_cbranch_execz .LBB32_562
	s_branch .LBB32_563
.LBB32_561:
                                        ; implicit-def: $vgpr70
.LBB32_562:
	ds_read_b32 v70, v68
.LBB32_563:
	v_cmp_ne_u32_e32 vcc, 25, v0
	s_and_saveexec_b64 s[8:9], vcc
	s_cbranch_execz .LBB32_567
; %bb.564:
	s_mov_b32 s10, 0
	v_add_u32_e32 v71, 0x94, v67
	v_add3_u32 v72, v67, s10, 4
	s_mov_b64 s[10:11], 0
	v_mov_b32_e32 v73, v0
.LBB32_565:                             ; =>This Inner Loop Header: Depth=1
	buffer_load_dword v74, v72, s[0:3], 0 offen
	ds_read_b32 v75, v71
	v_add_u32_e32 v73, 1, v73
	v_cmp_lt_u32_e32 vcc, 24, v73
	v_add_u32_e32 v71, 4, v71
	v_add_u32_e32 v72, 4, v72
	s_or_b64 s[10:11], vcc, s[10:11]
	s_waitcnt vmcnt(0) lgkmcnt(0)
	v_fmac_f32_e32 v70, v74, v75
	s_andn2_b64 exec, exec, s[10:11]
	s_cbranch_execnz .LBB32_565
; %bb.566:
	s_or_b64 exec, exec, s[10:11]
.LBB32_567:
	s_or_b64 exec, exec, s[8:9]
	v_mov_b32_e32 v71, 0
	ds_read_b32 v71, v71 offset:104
	s_waitcnt lgkmcnt(0)
	v_mul_f32_e32 v70, v70, v71
	buffer_store_dword v70, off, s[0:3], 0 offset:104
.LBB32_568:
	s_or_b64 exec, exec, s[6:7]
	buffer_load_dword v70, off, s[0:3], 0 offset:108
	v_cmp_gt_u32_e32 vcc, 27, v0
	s_waitcnt vmcnt(0)
	ds_write_b32 v68, v70
	s_waitcnt lgkmcnt(0)
	; wave barrier
	s_and_saveexec_b64 s[6:7], vcc
	s_cbranch_execz .LBB32_578
; %bb.569:
	s_and_b64 vcc, exec, s[4:5]
	s_cbranch_vccnz .LBB32_571
; %bb.570:
	buffer_load_dword v70, v69, s[0:3], 0 offen
	ds_read_b32 v71, v68
	s_waitcnt vmcnt(0) lgkmcnt(0)
	v_mul_f32_e32 v70, v70, v71
	s_cbranch_execz .LBB32_572
	s_branch .LBB32_573
.LBB32_571:
                                        ; implicit-def: $vgpr70
.LBB32_572:
	ds_read_b32 v70, v68
.LBB32_573:
	v_cmp_ne_u32_e32 vcc, 26, v0
	s_and_saveexec_b64 s[8:9], vcc
	s_cbranch_execz .LBB32_577
; %bb.574:
	s_mov_b32 s10, 0
	v_add_u32_e32 v71, 0x94, v67
	v_add3_u32 v72, v67, s10, 4
	s_mov_b64 s[10:11], 0
	v_mov_b32_e32 v73, v0
.LBB32_575:                             ; =>This Inner Loop Header: Depth=1
	buffer_load_dword v74, v72, s[0:3], 0 offen
	ds_read_b32 v75, v71
	v_add_u32_e32 v73, 1, v73
	v_cmp_lt_u32_e32 vcc, 25, v73
	v_add_u32_e32 v71, 4, v71
	v_add_u32_e32 v72, 4, v72
	s_or_b64 s[10:11], vcc, s[10:11]
	s_waitcnt vmcnt(0) lgkmcnt(0)
	v_fmac_f32_e32 v70, v74, v75
	s_andn2_b64 exec, exec, s[10:11]
	s_cbranch_execnz .LBB32_575
; %bb.576:
	s_or_b64 exec, exec, s[10:11]
.LBB32_577:
	s_or_b64 exec, exec, s[8:9]
	v_mov_b32_e32 v71, 0
	ds_read_b32 v71, v71 offset:108
	s_waitcnt lgkmcnt(0)
	v_mul_f32_e32 v70, v70, v71
	buffer_store_dword v70, off, s[0:3], 0 offset:108
.LBB32_578:
	s_or_b64 exec, exec, s[6:7]
	buffer_load_dword v70, off, s[0:3], 0 offset:112
	v_cmp_gt_u32_e32 vcc, 28, v0
	s_waitcnt vmcnt(0)
	ds_write_b32 v68, v70
	s_waitcnt lgkmcnt(0)
	; wave barrier
	s_and_saveexec_b64 s[6:7], vcc
	s_cbranch_execz .LBB32_588
; %bb.579:
	s_and_b64 vcc, exec, s[4:5]
	s_cbranch_vccnz .LBB32_581
; %bb.580:
	buffer_load_dword v70, v69, s[0:3], 0 offen
	ds_read_b32 v71, v68
	s_waitcnt vmcnt(0) lgkmcnt(0)
	v_mul_f32_e32 v70, v70, v71
	s_cbranch_execz .LBB32_582
	s_branch .LBB32_583
.LBB32_581:
                                        ; implicit-def: $vgpr70
.LBB32_582:
	ds_read_b32 v70, v68
.LBB32_583:
	v_cmp_ne_u32_e32 vcc, 27, v0
	s_and_saveexec_b64 s[8:9], vcc
	s_cbranch_execz .LBB32_587
; %bb.584:
	s_mov_b32 s10, 0
	v_add_u32_e32 v71, 0x94, v67
	v_add3_u32 v72, v67, s10, 4
	s_mov_b64 s[10:11], 0
	v_mov_b32_e32 v73, v0
.LBB32_585:                             ; =>This Inner Loop Header: Depth=1
	buffer_load_dword v74, v72, s[0:3], 0 offen
	ds_read_b32 v75, v71
	v_add_u32_e32 v73, 1, v73
	v_cmp_lt_u32_e32 vcc, 26, v73
	v_add_u32_e32 v71, 4, v71
	v_add_u32_e32 v72, 4, v72
	s_or_b64 s[10:11], vcc, s[10:11]
	s_waitcnt vmcnt(0) lgkmcnt(0)
	v_fmac_f32_e32 v70, v74, v75
	s_andn2_b64 exec, exec, s[10:11]
	s_cbranch_execnz .LBB32_585
; %bb.586:
	s_or_b64 exec, exec, s[10:11]
.LBB32_587:
	s_or_b64 exec, exec, s[8:9]
	v_mov_b32_e32 v71, 0
	ds_read_b32 v71, v71 offset:112
	s_waitcnt lgkmcnt(0)
	v_mul_f32_e32 v70, v70, v71
	buffer_store_dword v70, off, s[0:3], 0 offset:112
.LBB32_588:
	s_or_b64 exec, exec, s[6:7]
	buffer_load_dword v70, off, s[0:3], 0 offset:116
	v_cmp_gt_u32_e32 vcc, 29, v0
	s_waitcnt vmcnt(0)
	ds_write_b32 v68, v70
	s_waitcnt lgkmcnt(0)
	; wave barrier
	s_and_saveexec_b64 s[6:7], vcc
	s_cbranch_execz .LBB32_598
; %bb.589:
	s_and_b64 vcc, exec, s[4:5]
	s_cbranch_vccnz .LBB32_591
; %bb.590:
	buffer_load_dword v70, v69, s[0:3], 0 offen
	ds_read_b32 v71, v68
	s_waitcnt vmcnt(0) lgkmcnt(0)
	v_mul_f32_e32 v70, v70, v71
	s_cbranch_execz .LBB32_592
	s_branch .LBB32_593
.LBB32_591:
                                        ; implicit-def: $vgpr70
.LBB32_592:
	ds_read_b32 v70, v68
.LBB32_593:
	v_cmp_ne_u32_e32 vcc, 28, v0
	s_and_saveexec_b64 s[8:9], vcc
	s_cbranch_execz .LBB32_597
; %bb.594:
	s_mov_b32 s10, 0
	v_add_u32_e32 v71, 0x94, v67
	v_add3_u32 v72, v67, s10, 4
	s_mov_b64 s[10:11], 0
	v_mov_b32_e32 v73, v0
.LBB32_595:                             ; =>This Inner Loop Header: Depth=1
	buffer_load_dword v74, v72, s[0:3], 0 offen
	ds_read_b32 v75, v71
	v_add_u32_e32 v73, 1, v73
	v_cmp_lt_u32_e32 vcc, 27, v73
	v_add_u32_e32 v71, 4, v71
	v_add_u32_e32 v72, 4, v72
	s_or_b64 s[10:11], vcc, s[10:11]
	s_waitcnt vmcnt(0) lgkmcnt(0)
	v_fmac_f32_e32 v70, v74, v75
	s_andn2_b64 exec, exec, s[10:11]
	s_cbranch_execnz .LBB32_595
; %bb.596:
	s_or_b64 exec, exec, s[10:11]
.LBB32_597:
	s_or_b64 exec, exec, s[8:9]
	v_mov_b32_e32 v71, 0
	ds_read_b32 v71, v71 offset:116
	s_waitcnt lgkmcnt(0)
	v_mul_f32_e32 v70, v70, v71
	buffer_store_dword v70, off, s[0:3], 0 offset:116
.LBB32_598:
	s_or_b64 exec, exec, s[6:7]
	buffer_load_dword v70, off, s[0:3], 0 offset:120
	v_cmp_gt_u32_e32 vcc, 30, v0
	s_waitcnt vmcnt(0)
	ds_write_b32 v68, v70
	s_waitcnt lgkmcnt(0)
	; wave barrier
	s_and_saveexec_b64 s[6:7], vcc
	s_cbranch_execz .LBB32_608
; %bb.599:
	s_and_b64 vcc, exec, s[4:5]
	s_cbranch_vccnz .LBB32_601
; %bb.600:
	buffer_load_dword v70, v69, s[0:3], 0 offen
	ds_read_b32 v71, v68
	s_waitcnt vmcnt(0) lgkmcnt(0)
	v_mul_f32_e32 v70, v70, v71
	s_cbranch_execz .LBB32_602
	s_branch .LBB32_603
.LBB32_601:
                                        ; implicit-def: $vgpr70
.LBB32_602:
	ds_read_b32 v70, v68
.LBB32_603:
	v_cmp_ne_u32_e32 vcc, 29, v0
	s_and_saveexec_b64 s[8:9], vcc
	s_cbranch_execz .LBB32_607
; %bb.604:
	s_mov_b32 s10, 0
	v_add_u32_e32 v71, 0x94, v67
	v_add3_u32 v72, v67, s10, 4
	s_mov_b64 s[10:11], 0
	v_mov_b32_e32 v73, v0
.LBB32_605:                             ; =>This Inner Loop Header: Depth=1
	buffer_load_dword v74, v72, s[0:3], 0 offen
	ds_read_b32 v75, v71
	v_add_u32_e32 v73, 1, v73
	v_cmp_lt_u32_e32 vcc, 28, v73
	v_add_u32_e32 v71, 4, v71
	v_add_u32_e32 v72, 4, v72
	s_or_b64 s[10:11], vcc, s[10:11]
	s_waitcnt vmcnt(0) lgkmcnt(0)
	v_fmac_f32_e32 v70, v74, v75
	s_andn2_b64 exec, exec, s[10:11]
	s_cbranch_execnz .LBB32_605
; %bb.606:
	s_or_b64 exec, exec, s[10:11]
.LBB32_607:
	s_or_b64 exec, exec, s[8:9]
	v_mov_b32_e32 v71, 0
	ds_read_b32 v71, v71 offset:120
	s_waitcnt lgkmcnt(0)
	v_mul_f32_e32 v70, v70, v71
	buffer_store_dword v70, off, s[0:3], 0 offset:120
.LBB32_608:
	s_or_b64 exec, exec, s[6:7]
	buffer_load_dword v70, off, s[0:3], 0 offset:124
	v_cmp_gt_u32_e64 s[6:7], 31, v0
	s_waitcnt vmcnt(0)
	ds_write_b32 v68, v70
	s_waitcnt lgkmcnt(0)
	; wave barrier
	s_and_saveexec_b64 s[8:9], s[6:7]
	s_cbranch_execz .LBB32_618
; %bb.609:
	s_and_b64 vcc, exec, s[4:5]
	s_cbranch_vccnz .LBB32_611
; %bb.610:
	buffer_load_dword v70, v69, s[0:3], 0 offen
	ds_read_b32 v71, v68
	s_waitcnt vmcnt(0) lgkmcnt(0)
	v_mul_f32_e32 v70, v70, v71
	s_cbranch_execz .LBB32_612
	s_branch .LBB32_613
.LBB32_611:
                                        ; implicit-def: $vgpr70
.LBB32_612:
	ds_read_b32 v70, v68
.LBB32_613:
	v_cmp_ne_u32_e32 vcc, 30, v0
	s_and_saveexec_b64 s[10:11], vcc
	s_cbranch_execz .LBB32_617
; %bb.614:
	s_mov_b32 s12, 0
	v_add_u32_e32 v71, 0x94, v67
	v_add3_u32 v72, v67, s12, 4
	s_mov_b64 s[12:13], 0
	v_mov_b32_e32 v73, v0
.LBB32_615:                             ; =>This Inner Loop Header: Depth=1
	buffer_load_dword v74, v72, s[0:3], 0 offen
	ds_read_b32 v75, v71
	v_add_u32_e32 v73, 1, v73
	v_cmp_lt_u32_e32 vcc, 29, v73
	v_add_u32_e32 v71, 4, v71
	v_add_u32_e32 v72, 4, v72
	s_or_b64 s[12:13], vcc, s[12:13]
	s_waitcnt vmcnt(0) lgkmcnt(0)
	v_fmac_f32_e32 v70, v74, v75
	s_andn2_b64 exec, exec, s[12:13]
	s_cbranch_execnz .LBB32_615
; %bb.616:
	s_or_b64 exec, exec, s[12:13]
.LBB32_617:
	s_or_b64 exec, exec, s[10:11]
	v_mov_b32_e32 v71, 0
	ds_read_b32 v71, v71 offset:124
	s_waitcnt lgkmcnt(0)
	v_mul_f32_e32 v70, v70, v71
	buffer_store_dword v70, off, s[0:3], 0 offset:124
.LBB32_618:
	s_or_b64 exec, exec, s[8:9]
	buffer_load_dword v70, off, s[0:3], 0 offset:128
	v_cmp_ne_u32_e32 vcc, 32, v0
	s_waitcnt vmcnt(0)
	ds_write_b32 v68, v70
	s_waitcnt lgkmcnt(0)
	; wave barrier
	s_and_saveexec_b64 s[8:9], vcc
	s_cbranch_execz .LBB32_628
; %bb.619:
	s_and_b64 vcc, exec, s[4:5]
	s_cbranch_vccnz .LBB32_621
; %bb.620:
	buffer_load_dword v69, v69, s[0:3], 0 offen
	ds_read_b32 v70, v68
	s_waitcnt vmcnt(0) lgkmcnt(0)
	v_mul_f32_e32 v69, v69, v70
	s_cbranch_execz .LBB32_622
	s_branch .LBB32_623
.LBB32_621:
                                        ; implicit-def: $vgpr69
.LBB32_622:
	ds_read_b32 v69, v68
.LBB32_623:
	s_and_saveexec_b64 s[4:5], s[6:7]
	s_cbranch_execz .LBB32_627
; %bb.624:
	s_mov_b32 s6, 0
	v_add_u32_e32 v68, 0x94, v67
	v_add3_u32 v67, v67, s6, 4
	s_mov_b64 s[6:7], 0
.LBB32_625:                             ; =>This Inner Loop Header: Depth=1
	buffer_load_dword v70, v67, s[0:3], 0 offen
	ds_read_b32 v71, v68
	v_add_u32_e32 v0, 1, v0
	v_cmp_lt_u32_e32 vcc, 30, v0
	v_add_u32_e32 v68, 4, v68
	v_add_u32_e32 v67, 4, v67
	s_or_b64 s[6:7], vcc, s[6:7]
	s_waitcnt vmcnt(0) lgkmcnt(0)
	v_fmac_f32_e32 v69, v70, v71
	s_andn2_b64 exec, exec, s[6:7]
	s_cbranch_execnz .LBB32_625
; %bb.626:
	s_or_b64 exec, exec, s[6:7]
.LBB32_627:
	s_or_b64 exec, exec, s[4:5]
	v_mov_b32_e32 v0, 0
	ds_read_b32 v0, v0 offset:128
	s_waitcnt lgkmcnt(0)
	v_mul_f32_e32 v0, v69, v0
	buffer_store_dword v0, off, s[0:3], 0 offset:128
.LBB32_628:
	s_or_b64 exec, exec, s[8:9]
.LBB32_629:
	buffer_load_dword v0, off, s[0:3], 0
	buffer_load_dword v67, off, s[0:3], 0 offset:4
	buffer_load_dword v68, off, s[0:3], 0 offset:8
	;; [unrolled: 1-line block ×7, first 2 shown]
	s_waitcnt vmcnt(7)
	global_store_dword v[65:66], v0, off
	buffer_load_dword v0, off, s[0:3], 0 offset:32
	s_nop 0
	buffer_load_dword v65, off, s[0:3], 0 offset:36
	buffer_load_dword v66, off, s[0:3], 0 offset:40
	;; [unrolled: 1-line block ×7, first 2 shown]
	s_waitcnt vmcnt(15)
	global_store_dword v[63:64], v67, off
	s_waitcnt vmcnt(15)
	global_store_dword v[1:2], v68, off
	;; [unrolled: 2-line block ×3, first 2 shown]
	buffer_load_dword v1, off, s[0:3], 0 offset:64
	buffer_load_dword v2, off, s[0:3], 0 offset:68
	s_nop 0
	buffer_load_dword v5, off, s[0:3], 0 offset:72
	buffer_load_dword v6, off, s[0:3], 0 offset:76
	;; [unrolled: 1-line block ×6, first 2 shown]
	s_waitcnt vmcnt(23)
	global_store_dword v[3:4], v70, off
	s_waitcnt vmcnt(23)
	global_store_dword v[9:10], v71, off
	buffer_load_dword v3, off, s[0:3], 0 offset:96
	buffer_load_dword v4, off, s[0:3], 0 offset:100
	s_nop 0
	buffer_load_dword v9, off, s[0:3], 0 offset:104
	buffer_load_dword v10, off, s[0:3], 0 offset:108
	;; [unrolled: 1-line block ×6, first 2 shown]
	s_waitcnt vmcnt(31)
	global_store_dword v[7:8], v72, off
	buffer_load_dword v7, off, s[0:3], 0 offset:128
	s_waitcnt vmcnt(32)
	global_store_dword v[11:12], v73, off
	s_waitcnt vmcnt(31)
	global_store_dword v[13:14], v0, off
	;; [unrolled: 2-line block ×26, first 2 shown]
.LBB32_630:
	s_endpgm
	.section	.rodata,"a",@progbits
	.p2align	6, 0x0
	.amdhsa_kernel _ZN9rocsolver6v33100L18trti2_kernel_smallILi33EfPfEEv13rocblas_fill_17rocblas_diagonal_T1_iil
		.amdhsa_group_segment_fixed_size 276
		.amdhsa_private_segment_fixed_size 144
		.amdhsa_kernarg_size 32
		.amdhsa_user_sgpr_count 6
		.amdhsa_user_sgpr_private_segment_buffer 1
		.amdhsa_user_sgpr_dispatch_ptr 0
		.amdhsa_user_sgpr_queue_ptr 0
		.amdhsa_user_sgpr_kernarg_segment_ptr 1
		.amdhsa_user_sgpr_dispatch_id 0
		.amdhsa_user_sgpr_flat_scratch_init 0
		.amdhsa_user_sgpr_private_segment_size 0
		.amdhsa_uses_dynamic_stack 0
		.amdhsa_system_sgpr_private_segment_wavefront_offset 1
		.amdhsa_system_sgpr_workgroup_id_x 1
		.amdhsa_system_sgpr_workgroup_id_y 0
		.amdhsa_system_sgpr_workgroup_id_z 0
		.amdhsa_system_sgpr_workgroup_info 0
		.amdhsa_system_vgpr_workitem_id 0
		.amdhsa_next_free_vgpr 80
		.amdhsa_next_free_sgpr 46
		.amdhsa_reserve_vcc 1
		.amdhsa_reserve_flat_scratch 0
		.amdhsa_float_round_mode_32 0
		.amdhsa_float_round_mode_16_64 0
		.amdhsa_float_denorm_mode_32 3
		.amdhsa_float_denorm_mode_16_64 3
		.amdhsa_dx10_clamp 1
		.amdhsa_ieee_mode 1
		.amdhsa_fp16_overflow 0
		.amdhsa_exception_fp_ieee_invalid_op 0
		.amdhsa_exception_fp_denorm_src 0
		.amdhsa_exception_fp_ieee_div_zero 0
		.amdhsa_exception_fp_ieee_overflow 0
		.amdhsa_exception_fp_ieee_underflow 0
		.amdhsa_exception_fp_ieee_inexact 0
		.amdhsa_exception_int_div_zero 0
	.end_amdhsa_kernel
	.section	.text._ZN9rocsolver6v33100L18trti2_kernel_smallILi33EfPfEEv13rocblas_fill_17rocblas_diagonal_T1_iil,"axG",@progbits,_ZN9rocsolver6v33100L18trti2_kernel_smallILi33EfPfEEv13rocblas_fill_17rocblas_diagonal_T1_iil,comdat
.Lfunc_end32:
	.size	_ZN9rocsolver6v33100L18trti2_kernel_smallILi33EfPfEEv13rocblas_fill_17rocblas_diagonal_T1_iil, .Lfunc_end32-_ZN9rocsolver6v33100L18trti2_kernel_smallILi33EfPfEEv13rocblas_fill_17rocblas_diagonal_T1_iil
                                        ; -- End function
	.set _ZN9rocsolver6v33100L18trti2_kernel_smallILi33EfPfEEv13rocblas_fill_17rocblas_diagonal_T1_iil.num_vgpr, 80
	.set _ZN9rocsolver6v33100L18trti2_kernel_smallILi33EfPfEEv13rocblas_fill_17rocblas_diagonal_T1_iil.num_agpr, 0
	.set _ZN9rocsolver6v33100L18trti2_kernel_smallILi33EfPfEEv13rocblas_fill_17rocblas_diagonal_T1_iil.numbered_sgpr, 46
	.set _ZN9rocsolver6v33100L18trti2_kernel_smallILi33EfPfEEv13rocblas_fill_17rocblas_diagonal_T1_iil.num_named_barrier, 0
	.set _ZN9rocsolver6v33100L18trti2_kernel_smallILi33EfPfEEv13rocblas_fill_17rocblas_diagonal_T1_iil.private_seg_size, 144
	.set _ZN9rocsolver6v33100L18trti2_kernel_smallILi33EfPfEEv13rocblas_fill_17rocblas_diagonal_T1_iil.uses_vcc, 1
	.set _ZN9rocsolver6v33100L18trti2_kernel_smallILi33EfPfEEv13rocblas_fill_17rocblas_diagonal_T1_iil.uses_flat_scratch, 0
	.set _ZN9rocsolver6v33100L18trti2_kernel_smallILi33EfPfEEv13rocblas_fill_17rocblas_diagonal_T1_iil.has_dyn_sized_stack, 0
	.set _ZN9rocsolver6v33100L18trti2_kernel_smallILi33EfPfEEv13rocblas_fill_17rocblas_diagonal_T1_iil.has_recursion, 0
	.set _ZN9rocsolver6v33100L18trti2_kernel_smallILi33EfPfEEv13rocblas_fill_17rocblas_diagonal_T1_iil.has_indirect_call, 0
	.section	.AMDGPU.csdata,"",@progbits
; Kernel info:
; codeLenInByte = 15880
; TotalNumSgprs: 50
; NumVgprs: 80
; ScratchSize: 144
; MemoryBound: 0
; FloatMode: 240
; IeeeMode: 1
; LDSByteSize: 276 bytes/workgroup (compile time only)
; SGPRBlocks: 6
; VGPRBlocks: 19
; NumSGPRsForWavesPerEU: 50
; NumVGPRsForWavesPerEU: 80
; Occupancy: 3
; WaveLimiterHint : 0
; COMPUTE_PGM_RSRC2:SCRATCH_EN: 1
; COMPUTE_PGM_RSRC2:USER_SGPR: 6
; COMPUTE_PGM_RSRC2:TRAP_HANDLER: 0
; COMPUTE_PGM_RSRC2:TGID_X_EN: 1
; COMPUTE_PGM_RSRC2:TGID_Y_EN: 0
; COMPUTE_PGM_RSRC2:TGID_Z_EN: 0
; COMPUTE_PGM_RSRC2:TIDIG_COMP_CNT: 0
	.section	.text._ZN9rocsolver6v33100L18trti2_kernel_smallILi34EfPfEEv13rocblas_fill_17rocblas_diagonal_T1_iil,"axG",@progbits,_ZN9rocsolver6v33100L18trti2_kernel_smallILi34EfPfEEv13rocblas_fill_17rocblas_diagonal_T1_iil,comdat
	.globl	_ZN9rocsolver6v33100L18trti2_kernel_smallILi34EfPfEEv13rocblas_fill_17rocblas_diagonal_T1_iil ; -- Begin function _ZN9rocsolver6v33100L18trti2_kernel_smallILi34EfPfEEv13rocblas_fill_17rocblas_diagonal_T1_iil
	.p2align	8
	.type	_ZN9rocsolver6v33100L18trti2_kernel_smallILi34EfPfEEv13rocblas_fill_17rocblas_diagonal_T1_iil,@function
_ZN9rocsolver6v33100L18trti2_kernel_smallILi34EfPfEEv13rocblas_fill_17rocblas_diagonal_T1_iil: ; @_ZN9rocsolver6v33100L18trti2_kernel_smallILi34EfPfEEv13rocblas_fill_17rocblas_diagonal_T1_iil
; %bb.0:
	s_add_u32 s0, s0, s7
	s_addc_u32 s1, s1, 0
	v_cmp_gt_u32_e32 vcc, 34, v0
	s_and_saveexec_b64 s[8:9], vcc
	s_cbranch_execz .LBB33_650
; %bb.1:
	s_load_dwordx8 s[8:15], s[4:5], 0x0
	s_ashr_i32 s7, s6, 31
	v_lshlrev_b32_e32 v69, 2, v0
	s_waitcnt lgkmcnt(0)
	s_ashr_i32 s5, s12, 31
	s_mov_b32 s4, s12
	s_mul_hi_u32 s12, s14, s6
	s_mul_i32 s7, s14, s7
	s_add_i32 s7, s12, s7
	s_mul_i32 s12, s15, s6
	s_add_i32 s7, s7, s12
	s_mul_i32 s6, s14, s6
	s_lshl_b64 s[6:7], s[6:7], 2
	s_add_u32 s6, s10, s6
	s_addc_u32 s7, s11, s7
	s_lshl_b64 s[4:5], s[4:5], 2
	s_add_u32 s4, s6, s4
	s_addc_u32 s5, s7, s5
	s_add_i32 s6, s13, s13
	v_add_u32_e32 v3, s6, v0
	v_ashrrev_i32_e32 v4, 31, v3
	v_lshlrev_b64 v[1:2], 2, v[3:4]
	v_mov_b32_e32 v4, s5
	v_add_co_u32_e32 v1, vcc, s4, v1
	v_add_u32_e32 v3, s13, v3
	v_addc_co_u32_e32 v2, vcc, v4, v2, vcc
	v_ashrrev_i32_e32 v4, 31, v3
	v_lshlrev_b64 v[5:6], 2, v[3:4]
	v_add_u32_e32 v7, s13, v3
	v_mov_b32_e32 v4, s5
	v_add_co_u32_e32 v5, vcc, s4, v5
	v_ashrrev_i32_e32 v8, 31, v7
	v_addc_co_u32_e32 v6, vcc, v4, v6, vcc
	v_lshlrev_b64 v[3:4], 2, v[7:8]
	v_add_u32_e32 v9, s13, v7
	v_mov_b32_e32 v8, s5
	v_add_co_u32_e32 v3, vcc, s4, v3
	v_ashrrev_i32_e32 v10, 31, v9
	v_addc_co_u32_e32 v4, vcc, v8, v4, vcc
	v_lshlrev_b64 v[7:8], 2, v[9:10]
	v_mov_b32_e32 v10, s5
	v_add_co_u32_e32 v7, vcc, s4, v7
	v_add_u32_e32 v9, s13, v9
	v_addc_co_u32_e32 v8, vcc, v10, v8, vcc
	v_ashrrev_i32_e32 v10, 31, v9
	v_lshlrev_b64 v[11:12], 2, v[9:10]
	v_add_u32_e32 v13, s13, v9
	v_mov_b32_e32 v10, s5
	v_add_co_u32_e32 v11, vcc, s4, v11
	v_ashrrev_i32_e32 v14, 31, v13
	v_addc_co_u32_e32 v12, vcc, v10, v12, vcc
	v_lshlrev_b64 v[9:10], 2, v[13:14]
	v_add_u32_e32 v15, s13, v13
	v_mov_b32_e32 v14, s5
	v_add_co_u32_e32 v9, vcc, s4, v9
	v_ashrrev_i32_e32 v16, 31, v15
	v_addc_co_u32_e32 v10, vcc, v14, v10, vcc
	;; [unrolled: 6-line block ×4, first 2 shown]
	v_lshlrev_b64 v[17:18], 2, v[19:20]
	v_mov_b32_e32 v21, s5
	v_add_co_u32_e32 v17, vcc, s4, v17
	v_addc_co_u32_e32 v18, vcc, v21, v18, vcc
	v_add_u32_e32 v21, s13, v19
	v_ashrrev_i32_e32 v22, 31, v21
	v_lshlrev_b64 v[19:20], 2, v[21:22]
	v_mov_b32_e32 v23, s5
	v_add_co_u32_e32 v19, vcc, s4, v19
	v_addc_co_u32_e32 v20, vcc, v23, v20, vcc
	v_add_u32_e32 v23, s13, v21
	v_ashrrev_i32_e32 v24, 31, v23
	;; [unrolled: 6-line block ×14, first 2 shown]
	v_lshlrev_b64 v[45:46], 2, v[47:48]
	v_mov_b32_e32 v49, s5
	v_add_co_u32_e32 v45, vcc, s4, v45
	v_addc_co_u32_e32 v46, vcc, v49, v46, vcc
	v_add_u32_e32 v49, s13, v47
	v_mov_b32_e32 v47, s5
	v_add_co_u32_e32 v65, vcc, s4, v69
	s_ashr_i32 s7, s13, 31
	s_mov_b32 s6, s13
	v_addc_co_u32_e32 v66, vcc, 0, v47, vcc
	s_lshl_b64 s[6:7], s[6:7], 2
	v_mov_b32_e32 v47, s7
	v_add_co_u32_e32 v67, vcc, s6, v65
	global_load_dword v70, v69, s[4:5]
	v_addc_co_u32_e32 v68, vcc, v66, v47, vcc
	global_load_dword v71, v[67:68], off
	global_load_dword v72, v[1:2], off
	;; [unrolled: 1-line block ×5, first 2 shown]
	v_ashrrev_i32_e32 v50, 31, v49
	v_lshlrev_b64 v[47:48], 2, v[49:50]
	v_mov_b32_e32 v51, s5
	v_add_co_u32_e32 v47, vcc, s4, v47
	v_addc_co_u32_e32 v48, vcc, v51, v48, vcc
	v_add_u32_e32 v51, s13, v49
	v_ashrrev_i32_e32 v52, 31, v51
	v_lshlrev_b64 v[49:50], 2, v[51:52]
	v_mov_b32_e32 v53, s5
	v_add_co_u32_e32 v49, vcc, s4, v49
	v_addc_co_u32_e32 v50, vcc, v53, v50, vcc
	v_add_u32_e32 v53, s13, v51
	;; [unrolled: 6-line block ×7, first 2 shown]
	v_ashrrev_i32_e32 v64, 31, v63
	v_lshlrev_b64 v[61:62], 2, v[63:64]
	v_add_u32_e32 v63, s13, v63
	v_ashrrev_i32_e32 v64, 31, v63
	v_mov_b32_e32 v76, s5
	v_add_co_u32_e32 v61, vcc, s4, v61
	v_lshlrev_b64 v[63:64], 2, v[63:64]
	v_addc_co_u32_e32 v62, vcc, v76, v62, vcc
	v_add_co_u32_e32 v63, vcc, s4, v63
	v_addc_co_u32_e32 v64, vcc, v76, v64, vcc
	global_load_dword v76, v[63:64], off
	s_cmpk_lg_i32 s9, 0x84
	s_cselect_b64 s[10:11], -1, 0
	s_cmpk_eq_i32 s9, 0x84
	s_waitcnt vmcnt(6)
	buffer_store_dword v70, off, s[0:3], 0
	global_load_dword v70, v[11:12], off
	s_nop 0
	global_load_dword v77, v[9:10], off
	global_load_dword v78, v[13:14], off
	s_waitcnt vmcnt(9)
	buffer_store_dword v71, off, s[0:3], 0 offset:4
	s_waitcnt vmcnt(9)
	buffer_store_dword v72, off, s[0:3], 0 offset:8
	;; [unrolled: 2-line block ×5, first 2 shown]
	global_load_dword v71, v[15:16], off
	global_load_dword v72, v[17:18], off
	;; [unrolled: 1-line block ×4, first 2 shown]
	s_nop 0
	global_load_dword v75, v[23:24], off
	global_load_dword v79, v[25:26], off
	s_waitcnt vmcnt(13)
	buffer_store_dword v70, off, s[0:3], 0 offset:24
	s_waitcnt vmcnt(13)
	buffer_store_dword v77, off, s[0:3], 0 offset:28
	;; [unrolled: 2-line block ×3, first 2 shown]
	global_load_dword v70, v[27:28], off
	global_load_dword v77, v[29:30], off
	s_waitcnt vmcnt(10)
	buffer_store_dword v71, off, s[0:3], 0 offset:36
	s_waitcnt vmcnt(10)
	buffer_store_dword v72, off, s[0:3], 0 offset:40
	;; [unrolled: 2-line block ×6, first 2 shown]
	global_load_dword v71, v[31:32], off
	global_load_dword v72, v[33:34], off
	;; [unrolled: 1-line block ×7, first 2 shown]
	s_waitcnt vmcnt(14)
	buffer_store_dword v70, off, s[0:3], 0 offset:60
	s_waitcnt vmcnt(14)
	buffer_store_dword v77, off, s[0:3], 0 offset:64
	global_load_dword v70, v[45:46], off
	s_waitcnt vmcnt(9)
	buffer_store_dword v71, off, s[0:3], 0 offset:68
	s_waitcnt vmcnt(9)
	buffer_store_dword v72, off, s[0:3], 0 offset:72
	;; [unrolled: 2-line block ×7, first 2 shown]
	global_load_dword v71, v[47:48], off
	global_load_dword v72, v[49:50], off
	;; [unrolled: 1-line block ×8, first 2 shown]
	s_waitcnt vmcnt(15)
	buffer_store_dword v70, off, s[0:3], 0 offset:96
	s_waitcnt vmcnt(8)
	buffer_store_dword v71, off, s[0:3], 0 offset:100
	;; [unrolled: 2-line block ×9, first 2 shown]
	buffer_store_dword v76, off, s[0:3], 0 offset:132
	v_mov_b32_e32 v70, -1.0
	s_cbranch_scc1 .LBB33_3
; %bb.2:
	v_mov_b32_e32 v70, 0
	v_lshl_add_u32 v70, v0, 2, v70
	buffer_load_dword v71, v70, s[0:3], 0 offen
	s_waitcnt vmcnt(0)
	v_div_scale_f32 v72, s[4:5], v71, v71, 1.0
	v_div_scale_f32 v73, vcc, 1.0, v71, 1.0
	v_rcp_f32_e32 v74, v72
	v_fma_f32 v75, -v72, v74, 1.0
	v_fmac_f32_e32 v74, v75, v74
	v_mul_f32_e32 v75, v73, v74
	v_fma_f32 v76, -v72, v75, v73
	v_fmac_f32_e32 v75, v76, v74
	v_fma_f32 v72, -v72, v75, v73
	v_div_fmas_f32 v72, v72, v74, v75
	v_div_fixup_f32 v71, v72, v71, 1.0
	buffer_store_dword v71, v70, s[0:3], 0 offen
	v_xor_b32_e32 v70, 0x80000000, v71
.LBB33_3:
	ds_write_b32 v69, v70
	s_cmpk_eq_i32 s8, 0x79
	v_add_u32_e32 v70, 0x90, v69
	v_mov_b32_e32 v71, v69
	s_mov_b64 s[4:5], -1
	s_cbranch_scc1 .LBB33_327
; %bb.4:
	buffer_load_dword v72, off, s[0:3], 0 offset:128
	s_movk_i32 s12, 0x44
	s_movk_i32 s13, 0x48
	;; [unrolled: 1-line block ×15, first 2 shown]
	v_cmp_eq_u32_e64 s[4:5], 33, v0
	s_waitcnt vmcnt(0)
	ds_write_b32 v70, v72
	s_waitcnt lgkmcnt(0)
	; wave barrier
	s_and_saveexec_b64 s[6:7], s[4:5]
	s_cbranch_execz .LBB33_10
; %bb.5:
	s_and_b64 vcc, exec, s[10:11]
	s_cbranch_vccz .LBB33_7
; %bb.6:
	buffer_load_dword v72, v71, s[0:3], 0 offen
	ds_read_b32 v73, v70
	s_waitcnt vmcnt(0) lgkmcnt(0)
	v_mul_f32_e32 v72, v72, v73
	s_cbranch_execz .LBB33_8
	s_branch .LBB33_9
.LBB33_7:
                                        ; implicit-def: $vgpr72
.LBB33_8:
	ds_read_b32 v72, v70
.LBB33_9:
	v_mov_b32_e32 v73, 0
	ds_read_b32 v73, v73 offset:128
	s_waitcnt lgkmcnt(0)
	v_mul_f32_e32 v72, v72, v73
	buffer_store_dword v72, off, s[0:3], 0 offset:128
.LBB33_10:
	s_or_b64 exec, exec, s[6:7]
	buffer_load_dword v72, off, s[0:3], 0 offset:124
	s_or_b32 s14, 0, 4
	s_or_b32 s15, 0, 8
	;; [unrolled: 1-line block ×3, first 2 shown]
	s_mov_b32 s17, 16
	s_mov_b32 s18, 20
	s_mov_b32 s19, 24
	s_mov_b32 s20, 28
	s_mov_b32 s21, 32
	s_mov_b32 s22, 36
	s_mov_b32 s23, 40
	s_mov_b32 s24, 44
	s_mov_b32 s25, 48
	s_mov_b32 s26, 52
	s_mov_b32 s27, 56
	s_mov_b32 s28, 60
	s_mov_b32 s29, 64
	s_mov_b32 s30, s12
	s_mov_b32 s31, s13
	v_cmp_lt_u32_e64 s[6:7], 31, v0
	s_waitcnt vmcnt(0)
	ds_write_b32 v70, v72
	s_waitcnt lgkmcnt(0)
	; wave barrier
	s_and_saveexec_b64 s[8:9], s[6:7]
	s_cbranch_execz .LBB33_16
; %bb.11:
	s_andn2_b64 vcc, exec, s[10:11]
	s_cbranch_vccnz .LBB33_13
; %bb.12:
	buffer_load_dword v72, v71, s[0:3], 0 offen
	ds_read_b32 v73, v70
	s_waitcnt vmcnt(0) lgkmcnt(0)
	v_mul_f32_e32 v72, v72, v73
	s_cbranch_execz .LBB33_14
	s_branch .LBB33_15
.LBB33_13:
                                        ; implicit-def: $vgpr72
.LBB33_14:
	ds_read_b32 v72, v70
.LBB33_15:
	buffer_load_dword v75, off, s[0:3], 0 offset:128
	v_mov_b32_e32 v73, 0
	ds_read2_b32 v[73:74], v73 offset0:31 offset1:68
	s_waitcnt vmcnt(0) lgkmcnt(0)
	v_fma_f32 v74, v75, v74, v72
	v_cndmask_b32_e64 v72, v72, v74, s[4:5]
	v_mul_f32_e32 v72, v72, v73
	buffer_store_dword v72, off, s[0:3], 0 offset:124
.LBB33_16:
	s_or_b64 exec, exec, s[8:9]
	buffer_load_dword v72, off, s[0:3], 0 offset:120
	v_cmp_lt_u32_e64 s[4:5], 30, v0
	s_waitcnt vmcnt(0)
	ds_write_b32 v70, v72
	s_waitcnt lgkmcnt(0)
	; wave barrier
	s_and_saveexec_b64 s[8:9], s[4:5]
	s_cbranch_execz .LBB33_26
; %bb.17:
	s_andn2_b64 vcc, exec, s[10:11]
	s_cbranch_vccnz .LBB33_19
; %bb.18:
	buffer_load_dword v72, v71, s[0:3], 0 offen
	ds_read_b32 v73, v70
	s_waitcnt vmcnt(0) lgkmcnt(0)
	v_mul_f32_e32 v72, v72, v73
	s_cbranch_execz .LBB33_20
	s_branch .LBB33_21
.LBB33_19:
                                        ; implicit-def: $vgpr72
.LBB33_20:
	ds_read_b32 v72, v70
.LBB33_21:
	s_and_saveexec_b64 s[12:13], s[6:7]
	s_cbranch_execz .LBB33_25
; %bb.22:
	v_subrev_u32_e32 v73, 31, v0
	s_movk_i32 s46, 0x10c
	s_mov_b64 s[6:7], 0
.LBB33_23:                              ; =>This Inner Loop Header: Depth=1
	v_mov_b32_e32 v74, s45
	buffer_load_dword v74, v74, s[0:3], 0 offen
	v_mov_b32_e32 v75, s46
	ds_read_b32 v75, v75
	v_add_u32_e32 v73, -1, v73
	s_add_i32 s46, s46, 4
	s_add_i32 s45, s45, 4
	v_cmp_eq_u32_e32 vcc, 0, v73
	s_or_b64 s[6:7], vcc, s[6:7]
	s_waitcnt vmcnt(0) lgkmcnt(0)
	v_fmac_f32_e32 v72, v74, v75
	s_andn2_b64 exec, exec, s[6:7]
	s_cbranch_execnz .LBB33_23
; %bb.24:
	s_or_b64 exec, exec, s[6:7]
.LBB33_25:
	s_or_b64 exec, exec, s[12:13]
	v_mov_b32_e32 v73, 0
	ds_read_b32 v73, v73 offset:120
	s_waitcnt lgkmcnt(0)
	v_mul_f32_e32 v72, v72, v73
	buffer_store_dword v72, off, s[0:3], 0 offset:120
.LBB33_26:
	s_or_b64 exec, exec, s[8:9]
	buffer_load_dword v72, off, s[0:3], 0 offset:116
	v_cmp_lt_u32_e64 s[6:7], 29, v0
	s_waitcnt vmcnt(0)
	ds_write_b32 v70, v72
	s_waitcnt lgkmcnt(0)
	; wave barrier
	s_and_saveexec_b64 s[8:9], s[6:7]
	s_cbranch_execz .LBB33_36
; %bb.27:
	s_andn2_b64 vcc, exec, s[10:11]
	s_cbranch_vccnz .LBB33_29
; %bb.28:
	buffer_load_dword v72, v71, s[0:3], 0 offen
	ds_read_b32 v73, v70
	s_waitcnt vmcnt(0) lgkmcnt(0)
	v_mul_f32_e32 v72, v72, v73
	s_cbranch_execz .LBB33_30
	s_branch .LBB33_31
.LBB33_29:
                                        ; implicit-def: $vgpr72
.LBB33_30:
	ds_read_b32 v72, v70
.LBB33_31:
	s_and_saveexec_b64 s[12:13], s[4:5]
	s_cbranch_execz .LBB33_35
; %bb.32:
	v_subrev_u32_e32 v73, 30, v0
	s_movk_i32 s45, 0x108
	s_mov_b64 s[4:5], 0
.LBB33_33:                              ; =>This Inner Loop Header: Depth=1
	v_mov_b32_e32 v74, s44
	buffer_load_dword v74, v74, s[0:3], 0 offen
	v_mov_b32_e32 v75, s45
	ds_read_b32 v75, v75
	v_add_u32_e32 v73, -1, v73
	s_add_i32 s45, s45, 4
	s_add_i32 s44, s44, 4
	v_cmp_eq_u32_e32 vcc, 0, v73
	s_or_b64 s[4:5], vcc, s[4:5]
	s_waitcnt vmcnt(0) lgkmcnt(0)
	v_fmac_f32_e32 v72, v74, v75
	s_andn2_b64 exec, exec, s[4:5]
	s_cbranch_execnz .LBB33_33
; %bb.34:
	s_or_b64 exec, exec, s[4:5]
.LBB33_35:
	s_or_b64 exec, exec, s[12:13]
	v_mov_b32_e32 v73, 0
	ds_read_b32 v73, v73 offset:116
	s_waitcnt lgkmcnt(0)
	v_mul_f32_e32 v72, v72, v73
	buffer_store_dword v72, off, s[0:3], 0 offset:116
.LBB33_36:
	;; [unrolled: 54-line block ×8, first 2 shown]
	s_or_b64 exec, exec, s[8:9]
	buffer_load_dword v72, off, s[0:3], 0 offset:88
	v_cmp_lt_u32_e64 s[4:5], 22, v0
	s_waitcnt vmcnt(0)
	ds_write_b32 v70, v72
	s_waitcnt lgkmcnt(0)
	; wave barrier
	s_and_saveexec_b64 s[8:9], s[4:5]
	s_cbranch_execz .LBB33_106
; %bb.97:
	s_andn2_b64 vcc, exec, s[10:11]
	s_cbranch_vccnz .LBB33_99
; %bb.98:
	buffer_load_dword v72, v71, s[0:3], 0 offen
	ds_read_b32 v73, v70
	s_waitcnt vmcnt(0) lgkmcnt(0)
	v_mul_f32_e32 v72, v72, v73
	s_cbranch_execz .LBB33_100
	s_branch .LBB33_101
.LBB33_99:
                                        ; implicit-def: $vgpr72
.LBB33_100:
	ds_read_b32 v72, v70
.LBB33_101:
	s_and_saveexec_b64 s[12:13], s[6:7]
	s_cbranch_execz .LBB33_105
; %bb.102:
	v_subrev_u32_e32 v73, 23, v0
	s_movk_i32 s38, 0xec
	s_mov_b64 s[6:7], 0
.LBB33_103:                             ; =>This Inner Loop Header: Depth=1
	v_mov_b32_e32 v74, s37
	buffer_load_dword v74, v74, s[0:3], 0 offen
	v_mov_b32_e32 v75, s38
	ds_read_b32 v75, v75
	v_add_u32_e32 v73, -1, v73
	s_add_i32 s38, s38, 4
	s_add_i32 s37, s37, 4
	v_cmp_eq_u32_e32 vcc, 0, v73
	s_or_b64 s[6:7], vcc, s[6:7]
	s_waitcnt vmcnt(0) lgkmcnt(0)
	v_fmac_f32_e32 v72, v74, v75
	s_andn2_b64 exec, exec, s[6:7]
	s_cbranch_execnz .LBB33_103
; %bb.104:
	s_or_b64 exec, exec, s[6:7]
.LBB33_105:
	s_or_b64 exec, exec, s[12:13]
	v_mov_b32_e32 v73, 0
	ds_read_b32 v73, v73 offset:88
	s_waitcnt lgkmcnt(0)
	v_mul_f32_e32 v72, v72, v73
	buffer_store_dword v72, off, s[0:3], 0 offset:88
.LBB33_106:
	s_or_b64 exec, exec, s[8:9]
	buffer_load_dword v72, off, s[0:3], 0 offset:84
	v_cmp_lt_u32_e64 s[6:7], 21, v0
	s_waitcnt vmcnt(0)
	ds_write_b32 v70, v72
	s_waitcnt lgkmcnt(0)
	; wave barrier
	s_and_saveexec_b64 s[8:9], s[6:7]
	s_cbranch_execz .LBB33_116
; %bb.107:
	s_andn2_b64 vcc, exec, s[10:11]
	s_cbranch_vccnz .LBB33_109
; %bb.108:
	buffer_load_dword v72, v71, s[0:3], 0 offen
	ds_read_b32 v73, v70
	s_waitcnt vmcnt(0) lgkmcnt(0)
	v_mul_f32_e32 v72, v72, v73
	s_cbranch_execz .LBB33_110
	s_branch .LBB33_111
.LBB33_109:
                                        ; implicit-def: $vgpr72
.LBB33_110:
	ds_read_b32 v72, v70
.LBB33_111:
	s_and_saveexec_b64 s[12:13], s[4:5]
	s_cbranch_execz .LBB33_115
; %bb.112:
	v_subrev_u32_e32 v73, 22, v0
	s_movk_i32 s37, 0xe8
	s_mov_b64 s[4:5], 0
.LBB33_113:                             ; =>This Inner Loop Header: Depth=1
	v_mov_b32_e32 v74, s36
	buffer_load_dword v74, v74, s[0:3], 0 offen
	v_mov_b32_e32 v75, s37
	ds_read_b32 v75, v75
	v_add_u32_e32 v73, -1, v73
	s_add_i32 s37, s37, 4
	s_add_i32 s36, s36, 4
	v_cmp_eq_u32_e32 vcc, 0, v73
	s_or_b64 s[4:5], vcc, s[4:5]
	s_waitcnt vmcnt(0) lgkmcnt(0)
	v_fmac_f32_e32 v72, v74, v75
	s_andn2_b64 exec, exec, s[4:5]
	s_cbranch_execnz .LBB33_113
; %bb.114:
	s_or_b64 exec, exec, s[4:5]
.LBB33_115:
	s_or_b64 exec, exec, s[12:13]
	v_mov_b32_e32 v73, 0
	ds_read_b32 v73, v73 offset:84
	s_waitcnt lgkmcnt(0)
	v_mul_f32_e32 v72, v72, v73
	buffer_store_dword v72, off, s[0:3], 0 offset:84
.LBB33_116:
	s_or_b64 exec, exec, s[8:9]
	buffer_load_dword v72, off, s[0:3], 0 offset:80
	v_cmp_lt_u32_e64 s[4:5], 20, v0
	s_waitcnt vmcnt(0)
	ds_write_b32 v70, v72
	s_waitcnt lgkmcnt(0)
	; wave barrier
	s_and_saveexec_b64 s[8:9], s[4:5]
	s_cbranch_execz .LBB33_126
; %bb.117:
	s_andn2_b64 vcc, exec, s[10:11]
	s_cbranch_vccnz .LBB33_119
; %bb.118:
	buffer_load_dword v72, v71, s[0:3], 0 offen
	ds_read_b32 v73, v70
	s_waitcnt vmcnt(0) lgkmcnt(0)
	v_mul_f32_e32 v72, v72, v73
	s_cbranch_execz .LBB33_120
	s_branch .LBB33_121
.LBB33_119:
                                        ; implicit-def: $vgpr72
.LBB33_120:
	ds_read_b32 v72, v70
.LBB33_121:
	s_and_saveexec_b64 s[12:13], s[6:7]
	s_cbranch_execz .LBB33_125
; %bb.122:
	v_subrev_u32_e32 v73, 21, v0
	s_movk_i32 s36, 0xe4
	s_mov_b64 s[6:7], 0
.LBB33_123:                             ; =>This Inner Loop Header: Depth=1
	v_mov_b32_e32 v74, s35
	buffer_load_dword v74, v74, s[0:3], 0 offen
	v_mov_b32_e32 v75, s36
	ds_read_b32 v75, v75
	v_add_u32_e32 v73, -1, v73
	s_add_i32 s36, s36, 4
	s_add_i32 s35, s35, 4
	v_cmp_eq_u32_e32 vcc, 0, v73
	s_or_b64 s[6:7], vcc, s[6:7]
	s_waitcnt vmcnt(0) lgkmcnt(0)
	v_fmac_f32_e32 v72, v74, v75
	s_andn2_b64 exec, exec, s[6:7]
	s_cbranch_execnz .LBB33_123
; %bb.124:
	s_or_b64 exec, exec, s[6:7]
.LBB33_125:
	s_or_b64 exec, exec, s[12:13]
	v_mov_b32_e32 v73, 0
	ds_read_b32 v73, v73 offset:80
	s_waitcnt lgkmcnt(0)
	v_mul_f32_e32 v72, v72, v73
	buffer_store_dword v72, off, s[0:3], 0 offset:80
.LBB33_126:
	s_or_b64 exec, exec, s[8:9]
	buffer_load_dword v72, off, s[0:3], 0 offset:76
	v_cmp_lt_u32_e64 s[6:7], 19, v0
	s_waitcnt vmcnt(0)
	ds_write_b32 v70, v72
	s_waitcnt lgkmcnt(0)
	; wave barrier
	s_and_saveexec_b64 s[8:9], s[6:7]
	s_cbranch_execz .LBB33_136
; %bb.127:
	s_andn2_b64 vcc, exec, s[10:11]
	s_cbranch_vccnz .LBB33_129
; %bb.128:
	buffer_load_dword v72, v71, s[0:3], 0 offen
	ds_read_b32 v73, v70
	s_waitcnt vmcnt(0) lgkmcnt(0)
	v_mul_f32_e32 v72, v72, v73
	s_cbranch_execz .LBB33_130
	s_branch .LBB33_131
.LBB33_129:
                                        ; implicit-def: $vgpr72
.LBB33_130:
	ds_read_b32 v72, v70
.LBB33_131:
	s_and_saveexec_b64 s[12:13], s[4:5]
	s_cbranch_execz .LBB33_135
; %bb.132:
	v_subrev_u32_e32 v73, 20, v0
	s_movk_i32 s35, 0xe0
	s_mov_b64 s[4:5], 0
.LBB33_133:                             ; =>This Inner Loop Header: Depth=1
	v_mov_b32_e32 v74, s34
	buffer_load_dword v74, v74, s[0:3], 0 offen
	v_mov_b32_e32 v75, s35
	ds_read_b32 v75, v75
	v_add_u32_e32 v73, -1, v73
	s_add_i32 s35, s35, 4
	s_add_i32 s34, s34, 4
	v_cmp_eq_u32_e32 vcc, 0, v73
	s_or_b64 s[4:5], vcc, s[4:5]
	s_waitcnt vmcnt(0) lgkmcnt(0)
	v_fmac_f32_e32 v72, v74, v75
	s_andn2_b64 exec, exec, s[4:5]
	s_cbranch_execnz .LBB33_133
; %bb.134:
	s_or_b64 exec, exec, s[4:5]
.LBB33_135:
	s_or_b64 exec, exec, s[12:13]
	v_mov_b32_e32 v73, 0
	ds_read_b32 v73, v73 offset:76
	s_waitcnt lgkmcnt(0)
	v_mul_f32_e32 v72, v72, v73
	buffer_store_dword v72, off, s[0:3], 0 offset:76
.LBB33_136:
	s_or_b64 exec, exec, s[8:9]
	buffer_load_dword v72, off, s[0:3], 0 offset:72
	v_cmp_lt_u32_e64 s[4:5], 18, v0
	s_waitcnt vmcnt(0)
	ds_write_b32 v70, v72
	s_waitcnt lgkmcnt(0)
	; wave barrier
	s_and_saveexec_b64 s[8:9], s[4:5]
	s_cbranch_execz .LBB33_146
; %bb.137:
	s_andn2_b64 vcc, exec, s[10:11]
	s_cbranch_vccnz .LBB33_139
; %bb.138:
	buffer_load_dword v72, v71, s[0:3], 0 offen
	ds_read_b32 v73, v70
	s_waitcnt vmcnt(0) lgkmcnt(0)
	v_mul_f32_e32 v72, v72, v73
	s_cbranch_execz .LBB33_140
	s_branch .LBB33_141
.LBB33_139:
                                        ; implicit-def: $vgpr72
.LBB33_140:
	ds_read_b32 v72, v70
.LBB33_141:
	s_and_saveexec_b64 s[12:13], s[6:7]
	s_cbranch_execz .LBB33_145
; %bb.142:
	v_subrev_u32_e32 v73, 19, v0
	s_movk_i32 s34, 0xdc
	s_mov_b64 s[6:7], 0
.LBB33_143:                             ; =>This Inner Loop Header: Depth=1
	v_mov_b32_e32 v74, s33
	buffer_load_dword v74, v74, s[0:3], 0 offen
	v_mov_b32_e32 v75, s34
	ds_read_b32 v75, v75
	v_add_u32_e32 v73, -1, v73
	s_add_i32 s34, s34, 4
	s_add_i32 s33, s33, 4
	v_cmp_eq_u32_e32 vcc, 0, v73
	s_or_b64 s[6:7], vcc, s[6:7]
	s_waitcnt vmcnt(0) lgkmcnt(0)
	v_fmac_f32_e32 v72, v74, v75
	s_andn2_b64 exec, exec, s[6:7]
	s_cbranch_execnz .LBB33_143
; %bb.144:
	s_or_b64 exec, exec, s[6:7]
.LBB33_145:
	s_or_b64 exec, exec, s[12:13]
	v_mov_b32_e32 v73, 0
	ds_read_b32 v73, v73 offset:72
	s_waitcnt lgkmcnt(0)
	v_mul_f32_e32 v72, v72, v73
	buffer_store_dword v72, off, s[0:3], 0 offset:72
.LBB33_146:
	s_or_b64 exec, exec, s[8:9]
	buffer_load_dword v72, off, s[0:3], 0 offset:68
	v_cmp_lt_u32_e64 s[6:7], 17, v0
	s_waitcnt vmcnt(0)
	ds_write_b32 v70, v72
	s_waitcnt lgkmcnt(0)
	; wave barrier
	s_and_saveexec_b64 s[8:9], s[6:7]
	s_cbranch_execz .LBB33_156
; %bb.147:
	s_andn2_b64 vcc, exec, s[10:11]
	s_cbranch_vccnz .LBB33_149
; %bb.148:
	buffer_load_dword v72, v71, s[0:3], 0 offen
	ds_read_b32 v73, v70
	s_waitcnt vmcnt(0) lgkmcnt(0)
	v_mul_f32_e32 v72, v72, v73
	s_cbranch_execz .LBB33_150
	s_branch .LBB33_151
.LBB33_149:
                                        ; implicit-def: $vgpr72
.LBB33_150:
	ds_read_b32 v72, v70
.LBB33_151:
	s_and_saveexec_b64 s[12:13], s[4:5]
	s_cbranch_execz .LBB33_155
; %bb.152:
	v_subrev_u32_e32 v73, 18, v0
	s_movk_i32 s33, 0xd8
	s_mov_b64 s[4:5], 0
.LBB33_153:                             ; =>This Inner Loop Header: Depth=1
	v_mov_b32_e32 v74, s31
	buffer_load_dword v74, v74, s[0:3], 0 offen
	v_mov_b32_e32 v75, s33
	ds_read_b32 v75, v75
	v_add_u32_e32 v73, -1, v73
	s_add_i32 s33, s33, 4
	s_add_i32 s31, s31, 4
	v_cmp_eq_u32_e32 vcc, 0, v73
	s_or_b64 s[4:5], vcc, s[4:5]
	s_waitcnt vmcnt(0) lgkmcnt(0)
	v_fmac_f32_e32 v72, v74, v75
	s_andn2_b64 exec, exec, s[4:5]
	s_cbranch_execnz .LBB33_153
; %bb.154:
	s_or_b64 exec, exec, s[4:5]
.LBB33_155:
	s_or_b64 exec, exec, s[12:13]
	v_mov_b32_e32 v73, 0
	ds_read_b32 v73, v73 offset:68
	s_waitcnt lgkmcnt(0)
	v_mul_f32_e32 v72, v72, v73
	buffer_store_dword v72, off, s[0:3], 0 offset:68
.LBB33_156:
	s_or_b64 exec, exec, s[8:9]
	buffer_load_dword v72, off, s[0:3], 0 offset:64
	v_cmp_lt_u32_e64 s[4:5], 16, v0
	s_waitcnt vmcnt(0)
	ds_write_b32 v70, v72
	s_waitcnt lgkmcnt(0)
	; wave barrier
	s_and_saveexec_b64 s[8:9], s[4:5]
	s_cbranch_execz .LBB33_166
; %bb.157:
	s_andn2_b64 vcc, exec, s[10:11]
	s_cbranch_vccnz .LBB33_159
; %bb.158:
	buffer_load_dword v72, v71, s[0:3], 0 offen
	ds_read_b32 v73, v70
	s_waitcnt vmcnt(0) lgkmcnt(0)
	v_mul_f32_e32 v72, v72, v73
	s_cbranch_execz .LBB33_160
	s_branch .LBB33_161
.LBB33_159:
                                        ; implicit-def: $vgpr72
.LBB33_160:
	ds_read_b32 v72, v70
.LBB33_161:
	s_and_saveexec_b64 s[12:13], s[6:7]
	s_cbranch_execz .LBB33_165
; %bb.162:
	v_subrev_u32_e32 v73, 17, v0
	s_movk_i32 s31, 0xd4
	s_mov_b64 s[6:7], 0
.LBB33_163:                             ; =>This Inner Loop Header: Depth=1
	v_mov_b32_e32 v74, s30
	buffer_load_dword v74, v74, s[0:3], 0 offen
	v_mov_b32_e32 v75, s31
	ds_read_b32 v75, v75
	v_add_u32_e32 v73, -1, v73
	s_add_i32 s31, s31, 4
	s_add_i32 s30, s30, 4
	v_cmp_eq_u32_e32 vcc, 0, v73
	s_or_b64 s[6:7], vcc, s[6:7]
	s_waitcnt vmcnt(0) lgkmcnt(0)
	v_fmac_f32_e32 v72, v74, v75
	s_andn2_b64 exec, exec, s[6:7]
	s_cbranch_execnz .LBB33_163
; %bb.164:
	s_or_b64 exec, exec, s[6:7]
.LBB33_165:
	s_or_b64 exec, exec, s[12:13]
	v_mov_b32_e32 v73, 0
	ds_read_b32 v73, v73 offset:64
	s_waitcnt lgkmcnt(0)
	v_mul_f32_e32 v72, v72, v73
	buffer_store_dword v72, off, s[0:3], 0 offset:64
.LBB33_166:
	s_or_b64 exec, exec, s[8:9]
	buffer_load_dword v72, off, s[0:3], 0 offset:60
	v_cmp_lt_u32_e64 s[6:7], 15, v0
	s_waitcnt vmcnt(0)
	ds_write_b32 v70, v72
	s_waitcnt lgkmcnt(0)
	; wave barrier
	s_and_saveexec_b64 s[8:9], s[6:7]
	s_cbranch_execz .LBB33_176
; %bb.167:
	s_andn2_b64 vcc, exec, s[10:11]
	s_cbranch_vccnz .LBB33_169
; %bb.168:
	buffer_load_dword v72, v71, s[0:3], 0 offen
	ds_read_b32 v73, v70
	s_waitcnt vmcnt(0) lgkmcnt(0)
	v_mul_f32_e32 v72, v72, v73
	s_cbranch_execz .LBB33_170
	s_branch .LBB33_171
.LBB33_169:
                                        ; implicit-def: $vgpr72
.LBB33_170:
	ds_read_b32 v72, v70
.LBB33_171:
	s_and_saveexec_b64 s[12:13], s[4:5]
	s_cbranch_execz .LBB33_175
; %bb.172:
	v_add_u32_e32 v73, -16, v0
	s_movk_i32 s30, 0xd0
	s_mov_b64 s[4:5], 0
.LBB33_173:                             ; =>This Inner Loop Header: Depth=1
	v_mov_b32_e32 v74, s29
	buffer_load_dword v74, v74, s[0:3], 0 offen
	v_mov_b32_e32 v75, s30
	ds_read_b32 v75, v75
	v_add_u32_e32 v73, -1, v73
	s_add_i32 s30, s30, 4
	s_add_i32 s29, s29, 4
	v_cmp_eq_u32_e32 vcc, 0, v73
	s_or_b64 s[4:5], vcc, s[4:5]
	s_waitcnt vmcnt(0) lgkmcnt(0)
	v_fmac_f32_e32 v72, v74, v75
	s_andn2_b64 exec, exec, s[4:5]
	s_cbranch_execnz .LBB33_173
; %bb.174:
	s_or_b64 exec, exec, s[4:5]
.LBB33_175:
	s_or_b64 exec, exec, s[12:13]
	v_mov_b32_e32 v73, 0
	ds_read_b32 v73, v73 offset:60
	s_waitcnt lgkmcnt(0)
	v_mul_f32_e32 v72, v72, v73
	buffer_store_dword v72, off, s[0:3], 0 offset:60
.LBB33_176:
	s_or_b64 exec, exec, s[8:9]
	buffer_load_dword v72, off, s[0:3], 0 offset:56
	v_cmp_lt_u32_e64 s[4:5], 14, v0
	s_waitcnt vmcnt(0)
	ds_write_b32 v70, v72
	s_waitcnt lgkmcnt(0)
	; wave barrier
	s_and_saveexec_b64 s[8:9], s[4:5]
	s_cbranch_execz .LBB33_186
; %bb.177:
	s_andn2_b64 vcc, exec, s[10:11]
	s_cbranch_vccnz .LBB33_179
; %bb.178:
	buffer_load_dword v72, v71, s[0:3], 0 offen
	ds_read_b32 v73, v70
	s_waitcnt vmcnt(0) lgkmcnt(0)
	v_mul_f32_e32 v72, v72, v73
	s_cbranch_execz .LBB33_180
	s_branch .LBB33_181
.LBB33_179:
                                        ; implicit-def: $vgpr72
.LBB33_180:
	ds_read_b32 v72, v70
.LBB33_181:
	s_and_saveexec_b64 s[12:13], s[6:7]
	s_cbranch_execz .LBB33_185
; %bb.182:
	v_add_u32_e32 v73, -15, v0
	s_movk_i32 s29, 0xcc
	s_mov_b64 s[6:7], 0
.LBB33_183:                             ; =>This Inner Loop Header: Depth=1
	v_mov_b32_e32 v74, s28
	buffer_load_dword v74, v74, s[0:3], 0 offen
	v_mov_b32_e32 v75, s29
	ds_read_b32 v75, v75
	v_add_u32_e32 v73, -1, v73
	s_add_i32 s29, s29, 4
	s_add_i32 s28, s28, 4
	v_cmp_eq_u32_e32 vcc, 0, v73
	s_or_b64 s[6:7], vcc, s[6:7]
	s_waitcnt vmcnt(0) lgkmcnt(0)
	v_fmac_f32_e32 v72, v74, v75
	s_andn2_b64 exec, exec, s[6:7]
	s_cbranch_execnz .LBB33_183
; %bb.184:
	s_or_b64 exec, exec, s[6:7]
.LBB33_185:
	s_or_b64 exec, exec, s[12:13]
	v_mov_b32_e32 v73, 0
	ds_read_b32 v73, v73 offset:56
	s_waitcnt lgkmcnt(0)
	v_mul_f32_e32 v72, v72, v73
	buffer_store_dword v72, off, s[0:3], 0 offset:56
.LBB33_186:
	;; [unrolled: 54-line block ×15, first 2 shown]
	s_or_b64 exec, exec, s[8:9]
	buffer_load_dword v72, off, s[0:3], 0
	v_cmp_ne_u32_e32 vcc, 0, v0
	s_waitcnt vmcnt(0)
	ds_write_b32 v70, v72
	s_waitcnt lgkmcnt(0)
	; wave barrier
	s_and_saveexec_b64 s[4:5], vcc
	s_cbranch_execz .LBB33_326
; %bb.317:
	s_andn2_b64 vcc, exec, s[10:11]
	s_cbranch_vccnz .LBB33_319
; %bb.318:
	buffer_load_dword v72, v71, s[0:3], 0 offen
	ds_read_b32 v73, v70
	s_waitcnt vmcnt(0) lgkmcnt(0)
	v_mul_f32_e32 v72, v72, v73
	s_cbranch_execz .LBB33_320
	s_branch .LBB33_321
.LBB33_319:
                                        ; implicit-def: $vgpr72
.LBB33_320:
	ds_read_b32 v72, v70
.LBB33_321:
	s_and_saveexec_b64 s[8:9], s[6:7]
	s_cbranch_execz .LBB33_325
; %bb.322:
	v_add_u32_e32 v73, -1, v0
	s_movk_i32 s12, 0x94
	s_mov_b64 s[6:7], 0
.LBB33_323:                             ; =>This Inner Loop Header: Depth=1
	v_mov_b32_e32 v74, s14
	buffer_load_dword v74, v74, s[0:3], 0 offen
	v_mov_b32_e32 v75, s12
	ds_read_b32 v75, v75
	v_add_u32_e32 v73, -1, v73
	s_add_i32 s12, s12, 4
	s_add_i32 s14, s14, 4
	v_cmp_eq_u32_e32 vcc, 0, v73
	s_or_b64 s[6:7], vcc, s[6:7]
	s_waitcnt vmcnt(0) lgkmcnt(0)
	v_fmac_f32_e32 v72, v74, v75
	s_andn2_b64 exec, exec, s[6:7]
	s_cbranch_execnz .LBB33_323
; %bb.324:
	s_or_b64 exec, exec, s[6:7]
.LBB33_325:
	s_or_b64 exec, exec, s[8:9]
	v_mov_b32_e32 v73, 0
	ds_read_b32 v73, v73
	s_waitcnt lgkmcnt(0)
	v_mul_f32_e32 v72, v72, v73
	buffer_store_dword v72, off, s[0:3], 0
.LBB33_326:
	s_or_b64 exec, exec, s[4:5]
	s_mov_b64 s[4:5], 0
.LBB33_327:
	s_and_b64 vcc, exec, s[4:5]
	s_cbranch_vccz .LBB33_649
; %bb.328:
	buffer_load_dword v72, off, s[0:3], 0 offset:4
	v_cmp_eq_u32_e64 s[6:7], 0, v0
	s_waitcnt vmcnt(0)
	ds_write_b32 v70, v72
	s_waitcnt lgkmcnt(0)
	; wave barrier
	s_and_saveexec_b64 s[4:5], s[6:7]
	s_cbranch_execz .LBB33_334
; %bb.329:
	s_and_b64 vcc, exec, s[10:11]
	s_cbranch_vccz .LBB33_331
; %bb.330:
	buffer_load_dword v72, v71, s[0:3], 0 offen
	ds_read_b32 v73, v70
	s_waitcnt vmcnt(0) lgkmcnt(0)
	v_mul_f32_e32 v72, v72, v73
	s_cbranch_execz .LBB33_332
	s_branch .LBB33_333
.LBB33_331:
                                        ; implicit-def: $vgpr72
.LBB33_332:
	ds_read_b32 v72, v70
.LBB33_333:
	v_mov_b32_e32 v73, 0
	ds_read_b32 v73, v73 offset:4
	s_waitcnt lgkmcnt(0)
	v_mul_f32_e32 v72, v72, v73
	buffer_store_dword v72, off, s[0:3], 0 offset:4
.LBB33_334:
	s_or_b64 exec, exec, s[4:5]
	buffer_load_dword v72, off, s[0:3], 0 offset:8
	v_cndmask_b32_e64 v73, 0, 1, s[10:11]
	v_cmp_gt_u32_e32 vcc, 2, v0
	v_cmp_ne_u32_e64 s[4:5], 1, v73
	s_waitcnt vmcnt(0)
	ds_write_b32 v70, v72
	s_waitcnt lgkmcnt(0)
	; wave barrier
	s_and_saveexec_b64 s[8:9], vcc
	s_cbranch_execz .LBB33_340
; %bb.335:
	s_and_b64 vcc, exec, s[4:5]
	s_cbranch_vccnz .LBB33_337
; %bb.336:
	buffer_load_dword v72, v71, s[0:3], 0 offen
	ds_read_b32 v73, v70
	s_waitcnt vmcnt(0) lgkmcnt(0)
	v_mul_f32_e32 v72, v72, v73
	s_cbranch_execz .LBB33_338
	s_branch .LBB33_339
.LBB33_337:
                                        ; implicit-def: $vgpr72
.LBB33_338:
	ds_read_b32 v72, v70
.LBB33_339:
	buffer_load_dword v75, off, s[0:3], 0 offset:4
	v_mov_b32_e32 v73, 0
	ds_read2_b32 v[73:74], v73 offset0:2 offset1:37
	s_waitcnt vmcnt(0) lgkmcnt(0)
	v_fma_f32 v74, v75, v74, v72
	v_cndmask_b32_e64 v72, v72, v74, s[6:7]
	v_mul_f32_e32 v72, v72, v73
	buffer_store_dword v72, off, s[0:3], 0 offset:8
.LBB33_340:
	s_or_b64 exec, exec, s[8:9]
	buffer_load_dword v72, off, s[0:3], 0 offset:12
	v_cmp_gt_u32_e32 vcc, 3, v0
	s_waitcnt vmcnt(0)
	ds_write_b32 v70, v72
	s_waitcnt lgkmcnt(0)
	; wave barrier
	s_and_saveexec_b64 s[8:9], vcc
	s_cbranch_execz .LBB33_348
; %bb.341:
	s_and_b64 vcc, exec, s[4:5]
	s_cbranch_vccnz .LBB33_343
; %bb.342:
	buffer_load_dword v72, v71, s[0:3], 0 offen
	ds_read_b32 v73, v70
	s_waitcnt vmcnt(0) lgkmcnt(0)
	v_mul_f32_e32 v72, v72, v73
	s_cbranch_execz .LBB33_344
	s_branch .LBB33_345
.LBB33_343:
                                        ; implicit-def: $vgpr72
.LBB33_344:
	ds_read_b32 v72, v70
.LBB33_345:
	v_cmp_ne_u32_e32 vcc, 2, v0
	s_and_saveexec_b64 s[10:11], vcc
	s_cbranch_execz .LBB33_347
; %bb.346:
	buffer_load_dword v73, v71, s[0:3], 0 offen offset:4
	buffer_load_dword v74, off, s[0:3], 0 offset:8
	v_mov_b32_e32 v75, 0
	ds_read_b32 v76, v70 offset:4
	ds_read_b32 v75, v75 offset:152
	s_waitcnt vmcnt(1) lgkmcnt(1)
	v_fmac_f32_e32 v72, v73, v76
	s_waitcnt vmcnt(0) lgkmcnt(0)
	v_fma_f32 v73, v74, v75, v72
	v_cndmask_b32_e64 v72, v72, v73, s[6:7]
.LBB33_347:
	s_or_b64 exec, exec, s[10:11]
	v_mov_b32_e32 v73, 0
	ds_read_b32 v73, v73 offset:12
	s_waitcnt lgkmcnt(0)
	v_mul_f32_e32 v72, v72, v73
	buffer_store_dword v72, off, s[0:3], 0 offset:12
.LBB33_348:
	s_or_b64 exec, exec, s[8:9]
	buffer_load_dword v72, off, s[0:3], 0 offset:16
	v_cmp_gt_u32_e32 vcc, 4, v0
	s_waitcnt vmcnt(0)
	ds_write_b32 v70, v72
	s_waitcnt lgkmcnt(0)
	; wave barrier
	s_and_saveexec_b64 s[6:7], vcc
	s_cbranch_execz .LBB33_358
; %bb.349:
	s_and_b64 vcc, exec, s[4:5]
	s_cbranch_vccnz .LBB33_351
; %bb.350:
	buffer_load_dword v72, v71, s[0:3], 0 offen
	ds_read_b32 v73, v70
	s_waitcnt vmcnt(0) lgkmcnt(0)
	v_mul_f32_e32 v72, v72, v73
	s_cbranch_execz .LBB33_352
	s_branch .LBB33_353
.LBB33_351:
                                        ; implicit-def: $vgpr72
.LBB33_352:
	ds_read_b32 v72, v70
.LBB33_353:
	v_cmp_ne_u32_e32 vcc, 3, v0
	s_and_saveexec_b64 s[8:9], vcc
	s_cbranch_execz .LBB33_357
; %bb.354:
	s_mov_b32 s10, 0
	v_add_u32_e32 v73, 0x94, v69
	v_add3_u32 v74, v69, s10, 4
	s_mov_b64 s[10:11], 0
	v_mov_b32_e32 v75, v0
.LBB33_355:                             ; =>This Inner Loop Header: Depth=1
	buffer_load_dword v76, v74, s[0:3], 0 offen
	ds_read_b32 v77, v73
	v_add_u32_e32 v75, 1, v75
	v_cmp_lt_u32_e32 vcc, 2, v75
	v_add_u32_e32 v73, 4, v73
	v_add_u32_e32 v74, 4, v74
	s_or_b64 s[10:11], vcc, s[10:11]
	s_waitcnt vmcnt(0) lgkmcnt(0)
	v_fmac_f32_e32 v72, v76, v77
	s_andn2_b64 exec, exec, s[10:11]
	s_cbranch_execnz .LBB33_355
; %bb.356:
	s_or_b64 exec, exec, s[10:11]
.LBB33_357:
	s_or_b64 exec, exec, s[8:9]
	v_mov_b32_e32 v73, 0
	ds_read_b32 v73, v73 offset:16
	s_waitcnt lgkmcnt(0)
	v_mul_f32_e32 v72, v72, v73
	buffer_store_dword v72, off, s[0:3], 0 offset:16
.LBB33_358:
	s_or_b64 exec, exec, s[6:7]
	buffer_load_dword v72, off, s[0:3], 0 offset:20
	v_cmp_gt_u32_e32 vcc, 5, v0
	s_waitcnt vmcnt(0)
	ds_write_b32 v70, v72
	s_waitcnt lgkmcnt(0)
	; wave barrier
	s_and_saveexec_b64 s[6:7], vcc
	s_cbranch_execz .LBB33_368
; %bb.359:
	s_and_b64 vcc, exec, s[4:5]
	s_cbranch_vccnz .LBB33_361
; %bb.360:
	buffer_load_dword v72, v71, s[0:3], 0 offen
	ds_read_b32 v73, v70
	s_waitcnt vmcnt(0) lgkmcnt(0)
	v_mul_f32_e32 v72, v72, v73
	s_cbranch_execz .LBB33_362
	s_branch .LBB33_363
.LBB33_361:
                                        ; implicit-def: $vgpr72
.LBB33_362:
	ds_read_b32 v72, v70
.LBB33_363:
	v_cmp_ne_u32_e32 vcc, 4, v0
	s_and_saveexec_b64 s[8:9], vcc
	s_cbranch_execz .LBB33_367
; %bb.364:
	s_mov_b32 s10, 0
	v_add_u32_e32 v73, 0x94, v69
	v_add3_u32 v74, v69, s10, 4
	s_mov_b64 s[10:11], 0
	v_mov_b32_e32 v75, v0
.LBB33_365:                             ; =>This Inner Loop Header: Depth=1
	buffer_load_dword v76, v74, s[0:3], 0 offen
	ds_read_b32 v77, v73
	v_add_u32_e32 v75, 1, v75
	v_cmp_lt_u32_e32 vcc, 3, v75
	v_add_u32_e32 v73, 4, v73
	v_add_u32_e32 v74, 4, v74
	s_or_b64 s[10:11], vcc, s[10:11]
	s_waitcnt vmcnt(0) lgkmcnt(0)
	v_fmac_f32_e32 v72, v76, v77
	s_andn2_b64 exec, exec, s[10:11]
	s_cbranch_execnz .LBB33_365
; %bb.366:
	s_or_b64 exec, exec, s[10:11]
.LBB33_367:
	s_or_b64 exec, exec, s[8:9]
	v_mov_b32_e32 v73, 0
	ds_read_b32 v73, v73 offset:20
	s_waitcnt lgkmcnt(0)
	v_mul_f32_e32 v72, v72, v73
	buffer_store_dword v72, off, s[0:3], 0 offset:20
.LBB33_368:
	;; [unrolled: 55-line block ×28, first 2 shown]
	s_or_b64 exec, exec, s[6:7]
	buffer_load_dword v72, off, s[0:3], 0 offset:128
	v_cmp_gt_u32_e64 s[6:7], 32, v0
	s_waitcnt vmcnt(0)
	ds_write_b32 v70, v72
	s_waitcnt lgkmcnt(0)
	; wave barrier
	s_and_saveexec_b64 s[8:9], s[6:7]
	s_cbranch_execz .LBB33_638
; %bb.629:
	s_and_b64 vcc, exec, s[4:5]
	s_cbranch_vccnz .LBB33_631
; %bb.630:
	buffer_load_dword v72, v71, s[0:3], 0 offen
	ds_read_b32 v73, v70
	s_waitcnt vmcnt(0) lgkmcnt(0)
	v_mul_f32_e32 v72, v72, v73
	s_cbranch_execz .LBB33_632
	s_branch .LBB33_633
.LBB33_631:
                                        ; implicit-def: $vgpr72
.LBB33_632:
	ds_read_b32 v72, v70
.LBB33_633:
	v_cmp_ne_u32_e32 vcc, 31, v0
	s_and_saveexec_b64 s[10:11], vcc
	s_cbranch_execz .LBB33_637
; %bb.634:
	s_mov_b32 s12, 0
	v_add_u32_e32 v73, 0x94, v69
	v_add3_u32 v74, v69, s12, 4
	s_mov_b64 s[12:13], 0
	v_mov_b32_e32 v75, v0
.LBB33_635:                             ; =>This Inner Loop Header: Depth=1
	buffer_load_dword v76, v74, s[0:3], 0 offen
	ds_read_b32 v77, v73
	v_add_u32_e32 v75, 1, v75
	v_cmp_lt_u32_e32 vcc, 30, v75
	v_add_u32_e32 v73, 4, v73
	v_add_u32_e32 v74, 4, v74
	s_or_b64 s[12:13], vcc, s[12:13]
	s_waitcnt vmcnt(0) lgkmcnt(0)
	v_fmac_f32_e32 v72, v76, v77
	s_andn2_b64 exec, exec, s[12:13]
	s_cbranch_execnz .LBB33_635
; %bb.636:
	s_or_b64 exec, exec, s[12:13]
.LBB33_637:
	s_or_b64 exec, exec, s[10:11]
	v_mov_b32_e32 v73, 0
	ds_read_b32 v73, v73 offset:128
	s_waitcnt lgkmcnt(0)
	v_mul_f32_e32 v72, v72, v73
	buffer_store_dword v72, off, s[0:3], 0 offset:128
.LBB33_638:
	s_or_b64 exec, exec, s[8:9]
	buffer_load_dword v72, off, s[0:3], 0 offset:132
	v_cmp_ne_u32_e32 vcc, 33, v0
	s_waitcnt vmcnt(0)
	ds_write_b32 v70, v72
	s_waitcnt lgkmcnt(0)
	; wave barrier
	s_and_saveexec_b64 s[8:9], vcc
	s_cbranch_execz .LBB33_648
; %bb.639:
	s_and_b64 vcc, exec, s[4:5]
	s_cbranch_vccnz .LBB33_641
; %bb.640:
	buffer_load_dword v71, v71, s[0:3], 0 offen
	ds_read_b32 v72, v70
	s_waitcnt vmcnt(0) lgkmcnt(0)
	v_mul_f32_e32 v71, v71, v72
	s_cbranch_execz .LBB33_642
	s_branch .LBB33_643
.LBB33_641:
                                        ; implicit-def: $vgpr71
.LBB33_642:
	ds_read_b32 v71, v70
.LBB33_643:
	s_and_saveexec_b64 s[4:5], s[6:7]
	s_cbranch_execz .LBB33_647
; %bb.644:
	s_mov_b32 s6, 0
	v_add_u32_e32 v70, 0x94, v69
	v_add3_u32 v69, v69, s6, 4
	s_mov_b64 s[6:7], 0
.LBB33_645:                             ; =>This Inner Loop Header: Depth=1
	buffer_load_dword v72, v69, s[0:3], 0 offen
	ds_read_b32 v73, v70
	v_add_u32_e32 v0, 1, v0
	v_cmp_lt_u32_e32 vcc, 31, v0
	v_add_u32_e32 v70, 4, v70
	v_add_u32_e32 v69, 4, v69
	s_or_b64 s[6:7], vcc, s[6:7]
	s_waitcnt vmcnt(0) lgkmcnt(0)
	v_fmac_f32_e32 v71, v72, v73
	s_andn2_b64 exec, exec, s[6:7]
	s_cbranch_execnz .LBB33_645
; %bb.646:
	s_or_b64 exec, exec, s[6:7]
.LBB33_647:
	s_or_b64 exec, exec, s[4:5]
	v_mov_b32_e32 v0, 0
	ds_read_b32 v0, v0 offset:132
	s_waitcnt lgkmcnt(0)
	v_mul_f32_e32 v0, v71, v0
	buffer_store_dword v0, off, s[0:3], 0 offset:132
.LBB33_648:
	s_or_b64 exec, exec, s[8:9]
.LBB33_649:
	buffer_load_dword v0, off, s[0:3], 0
	buffer_load_dword v69, off, s[0:3], 0 offset:4
	buffer_load_dword v70, off, s[0:3], 0 offset:8
	;; [unrolled: 1-line block ×7, first 2 shown]
	s_waitcnt vmcnt(7)
	global_store_dword v[65:66], v0, off
	s_waitcnt vmcnt(7)
	global_store_dword v[67:68], v69, off
	buffer_load_dword v0, off, s[0:3], 0 offset:32
	buffer_load_dword v65, off, s[0:3], 0 offset:36
	;; [unrolled: 1-line block ×3, first 2 shown]
	s_nop 0
	buffer_load_dword v67, off, s[0:3], 0 offset:44
	buffer_load_dword v68, off, s[0:3], 0 offset:48
	;; [unrolled: 1-line block ×5, first 2 shown]
	s_waitcnt vmcnt(15)
	global_store_dword v[1:2], v70, off
	s_waitcnt vmcnt(15)
	global_store_dword v[5:6], v71, off
	buffer_load_dword v1, off, s[0:3], 0 offset:64
	buffer_load_dword v2, off, s[0:3], 0 offset:68
	s_nop 0
	buffer_load_dword v5, off, s[0:3], 0 offset:72
	buffer_load_dword v6, off, s[0:3], 0 offset:76
	;; [unrolled: 1-line block ×6, first 2 shown]
	s_waitcnt vmcnt(23)
	global_store_dword v[3:4], v72, off
	s_waitcnt vmcnt(23)
	global_store_dword v[7:8], v73, off
	;; [unrolled: 2-line block ×3, first 2 shown]
	buffer_load_dword v3, off, s[0:3], 0 offset:96
	buffer_load_dword v4, off, s[0:3], 0 offset:100
	buffer_load_dword v7, off, s[0:3], 0 offset:104
	buffer_load_dword v8, off, s[0:3], 0 offset:108
	s_nop 0
	buffer_load_dword v11, off, s[0:3], 0 offset:112
	buffer_load_dword v12, off, s[0:3], 0 offset:116
	;; [unrolled: 1-line block ×4, first 2 shown]
	s_waitcnt vmcnt(31)
	global_store_dword v[9:10], v75, off
	buffer_load_dword v9, off, s[0:3], 0 offset:128
	s_nop 0
	buffer_load_dword v10, off, s[0:3], 0 offset:132
	s_waitcnt vmcnt(31)
	global_store_dword v[13:14], v0, off
	s_waitcnt vmcnt(31)
	global_store_dword v[15:16], v65, off
	;; [unrolled: 2-line block ×26, first 2 shown]
.LBB33_650:
	s_endpgm
	.section	.rodata,"a",@progbits
	.p2align	6, 0x0
	.amdhsa_kernel _ZN9rocsolver6v33100L18trti2_kernel_smallILi34EfPfEEv13rocblas_fill_17rocblas_diagonal_T1_iil
		.amdhsa_group_segment_fixed_size 280
		.amdhsa_private_segment_fixed_size 144
		.amdhsa_kernarg_size 32
		.amdhsa_user_sgpr_count 6
		.amdhsa_user_sgpr_private_segment_buffer 1
		.amdhsa_user_sgpr_dispatch_ptr 0
		.amdhsa_user_sgpr_queue_ptr 0
		.amdhsa_user_sgpr_kernarg_segment_ptr 1
		.amdhsa_user_sgpr_dispatch_id 0
		.amdhsa_user_sgpr_flat_scratch_init 0
		.amdhsa_user_sgpr_private_segment_size 0
		.amdhsa_uses_dynamic_stack 0
		.amdhsa_system_sgpr_private_segment_wavefront_offset 1
		.amdhsa_system_sgpr_workgroup_id_x 1
		.amdhsa_system_sgpr_workgroup_id_y 0
		.amdhsa_system_sgpr_workgroup_id_z 0
		.amdhsa_system_sgpr_workgroup_info 0
		.amdhsa_system_vgpr_workitem_id 0
		.amdhsa_next_free_vgpr 80
		.amdhsa_next_free_sgpr 47
		.amdhsa_reserve_vcc 1
		.amdhsa_reserve_flat_scratch 0
		.amdhsa_float_round_mode_32 0
		.amdhsa_float_round_mode_16_64 0
		.amdhsa_float_denorm_mode_32 3
		.amdhsa_float_denorm_mode_16_64 3
		.amdhsa_dx10_clamp 1
		.amdhsa_ieee_mode 1
		.amdhsa_fp16_overflow 0
		.amdhsa_exception_fp_ieee_invalid_op 0
		.amdhsa_exception_fp_denorm_src 0
		.amdhsa_exception_fp_ieee_div_zero 0
		.amdhsa_exception_fp_ieee_overflow 0
		.amdhsa_exception_fp_ieee_underflow 0
		.amdhsa_exception_fp_ieee_inexact 0
		.amdhsa_exception_int_div_zero 0
	.end_amdhsa_kernel
	.section	.text._ZN9rocsolver6v33100L18trti2_kernel_smallILi34EfPfEEv13rocblas_fill_17rocblas_diagonal_T1_iil,"axG",@progbits,_ZN9rocsolver6v33100L18trti2_kernel_smallILi34EfPfEEv13rocblas_fill_17rocblas_diagonal_T1_iil,comdat
.Lfunc_end33:
	.size	_ZN9rocsolver6v33100L18trti2_kernel_smallILi34EfPfEEv13rocblas_fill_17rocblas_diagonal_T1_iil, .Lfunc_end33-_ZN9rocsolver6v33100L18trti2_kernel_smallILi34EfPfEEv13rocblas_fill_17rocblas_diagonal_T1_iil
                                        ; -- End function
	.set _ZN9rocsolver6v33100L18trti2_kernel_smallILi34EfPfEEv13rocblas_fill_17rocblas_diagonal_T1_iil.num_vgpr, 80
	.set _ZN9rocsolver6v33100L18trti2_kernel_smallILi34EfPfEEv13rocblas_fill_17rocblas_diagonal_T1_iil.num_agpr, 0
	.set _ZN9rocsolver6v33100L18trti2_kernel_smallILi34EfPfEEv13rocblas_fill_17rocblas_diagonal_T1_iil.numbered_sgpr, 47
	.set _ZN9rocsolver6v33100L18trti2_kernel_smallILi34EfPfEEv13rocblas_fill_17rocblas_diagonal_T1_iil.num_named_barrier, 0
	.set _ZN9rocsolver6v33100L18trti2_kernel_smallILi34EfPfEEv13rocblas_fill_17rocblas_diagonal_T1_iil.private_seg_size, 144
	.set _ZN9rocsolver6v33100L18trti2_kernel_smallILi34EfPfEEv13rocblas_fill_17rocblas_diagonal_T1_iil.uses_vcc, 1
	.set _ZN9rocsolver6v33100L18trti2_kernel_smallILi34EfPfEEv13rocblas_fill_17rocblas_diagonal_T1_iil.uses_flat_scratch, 0
	.set _ZN9rocsolver6v33100L18trti2_kernel_smallILi34EfPfEEv13rocblas_fill_17rocblas_diagonal_T1_iil.has_dyn_sized_stack, 0
	.set _ZN9rocsolver6v33100L18trti2_kernel_smallILi34EfPfEEv13rocblas_fill_17rocblas_diagonal_T1_iil.has_recursion, 0
	.set _ZN9rocsolver6v33100L18trti2_kernel_smallILi34EfPfEEv13rocblas_fill_17rocblas_diagonal_T1_iil.has_indirect_call, 0
	.section	.AMDGPU.csdata,"",@progbits
; Kernel info:
; codeLenInByte = 16376
; TotalNumSgprs: 51
; NumVgprs: 80
; ScratchSize: 144
; MemoryBound: 0
; FloatMode: 240
; IeeeMode: 1
; LDSByteSize: 280 bytes/workgroup (compile time only)
; SGPRBlocks: 6
; VGPRBlocks: 19
; NumSGPRsForWavesPerEU: 51
; NumVGPRsForWavesPerEU: 80
; Occupancy: 3
; WaveLimiterHint : 0
; COMPUTE_PGM_RSRC2:SCRATCH_EN: 1
; COMPUTE_PGM_RSRC2:USER_SGPR: 6
; COMPUTE_PGM_RSRC2:TRAP_HANDLER: 0
; COMPUTE_PGM_RSRC2:TGID_X_EN: 1
; COMPUTE_PGM_RSRC2:TGID_Y_EN: 0
; COMPUTE_PGM_RSRC2:TGID_Z_EN: 0
; COMPUTE_PGM_RSRC2:TIDIG_COMP_CNT: 0
	.section	.text._ZN9rocsolver6v33100L18trti2_kernel_smallILi35EfPfEEv13rocblas_fill_17rocblas_diagonal_T1_iil,"axG",@progbits,_ZN9rocsolver6v33100L18trti2_kernel_smallILi35EfPfEEv13rocblas_fill_17rocblas_diagonal_T1_iil,comdat
	.globl	_ZN9rocsolver6v33100L18trti2_kernel_smallILi35EfPfEEv13rocblas_fill_17rocblas_diagonal_T1_iil ; -- Begin function _ZN9rocsolver6v33100L18trti2_kernel_smallILi35EfPfEEv13rocblas_fill_17rocblas_diagonal_T1_iil
	.p2align	8
	.type	_ZN9rocsolver6v33100L18trti2_kernel_smallILi35EfPfEEv13rocblas_fill_17rocblas_diagonal_T1_iil,@function
_ZN9rocsolver6v33100L18trti2_kernel_smallILi35EfPfEEv13rocblas_fill_17rocblas_diagonal_T1_iil: ; @_ZN9rocsolver6v33100L18trti2_kernel_smallILi35EfPfEEv13rocblas_fill_17rocblas_diagonal_T1_iil
; %bb.0:
	s_add_u32 s0, s0, s7
	s_addc_u32 s1, s1, 0
	v_cmp_gt_u32_e32 vcc, 35, v0
	s_and_saveexec_b64 s[8:9], vcc
	s_cbranch_execz .LBB34_670
; %bb.1:
	s_load_dwordx8 s[8:15], s[4:5], 0x0
	s_ashr_i32 s7, s6, 31
	v_lshlrev_b32_e32 v71, 2, v0
	s_waitcnt lgkmcnt(0)
	s_ashr_i32 s5, s12, 31
	s_mov_b32 s4, s12
	s_mul_hi_u32 s12, s14, s6
	s_mul_i32 s7, s14, s7
	s_add_i32 s7, s12, s7
	s_mul_i32 s12, s15, s6
	s_add_i32 s7, s7, s12
	s_mul_i32 s6, s14, s6
	s_lshl_b64 s[6:7], s[6:7], 2
	s_add_u32 s6, s10, s6
	s_addc_u32 s7, s11, s7
	s_lshl_b64 s[4:5], s[4:5], 2
	s_add_u32 s4, s6, s4
	s_addc_u32 s5, s7, s5
	s_add_i32 s6, s13, s13
	v_add_u32_e32 v3, s6, v0
	v_ashrrev_i32_e32 v4, 31, v3
	v_lshlrev_b64 v[1:2], 2, v[3:4]
	v_add_u32_e32 v5, s13, v3
	v_mov_b32_e32 v4, s5
	v_add_co_u32_e32 v1, vcc, s4, v1
	v_ashrrev_i32_e32 v6, 31, v5
	v_addc_co_u32_e32 v2, vcc, v4, v2, vcc
	v_lshlrev_b64 v[3:4], 2, v[5:6]
	v_mov_b32_e32 v6, s5
	v_add_co_u32_e32 v3, vcc, s4, v3
	v_add_u32_e32 v5, s13, v5
	v_addc_co_u32_e32 v4, vcc, v6, v4, vcc
	v_ashrrev_i32_e32 v6, 31, v5
	v_lshlrev_b64 v[7:8], 2, v[5:6]
	v_add_u32_e32 v9, s13, v5
	v_mov_b32_e32 v6, s5
	v_add_co_u32_e32 v7, vcc, s4, v7
	v_ashrrev_i32_e32 v10, 31, v9
	v_addc_co_u32_e32 v8, vcc, v6, v8, vcc
	v_lshlrev_b64 v[5:6], 2, v[9:10]
	v_add_u32_e32 v11, s13, v9
	v_mov_b32_e32 v10, s5
	v_add_co_u32_e32 v5, vcc, s4, v5
	v_ashrrev_i32_e32 v12, 31, v11
	v_addc_co_u32_e32 v6, vcc, v10, v6, vcc
	v_lshlrev_b64 v[9:10], 2, v[11:12]
	v_mov_b32_e32 v12, s5
	v_add_co_u32_e32 v9, vcc, s4, v9
	v_add_u32_e32 v11, s13, v11
	v_addc_co_u32_e32 v10, vcc, v12, v10, vcc
	v_ashrrev_i32_e32 v12, 31, v11
	v_lshlrev_b64 v[13:14], 2, v[11:12]
	v_add_u32_e32 v15, s13, v11
	v_mov_b32_e32 v12, s5
	v_add_co_u32_e32 v13, vcc, s4, v13
	v_ashrrev_i32_e32 v16, 31, v15
	v_addc_co_u32_e32 v14, vcc, v12, v14, vcc
	v_lshlrev_b64 v[11:12], 2, v[15:16]
	v_add_u32_e32 v17, s13, v15
	v_mov_b32_e32 v16, s5
	v_add_co_u32_e32 v11, vcc, s4, v11
	v_ashrrev_i32_e32 v18, 31, v17
	v_addc_co_u32_e32 v12, vcc, v16, v12, vcc
	;; [unrolled: 6-line block ×3, first 2 shown]
	v_lshlrev_b64 v[17:18], 2, v[19:20]
	v_mov_b32_e32 v21, s5
	v_add_co_u32_e32 v17, vcc, s4, v17
	v_addc_co_u32_e32 v18, vcc, v21, v18, vcc
	v_add_u32_e32 v21, s13, v19
	v_ashrrev_i32_e32 v22, 31, v21
	v_lshlrev_b64 v[19:20], 2, v[21:22]
	v_mov_b32_e32 v23, s5
	v_add_co_u32_e32 v19, vcc, s4, v19
	v_addc_co_u32_e32 v20, vcc, v23, v20, vcc
	v_add_u32_e32 v23, s13, v21
	v_ashrrev_i32_e32 v24, 31, v23
	;; [unrolled: 6-line block ×23, first 2 shown]
	v_lshlrev_b64 v[63:64], 2, v[65:66]
	v_add_u32_e32 v65, s13, v65
	v_ashrrev_i32_e32 v66, 31, v65
	v_mov_b32_e32 v67, s5
	v_add_co_u32_e32 v63, vcc, s4, v63
	v_lshlrev_b64 v[65:66], 2, v[65:66]
	v_addc_co_u32_e32 v64, vcc, v67, v64, vcc
	global_load_dword v72, v71, s[4:5]
	v_add_co_u32_e32 v65, vcc, s4, v65
	v_addc_co_u32_e32 v66, vcc, v67, v66, vcc
	v_mov_b32_e32 v68, s5
	v_add_co_u32_e32 v67, vcc, s4, v71
	s_ashr_i32 s5, s13, 31
	s_mov_b32 s4, s13
	v_addc_co_u32_e32 v68, vcc, 0, v68, vcc
	s_lshl_b64 s[4:5], s[4:5], 2
	v_mov_b32_e32 v70, s5
	v_add_co_u32_e32 v69, vcc, s4, v67
	v_addc_co_u32_e32 v70, vcc, v68, v70, vcc
	global_load_dword v73, v[69:70], off
	global_load_dword v74, v[1:2], off
	;; [unrolled: 1-line block ×6, first 2 shown]
	s_cmpk_lg_i32 s9, 0x84
	s_cselect_b64 s[10:11], -1, 0
	s_cmpk_eq_i32 s9, 0x84
	s_waitcnt vmcnt(6)
	buffer_store_dword v72, off, s[0:3], 0
	global_load_dword v72, v[9:10], off
	s_nop 0
	global_load_dword v79, v[13:14], off
	global_load_dword v80, v[11:12], off
	s_waitcnt vmcnt(9)
	buffer_store_dword v73, off, s[0:3], 0 offset:4
	s_waitcnt vmcnt(9)
	buffer_store_dword v74, off, s[0:3], 0 offset:8
	;; [unrolled: 2-line block ×5, first 2 shown]
	global_load_dword v73, v[15:16], off
	global_load_dword v74, v[17:18], off
	;; [unrolled: 1-line block ×4, first 2 shown]
	s_waitcnt vmcnt(11)
	buffer_store_dword v72, off, s[0:3], 0 offset:24
	s_waitcnt vmcnt(11)
	buffer_store_dword v79, off, s[0:3], 0 offset:28
	;; [unrolled: 2-line block ×3, first 2 shown]
	global_load_dword v72, v[23:24], off
	global_load_dword v77, v[25:26], off
	;; [unrolled: 1-line block ×3, first 2 shown]
	s_nop 0
	global_load_dword v80, v[29:30], off
	s_waitcnt vmcnt(10)
	buffer_store_dword v73, off, s[0:3], 0 offset:36
	s_waitcnt vmcnt(10)
	buffer_store_dword v74, off, s[0:3], 0 offset:40
	;; [unrolled: 2-line block ×4, first 2 shown]
	global_load_dword v73, v[31:32], off
	global_load_dword v74, v[33:34], off
	global_load_dword v75, v[35:36], off
	s_waitcnt vmcnt(10)
	buffer_store_dword v72, off, s[0:3], 0 offset:52
	s_waitcnt vmcnt(10)
	buffer_store_dword v77, off, s[0:3], 0 offset:56
	s_waitcnt vmcnt(10)
	buffer_store_dword v79, off, s[0:3], 0 offset:60
	s_waitcnt vmcnt(10)
	buffer_store_dword v80, off, s[0:3], 0 offset:64
	global_load_dword v72, v[37:38], off
	global_load_dword v76, v[39:40], off
	;; [unrolled: 1-line block ×4, first 2 shown]
	s_nop 0
	global_load_dword v80, v[45:46], off
	s_waitcnt vmcnt(11)
	buffer_store_dword v73, off, s[0:3], 0 offset:68
	s_waitcnt vmcnt(11)
	buffer_store_dword v74, off, s[0:3], 0 offset:72
	;; [unrolled: 2-line block ×3, first 2 shown]
	global_load_dword v73, v[47:48], off
	global_load_dword v74, v[49:50], off
	s_waitcnt vmcnt(9)
	buffer_store_dword v72, off, s[0:3], 0 offset:80
	s_waitcnt vmcnt(9)
	buffer_store_dword v76, off, s[0:3], 0 offset:84
	;; [unrolled: 2-line block ×5, first 2 shown]
	global_load_dword v72, v[51:52], off
	global_load_dword v75, v[53:54], off
	global_load_dword v76, v[55:56], off
	global_load_dword v77, v[57:58], off
	global_load_dword v79, v[59:60], off
	global_load_dword v80, v[61:62], off
	s_waitcnt vmcnt(12)
	buffer_store_dword v73, off, s[0:3], 0 offset:100
	s_waitcnt vmcnt(12)
	buffer_store_dword v74, off, s[0:3], 0 offset:104
	global_load_dword v73, v[63:64], off
	s_waitcnt vmcnt(8)
	buffer_store_dword v72, off, s[0:3], 0 offset:108
	s_waitcnt vmcnt(8)
	buffer_store_dword v75, off, s[0:3], 0 offset:112
	;; [unrolled: 2-line block ×7, first 2 shown]
	buffer_store_dword v78, off, s[0:3], 0 offset:136
	v_mov_b32_e32 v72, -1.0
	s_cbranch_scc1 .LBB34_3
; %bb.2:
	v_mov_b32_e32 v72, 0
	v_lshl_add_u32 v72, v0, 2, v72
	buffer_load_dword v73, v72, s[0:3], 0 offen
	s_waitcnt vmcnt(0)
	v_div_scale_f32 v74, s[4:5], v73, v73, 1.0
	v_div_scale_f32 v75, vcc, 1.0, v73, 1.0
	v_rcp_f32_e32 v76, v74
	v_fma_f32 v77, -v74, v76, 1.0
	v_fmac_f32_e32 v76, v77, v76
	v_mul_f32_e32 v77, v75, v76
	v_fma_f32 v78, -v74, v77, v75
	v_fmac_f32_e32 v77, v78, v76
	v_fma_f32 v74, -v74, v77, v75
	v_div_fmas_f32 v74, v74, v76, v77
	v_div_fixup_f32 v73, v74, v73, 1.0
	buffer_store_dword v73, v72, s[0:3], 0 offen
	v_xor_b32_e32 v72, 0x80000000, v73
.LBB34_3:
	ds_write_b32 v71, v72
	s_cmpk_eq_i32 s8, 0x79
	v_add_u32_e32 v72, 0x90, v71
	v_mov_b32_e32 v73, v71
	s_mov_b64 s[4:5], -1
	s_cbranch_scc1 .LBB34_337
; %bb.4:
	buffer_load_dword v74, off, s[0:3], 0 offset:132
	s_movk_i32 s12, 0x44
	s_movk_i32 s13, 0x48
	;; [unrolled: 1-line block ×16, first 2 shown]
	v_cmp_eq_u32_e64 s[4:5], 34, v0
	s_waitcnt vmcnt(0)
	ds_write_b32 v72, v74
	s_waitcnt lgkmcnt(0)
	; wave barrier
	s_and_saveexec_b64 s[6:7], s[4:5]
	s_cbranch_execz .LBB34_10
; %bb.5:
	s_and_b64 vcc, exec, s[10:11]
	s_cbranch_vccz .LBB34_7
; %bb.6:
	buffer_load_dword v74, v73, s[0:3], 0 offen
	ds_read_b32 v75, v72
	s_waitcnt vmcnt(0) lgkmcnt(0)
	v_mul_f32_e32 v74, v74, v75
	s_cbranch_execz .LBB34_8
	s_branch .LBB34_9
.LBB34_7:
                                        ; implicit-def: $vgpr74
.LBB34_8:
	ds_read_b32 v74, v72
.LBB34_9:
	v_mov_b32_e32 v75, 0
	ds_read_b32 v75, v75 offset:132
	s_waitcnt lgkmcnt(0)
	v_mul_f32_e32 v74, v74, v75
	buffer_store_dword v74, off, s[0:3], 0 offset:132
.LBB34_10:
	s_or_b64 exec, exec, s[6:7]
	buffer_load_dword v74, off, s[0:3], 0 offset:128
	s_or_b32 s14, 0, 4
	s_or_b32 s15, 0, 8
	;; [unrolled: 1-line block ×3, first 2 shown]
	s_mov_b32 s17, 16
	s_mov_b32 s18, 20
	;; [unrolled: 1-line block ×15, first 2 shown]
	v_cmp_lt_u32_e64 s[6:7], 32, v0
	s_waitcnt vmcnt(0)
	ds_write_b32 v72, v74
	s_waitcnt lgkmcnt(0)
	; wave barrier
	s_and_saveexec_b64 s[8:9], s[6:7]
	s_cbranch_execz .LBB34_16
; %bb.11:
	s_andn2_b64 vcc, exec, s[10:11]
	s_cbranch_vccnz .LBB34_13
; %bb.12:
	buffer_load_dword v74, v73, s[0:3], 0 offen
	ds_read_b32 v75, v72
	s_waitcnt vmcnt(0) lgkmcnt(0)
	v_mul_f32_e32 v74, v74, v75
	s_cbranch_execz .LBB34_14
	s_branch .LBB34_15
.LBB34_13:
                                        ; implicit-def: $vgpr74
.LBB34_14:
	ds_read_b32 v74, v72
.LBB34_15:
	buffer_load_dword v77, off, s[0:3], 0 offset:132
	v_mov_b32_e32 v75, 0
	ds_read2_b32 v[75:76], v75 offset0:32 offset1:69
	s_waitcnt vmcnt(0) lgkmcnt(0)
	v_fma_f32 v76, v77, v76, v74
	v_cndmask_b32_e64 v74, v74, v76, s[4:5]
	v_mul_f32_e32 v74, v74, v75
	buffer_store_dword v74, off, s[0:3], 0 offset:128
.LBB34_16:
	s_or_b64 exec, exec, s[8:9]
	buffer_load_dword v74, off, s[0:3], 0 offset:124
	v_cmp_lt_u32_e64 s[4:5], 31, v0
	s_waitcnt vmcnt(0)
	ds_write_b32 v72, v74
	s_waitcnt lgkmcnt(0)
	; wave barrier
	s_and_saveexec_b64 s[8:9], s[4:5]
	s_cbranch_execz .LBB34_26
; %bb.17:
	s_andn2_b64 vcc, exec, s[10:11]
	s_cbranch_vccnz .LBB34_19
; %bb.18:
	buffer_load_dword v74, v73, s[0:3], 0 offen
	ds_read_b32 v75, v72
	s_waitcnt vmcnt(0) lgkmcnt(0)
	v_mul_f32_e32 v74, v74, v75
	s_cbranch_execz .LBB34_20
	s_branch .LBB34_21
.LBB34_19:
                                        ; implicit-def: $vgpr74
.LBB34_20:
	ds_read_b32 v74, v72
.LBB34_21:
	s_and_saveexec_b64 s[12:13], s[6:7]
	s_cbranch_execz .LBB34_25
; %bb.22:
	v_subrev_u32_e32 v75, 32, v0
	s_movk_i32 s47, 0x110
	s_mov_b64 s[6:7], 0
.LBB34_23:                              ; =>This Inner Loop Header: Depth=1
	v_mov_b32_e32 v76, s46
	buffer_load_dword v76, v76, s[0:3], 0 offen
	v_mov_b32_e32 v77, s47
	ds_read_b32 v77, v77
	v_add_u32_e32 v75, -1, v75
	s_add_i32 s47, s47, 4
	s_add_i32 s46, s46, 4
	v_cmp_eq_u32_e32 vcc, 0, v75
	s_or_b64 s[6:7], vcc, s[6:7]
	s_waitcnt vmcnt(0) lgkmcnt(0)
	v_fmac_f32_e32 v74, v76, v77
	s_andn2_b64 exec, exec, s[6:7]
	s_cbranch_execnz .LBB34_23
; %bb.24:
	s_or_b64 exec, exec, s[6:7]
.LBB34_25:
	s_or_b64 exec, exec, s[12:13]
	v_mov_b32_e32 v75, 0
	ds_read_b32 v75, v75 offset:124
	s_waitcnt lgkmcnt(0)
	v_mul_f32_e32 v74, v74, v75
	buffer_store_dword v74, off, s[0:3], 0 offset:124
.LBB34_26:
	s_or_b64 exec, exec, s[8:9]
	buffer_load_dword v74, off, s[0:3], 0 offset:120
	v_cmp_lt_u32_e64 s[6:7], 30, v0
	s_waitcnt vmcnt(0)
	ds_write_b32 v72, v74
	s_waitcnt lgkmcnt(0)
	; wave barrier
	s_and_saveexec_b64 s[8:9], s[6:7]
	s_cbranch_execz .LBB34_36
; %bb.27:
	s_andn2_b64 vcc, exec, s[10:11]
	s_cbranch_vccnz .LBB34_29
; %bb.28:
	buffer_load_dword v74, v73, s[0:3], 0 offen
	ds_read_b32 v75, v72
	s_waitcnt vmcnt(0) lgkmcnt(0)
	v_mul_f32_e32 v74, v74, v75
	s_cbranch_execz .LBB34_30
	s_branch .LBB34_31
.LBB34_29:
                                        ; implicit-def: $vgpr74
.LBB34_30:
	ds_read_b32 v74, v72
.LBB34_31:
	s_and_saveexec_b64 s[12:13], s[4:5]
	s_cbranch_execz .LBB34_35
; %bb.32:
	v_subrev_u32_e32 v75, 31, v0
	s_movk_i32 s46, 0x10c
	s_mov_b64 s[4:5], 0
.LBB34_33:                              ; =>This Inner Loop Header: Depth=1
	v_mov_b32_e32 v76, s45
	buffer_load_dword v76, v76, s[0:3], 0 offen
	v_mov_b32_e32 v77, s46
	ds_read_b32 v77, v77
	v_add_u32_e32 v75, -1, v75
	s_add_i32 s46, s46, 4
	s_add_i32 s45, s45, 4
	v_cmp_eq_u32_e32 vcc, 0, v75
	s_or_b64 s[4:5], vcc, s[4:5]
	s_waitcnt vmcnt(0) lgkmcnt(0)
	v_fmac_f32_e32 v74, v76, v77
	s_andn2_b64 exec, exec, s[4:5]
	s_cbranch_execnz .LBB34_33
; %bb.34:
	s_or_b64 exec, exec, s[4:5]
.LBB34_35:
	s_or_b64 exec, exec, s[12:13]
	v_mov_b32_e32 v75, 0
	ds_read_b32 v75, v75 offset:120
	s_waitcnt lgkmcnt(0)
	v_mul_f32_e32 v74, v74, v75
	buffer_store_dword v74, off, s[0:3], 0 offset:120
.LBB34_36:
	;; [unrolled: 54-line block ×8, first 2 shown]
	s_or_b64 exec, exec, s[8:9]
	buffer_load_dword v74, off, s[0:3], 0 offset:92
	v_cmp_lt_u32_e64 s[4:5], 23, v0
	s_waitcnt vmcnt(0)
	ds_write_b32 v72, v74
	s_waitcnt lgkmcnt(0)
	; wave barrier
	s_and_saveexec_b64 s[8:9], s[4:5]
	s_cbranch_execz .LBB34_106
; %bb.97:
	s_andn2_b64 vcc, exec, s[10:11]
	s_cbranch_vccnz .LBB34_99
; %bb.98:
	buffer_load_dword v74, v73, s[0:3], 0 offen
	ds_read_b32 v75, v72
	s_waitcnt vmcnt(0) lgkmcnt(0)
	v_mul_f32_e32 v74, v74, v75
	s_cbranch_execz .LBB34_100
	s_branch .LBB34_101
.LBB34_99:
                                        ; implicit-def: $vgpr74
.LBB34_100:
	ds_read_b32 v74, v72
.LBB34_101:
	s_and_saveexec_b64 s[12:13], s[6:7]
	s_cbranch_execz .LBB34_105
; %bb.102:
	v_subrev_u32_e32 v75, 24, v0
	s_movk_i32 s39, 0xf0
	s_mov_b64 s[6:7], 0
.LBB34_103:                             ; =>This Inner Loop Header: Depth=1
	v_mov_b32_e32 v76, s38
	buffer_load_dword v76, v76, s[0:3], 0 offen
	v_mov_b32_e32 v77, s39
	ds_read_b32 v77, v77
	v_add_u32_e32 v75, -1, v75
	s_add_i32 s39, s39, 4
	s_add_i32 s38, s38, 4
	v_cmp_eq_u32_e32 vcc, 0, v75
	s_or_b64 s[6:7], vcc, s[6:7]
	s_waitcnt vmcnt(0) lgkmcnt(0)
	v_fmac_f32_e32 v74, v76, v77
	s_andn2_b64 exec, exec, s[6:7]
	s_cbranch_execnz .LBB34_103
; %bb.104:
	s_or_b64 exec, exec, s[6:7]
.LBB34_105:
	s_or_b64 exec, exec, s[12:13]
	v_mov_b32_e32 v75, 0
	ds_read_b32 v75, v75 offset:92
	s_waitcnt lgkmcnt(0)
	v_mul_f32_e32 v74, v74, v75
	buffer_store_dword v74, off, s[0:3], 0 offset:92
.LBB34_106:
	s_or_b64 exec, exec, s[8:9]
	buffer_load_dword v74, off, s[0:3], 0 offset:88
	v_cmp_lt_u32_e64 s[6:7], 22, v0
	s_waitcnt vmcnt(0)
	ds_write_b32 v72, v74
	s_waitcnt lgkmcnt(0)
	; wave barrier
	s_and_saveexec_b64 s[8:9], s[6:7]
	s_cbranch_execz .LBB34_116
; %bb.107:
	s_andn2_b64 vcc, exec, s[10:11]
	s_cbranch_vccnz .LBB34_109
; %bb.108:
	buffer_load_dword v74, v73, s[0:3], 0 offen
	ds_read_b32 v75, v72
	s_waitcnt vmcnt(0) lgkmcnt(0)
	v_mul_f32_e32 v74, v74, v75
	s_cbranch_execz .LBB34_110
	s_branch .LBB34_111
.LBB34_109:
                                        ; implicit-def: $vgpr74
.LBB34_110:
	ds_read_b32 v74, v72
.LBB34_111:
	s_and_saveexec_b64 s[12:13], s[4:5]
	s_cbranch_execz .LBB34_115
; %bb.112:
	v_subrev_u32_e32 v75, 23, v0
	s_movk_i32 s38, 0xec
	s_mov_b64 s[4:5], 0
.LBB34_113:                             ; =>This Inner Loop Header: Depth=1
	v_mov_b32_e32 v76, s37
	buffer_load_dword v76, v76, s[0:3], 0 offen
	v_mov_b32_e32 v77, s38
	ds_read_b32 v77, v77
	v_add_u32_e32 v75, -1, v75
	s_add_i32 s38, s38, 4
	s_add_i32 s37, s37, 4
	v_cmp_eq_u32_e32 vcc, 0, v75
	s_or_b64 s[4:5], vcc, s[4:5]
	s_waitcnt vmcnt(0) lgkmcnt(0)
	v_fmac_f32_e32 v74, v76, v77
	s_andn2_b64 exec, exec, s[4:5]
	s_cbranch_execnz .LBB34_113
; %bb.114:
	s_or_b64 exec, exec, s[4:5]
.LBB34_115:
	s_or_b64 exec, exec, s[12:13]
	v_mov_b32_e32 v75, 0
	ds_read_b32 v75, v75 offset:88
	s_waitcnt lgkmcnt(0)
	v_mul_f32_e32 v74, v74, v75
	buffer_store_dword v74, off, s[0:3], 0 offset:88
.LBB34_116:
	;; [unrolled: 54-line block ×8, first 2 shown]
	s_or_b64 exec, exec, s[8:9]
	buffer_load_dword v74, off, s[0:3], 0 offset:60
	v_cmp_lt_u32_e64 s[4:5], 15, v0
	s_waitcnt vmcnt(0)
	ds_write_b32 v72, v74
	s_waitcnt lgkmcnt(0)
	; wave barrier
	s_and_saveexec_b64 s[8:9], s[4:5]
	s_cbranch_execz .LBB34_186
; %bb.177:
	s_andn2_b64 vcc, exec, s[10:11]
	s_cbranch_vccnz .LBB34_179
; %bb.178:
	buffer_load_dword v74, v73, s[0:3], 0 offen
	ds_read_b32 v75, v72
	s_waitcnt vmcnt(0) lgkmcnt(0)
	v_mul_f32_e32 v74, v74, v75
	s_cbranch_execz .LBB34_180
	s_branch .LBB34_181
.LBB34_179:
                                        ; implicit-def: $vgpr74
.LBB34_180:
	ds_read_b32 v74, v72
.LBB34_181:
	s_and_saveexec_b64 s[12:13], s[6:7]
	s_cbranch_execz .LBB34_185
; %bb.182:
	v_add_u32_e32 v75, -16, v0
	s_movk_i32 s30, 0xd0
	s_mov_b64 s[6:7], 0
.LBB34_183:                             ; =>This Inner Loop Header: Depth=1
	v_mov_b32_e32 v76, s29
	buffer_load_dword v76, v76, s[0:3], 0 offen
	v_mov_b32_e32 v77, s30
	ds_read_b32 v77, v77
	v_add_u32_e32 v75, -1, v75
	s_add_i32 s30, s30, 4
	s_add_i32 s29, s29, 4
	v_cmp_eq_u32_e32 vcc, 0, v75
	s_or_b64 s[6:7], vcc, s[6:7]
	s_waitcnt vmcnt(0) lgkmcnt(0)
	v_fmac_f32_e32 v74, v76, v77
	s_andn2_b64 exec, exec, s[6:7]
	s_cbranch_execnz .LBB34_183
; %bb.184:
	s_or_b64 exec, exec, s[6:7]
.LBB34_185:
	s_or_b64 exec, exec, s[12:13]
	v_mov_b32_e32 v75, 0
	ds_read_b32 v75, v75 offset:60
	s_waitcnt lgkmcnt(0)
	v_mul_f32_e32 v74, v74, v75
	buffer_store_dword v74, off, s[0:3], 0 offset:60
.LBB34_186:
	s_or_b64 exec, exec, s[8:9]
	buffer_load_dword v74, off, s[0:3], 0 offset:56
	v_cmp_lt_u32_e64 s[6:7], 14, v0
	s_waitcnt vmcnt(0)
	ds_write_b32 v72, v74
	s_waitcnt lgkmcnt(0)
	; wave barrier
	s_and_saveexec_b64 s[8:9], s[6:7]
	s_cbranch_execz .LBB34_196
; %bb.187:
	s_andn2_b64 vcc, exec, s[10:11]
	s_cbranch_vccnz .LBB34_189
; %bb.188:
	buffer_load_dword v74, v73, s[0:3], 0 offen
	ds_read_b32 v75, v72
	s_waitcnt vmcnt(0) lgkmcnt(0)
	v_mul_f32_e32 v74, v74, v75
	s_cbranch_execz .LBB34_190
	s_branch .LBB34_191
.LBB34_189:
                                        ; implicit-def: $vgpr74
.LBB34_190:
	ds_read_b32 v74, v72
.LBB34_191:
	s_and_saveexec_b64 s[12:13], s[4:5]
	s_cbranch_execz .LBB34_195
; %bb.192:
	v_add_u32_e32 v75, -15, v0
	s_movk_i32 s29, 0xcc
	s_mov_b64 s[4:5], 0
.LBB34_193:                             ; =>This Inner Loop Header: Depth=1
	v_mov_b32_e32 v76, s28
	buffer_load_dword v76, v76, s[0:3], 0 offen
	v_mov_b32_e32 v77, s29
	ds_read_b32 v77, v77
	v_add_u32_e32 v75, -1, v75
	s_add_i32 s29, s29, 4
	s_add_i32 s28, s28, 4
	v_cmp_eq_u32_e32 vcc, 0, v75
	s_or_b64 s[4:5], vcc, s[4:5]
	s_waitcnt vmcnt(0) lgkmcnt(0)
	v_fmac_f32_e32 v74, v76, v77
	s_andn2_b64 exec, exec, s[4:5]
	s_cbranch_execnz .LBB34_193
; %bb.194:
	s_or_b64 exec, exec, s[4:5]
.LBB34_195:
	s_or_b64 exec, exec, s[12:13]
	v_mov_b32_e32 v75, 0
	ds_read_b32 v75, v75 offset:56
	s_waitcnt lgkmcnt(0)
	v_mul_f32_e32 v74, v74, v75
	buffer_store_dword v74, off, s[0:3], 0 offset:56
.LBB34_196:
	;; [unrolled: 54-line block ×15, first 2 shown]
	s_or_b64 exec, exec, s[8:9]
	buffer_load_dword v74, off, s[0:3], 0
	v_cmp_ne_u32_e32 vcc, 0, v0
	s_waitcnt vmcnt(0)
	ds_write_b32 v72, v74
	s_waitcnt lgkmcnt(0)
	; wave barrier
	s_and_saveexec_b64 s[6:7], vcc
	s_cbranch_execz .LBB34_336
; %bb.327:
	s_andn2_b64 vcc, exec, s[10:11]
	s_cbranch_vccnz .LBB34_329
; %bb.328:
	buffer_load_dword v74, v73, s[0:3], 0 offen
	ds_read_b32 v75, v72
	s_waitcnt vmcnt(0) lgkmcnt(0)
	v_mul_f32_e32 v74, v74, v75
	s_cbranch_execz .LBB34_330
	s_branch .LBB34_331
.LBB34_329:
                                        ; implicit-def: $vgpr74
.LBB34_330:
	ds_read_b32 v74, v72
.LBB34_331:
	s_and_saveexec_b64 s[8:9], s[4:5]
	s_cbranch_execz .LBB34_335
; %bb.332:
	v_add_u32_e32 v75, -1, v0
	s_movk_i32 s12, 0x94
	s_mov_b64 s[4:5], 0
.LBB34_333:                             ; =>This Inner Loop Header: Depth=1
	v_mov_b32_e32 v76, s14
	buffer_load_dword v76, v76, s[0:3], 0 offen
	v_mov_b32_e32 v77, s12
	ds_read_b32 v77, v77
	v_add_u32_e32 v75, -1, v75
	s_add_i32 s12, s12, 4
	s_add_i32 s14, s14, 4
	v_cmp_eq_u32_e32 vcc, 0, v75
	s_or_b64 s[4:5], vcc, s[4:5]
	s_waitcnt vmcnt(0) lgkmcnt(0)
	v_fmac_f32_e32 v74, v76, v77
	s_andn2_b64 exec, exec, s[4:5]
	s_cbranch_execnz .LBB34_333
; %bb.334:
	s_or_b64 exec, exec, s[4:5]
.LBB34_335:
	s_or_b64 exec, exec, s[8:9]
	v_mov_b32_e32 v75, 0
	ds_read_b32 v75, v75
	s_waitcnt lgkmcnt(0)
	v_mul_f32_e32 v74, v74, v75
	buffer_store_dword v74, off, s[0:3], 0
.LBB34_336:
	s_or_b64 exec, exec, s[6:7]
	s_mov_b64 s[4:5], 0
.LBB34_337:
	s_and_b64 vcc, exec, s[4:5]
	s_cbranch_vccz .LBB34_669
; %bb.338:
	buffer_load_dword v74, off, s[0:3], 0 offset:4
	v_cmp_eq_u32_e64 s[6:7], 0, v0
	s_waitcnt vmcnt(0)
	ds_write_b32 v72, v74
	s_waitcnt lgkmcnt(0)
	; wave barrier
	s_and_saveexec_b64 s[4:5], s[6:7]
	s_cbranch_execz .LBB34_344
; %bb.339:
	s_and_b64 vcc, exec, s[10:11]
	s_cbranch_vccz .LBB34_341
; %bb.340:
	buffer_load_dword v74, v73, s[0:3], 0 offen
	ds_read_b32 v75, v72
	s_waitcnt vmcnt(0) lgkmcnt(0)
	v_mul_f32_e32 v74, v74, v75
	s_cbranch_execz .LBB34_342
	s_branch .LBB34_343
.LBB34_341:
                                        ; implicit-def: $vgpr74
.LBB34_342:
	ds_read_b32 v74, v72
.LBB34_343:
	v_mov_b32_e32 v75, 0
	ds_read_b32 v75, v75 offset:4
	s_waitcnt lgkmcnt(0)
	v_mul_f32_e32 v74, v74, v75
	buffer_store_dword v74, off, s[0:3], 0 offset:4
.LBB34_344:
	s_or_b64 exec, exec, s[4:5]
	buffer_load_dword v74, off, s[0:3], 0 offset:8
	v_cndmask_b32_e64 v75, 0, 1, s[10:11]
	v_cmp_gt_u32_e32 vcc, 2, v0
	v_cmp_ne_u32_e64 s[4:5], 1, v75
	s_waitcnt vmcnt(0)
	ds_write_b32 v72, v74
	s_waitcnt lgkmcnt(0)
	; wave barrier
	s_and_saveexec_b64 s[8:9], vcc
	s_cbranch_execz .LBB34_350
; %bb.345:
	s_and_b64 vcc, exec, s[4:5]
	s_cbranch_vccnz .LBB34_347
; %bb.346:
	buffer_load_dword v74, v73, s[0:3], 0 offen
	ds_read_b32 v75, v72
	s_waitcnt vmcnt(0) lgkmcnt(0)
	v_mul_f32_e32 v74, v74, v75
	s_cbranch_execz .LBB34_348
	s_branch .LBB34_349
.LBB34_347:
                                        ; implicit-def: $vgpr74
.LBB34_348:
	ds_read_b32 v74, v72
.LBB34_349:
	buffer_load_dword v77, off, s[0:3], 0 offset:4
	v_mov_b32_e32 v75, 0
	ds_read2_b32 v[75:76], v75 offset0:2 offset1:37
	s_waitcnt vmcnt(0) lgkmcnt(0)
	v_fma_f32 v76, v77, v76, v74
	v_cndmask_b32_e64 v74, v74, v76, s[6:7]
	v_mul_f32_e32 v74, v74, v75
	buffer_store_dword v74, off, s[0:3], 0 offset:8
.LBB34_350:
	s_or_b64 exec, exec, s[8:9]
	buffer_load_dword v74, off, s[0:3], 0 offset:12
	v_cmp_gt_u32_e32 vcc, 3, v0
	s_waitcnt vmcnt(0)
	ds_write_b32 v72, v74
	s_waitcnt lgkmcnt(0)
	; wave barrier
	s_and_saveexec_b64 s[8:9], vcc
	s_cbranch_execz .LBB34_358
; %bb.351:
	s_and_b64 vcc, exec, s[4:5]
	s_cbranch_vccnz .LBB34_353
; %bb.352:
	buffer_load_dword v74, v73, s[0:3], 0 offen
	ds_read_b32 v75, v72
	s_waitcnt vmcnt(0) lgkmcnt(0)
	v_mul_f32_e32 v74, v74, v75
	s_cbranch_execz .LBB34_354
	s_branch .LBB34_355
.LBB34_353:
                                        ; implicit-def: $vgpr74
.LBB34_354:
	ds_read_b32 v74, v72
.LBB34_355:
	v_cmp_ne_u32_e32 vcc, 2, v0
	s_and_saveexec_b64 s[10:11], vcc
	s_cbranch_execz .LBB34_357
; %bb.356:
	buffer_load_dword v75, v73, s[0:3], 0 offen offset:4
	buffer_load_dword v76, off, s[0:3], 0 offset:8
	v_mov_b32_e32 v77, 0
	ds_read_b32 v78, v72 offset:4
	ds_read_b32 v77, v77 offset:152
	s_waitcnt vmcnt(1) lgkmcnt(1)
	v_fmac_f32_e32 v74, v75, v78
	s_waitcnt vmcnt(0) lgkmcnt(0)
	v_fma_f32 v75, v76, v77, v74
	v_cndmask_b32_e64 v74, v74, v75, s[6:7]
.LBB34_357:
	s_or_b64 exec, exec, s[10:11]
	v_mov_b32_e32 v75, 0
	ds_read_b32 v75, v75 offset:12
	s_waitcnt lgkmcnt(0)
	v_mul_f32_e32 v74, v74, v75
	buffer_store_dword v74, off, s[0:3], 0 offset:12
.LBB34_358:
	s_or_b64 exec, exec, s[8:9]
	buffer_load_dword v74, off, s[0:3], 0 offset:16
	v_cmp_gt_u32_e32 vcc, 4, v0
	s_waitcnt vmcnt(0)
	ds_write_b32 v72, v74
	s_waitcnt lgkmcnt(0)
	; wave barrier
	s_and_saveexec_b64 s[6:7], vcc
	s_cbranch_execz .LBB34_368
; %bb.359:
	s_and_b64 vcc, exec, s[4:5]
	s_cbranch_vccnz .LBB34_361
; %bb.360:
	buffer_load_dword v74, v73, s[0:3], 0 offen
	ds_read_b32 v75, v72
	s_waitcnt vmcnt(0) lgkmcnt(0)
	v_mul_f32_e32 v74, v74, v75
	s_cbranch_execz .LBB34_362
	s_branch .LBB34_363
.LBB34_361:
                                        ; implicit-def: $vgpr74
.LBB34_362:
	ds_read_b32 v74, v72
.LBB34_363:
	v_cmp_ne_u32_e32 vcc, 3, v0
	s_and_saveexec_b64 s[8:9], vcc
	s_cbranch_execz .LBB34_367
; %bb.364:
	s_mov_b32 s10, 0
	v_add_u32_e32 v75, 0x94, v71
	v_add3_u32 v76, v71, s10, 4
	s_mov_b64 s[10:11], 0
	v_mov_b32_e32 v77, v0
.LBB34_365:                             ; =>This Inner Loop Header: Depth=1
	buffer_load_dword v78, v76, s[0:3], 0 offen
	ds_read_b32 v79, v75
	v_add_u32_e32 v77, 1, v77
	v_cmp_lt_u32_e32 vcc, 2, v77
	v_add_u32_e32 v75, 4, v75
	v_add_u32_e32 v76, 4, v76
	s_or_b64 s[10:11], vcc, s[10:11]
	s_waitcnt vmcnt(0) lgkmcnt(0)
	v_fmac_f32_e32 v74, v78, v79
	s_andn2_b64 exec, exec, s[10:11]
	s_cbranch_execnz .LBB34_365
; %bb.366:
	s_or_b64 exec, exec, s[10:11]
.LBB34_367:
	s_or_b64 exec, exec, s[8:9]
	v_mov_b32_e32 v75, 0
	ds_read_b32 v75, v75 offset:16
	s_waitcnt lgkmcnt(0)
	v_mul_f32_e32 v74, v74, v75
	buffer_store_dword v74, off, s[0:3], 0 offset:16
.LBB34_368:
	s_or_b64 exec, exec, s[6:7]
	buffer_load_dword v74, off, s[0:3], 0 offset:20
	v_cmp_gt_u32_e32 vcc, 5, v0
	s_waitcnt vmcnt(0)
	ds_write_b32 v72, v74
	s_waitcnt lgkmcnt(0)
	; wave barrier
	s_and_saveexec_b64 s[6:7], vcc
	s_cbranch_execz .LBB34_378
; %bb.369:
	s_and_b64 vcc, exec, s[4:5]
	s_cbranch_vccnz .LBB34_371
; %bb.370:
	buffer_load_dword v74, v73, s[0:3], 0 offen
	ds_read_b32 v75, v72
	s_waitcnt vmcnt(0) lgkmcnt(0)
	v_mul_f32_e32 v74, v74, v75
	s_cbranch_execz .LBB34_372
	s_branch .LBB34_373
.LBB34_371:
                                        ; implicit-def: $vgpr74
.LBB34_372:
	ds_read_b32 v74, v72
.LBB34_373:
	v_cmp_ne_u32_e32 vcc, 4, v0
	s_and_saveexec_b64 s[8:9], vcc
	s_cbranch_execz .LBB34_377
; %bb.374:
	s_mov_b32 s10, 0
	v_add_u32_e32 v75, 0x94, v71
	v_add3_u32 v76, v71, s10, 4
	s_mov_b64 s[10:11], 0
	v_mov_b32_e32 v77, v0
.LBB34_375:                             ; =>This Inner Loop Header: Depth=1
	buffer_load_dword v78, v76, s[0:3], 0 offen
	ds_read_b32 v79, v75
	v_add_u32_e32 v77, 1, v77
	v_cmp_lt_u32_e32 vcc, 3, v77
	v_add_u32_e32 v75, 4, v75
	v_add_u32_e32 v76, 4, v76
	s_or_b64 s[10:11], vcc, s[10:11]
	s_waitcnt vmcnt(0) lgkmcnt(0)
	v_fmac_f32_e32 v74, v78, v79
	s_andn2_b64 exec, exec, s[10:11]
	s_cbranch_execnz .LBB34_375
; %bb.376:
	s_or_b64 exec, exec, s[10:11]
.LBB34_377:
	s_or_b64 exec, exec, s[8:9]
	v_mov_b32_e32 v75, 0
	ds_read_b32 v75, v75 offset:20
	s_waitcnt lgkmcnt(0)
	v_mul_f32_e32 v74, v74, v75
	buffer_store_dword v74, off, s[0:3], 0 offset:20
.LBB34_378:
	;; [unrolled: 55-line block ×29, first 2 shown]
	s_or_b64 exec, exec, s[6:7]
	buffer_load_dword v74, off, s[0:3], 0 offset:132
	v_cmp_gt_u32_e64 s[6:7], 33, v0
	s_waitcnt vmcnt(0)
	ds_write_b32 v72, v74
	s_waitcnt lgkmcnt(0)
	; wave barrier
	s_and_saveexec_b64 s[8:9], s[6:7]
	s_cbranch_execz .LBB34_658
; %bb.649:
	s_and_b64 vcc, exec, s[4:5]
	s_cbranch_vccnz .LBB34_651
; %bb.650:
	buffer_load_dword v74, v73, s[0:3], 0 offen
	ds_read_b32 v75, v72
	s_waitcnt vmcnt(0) lgkmcnt(0)
	v_mul_f32_e32 v74, v74, v75
	s_cbranch_execz .LBB34_652
	s_branch .LBB34_653
.LBB34_651:
                                        ; implicit-def: $vgpr74
.LBB34_652:
	ds_read_b32 v74, v72
.LBB34_653:
	v_cmp_ne_u32_e32 vcc, 32, v0
	s_and_saveexec_b64 s[10:11], vcc
	s_cbranch_execz .LBB34_657
; %bb.654:
	s_mov_b32 s12, 0
	v_add_u32_e32 v75, 0x94, v71
	v_add3_u32 v76, v71, s12, 4
	s_mov_b64 s[12:13], 0
	v_mov_b32_e32 v77, v0
.LBB34_655:                             ; =>This Inner Loop Header: Depth=1
	buffer_load_dword v78, v76, s[0:3], 0 offen
	ds_read_b32 v79, v75
	v_add_u32_e32 v77, 1, v77
	v_cmp_lt_u32_e32 vcc, 31, v77
	v_add_u32_e32 v75, 4, v75
	v_add_u32_e32 v76, 4, v76
	s_or_b64 s[12:13], vcc, s[12:13]
	s_waitcnt vmcnt(0) lgkmcnt(0)
	v_fmac_f32_e32 v74, v78, v79
	s_andn2_b64 exec, exec, s[12:13]
	s_cbranch_execnz .LBB34_655
; %bb.656:
	s_or_b64 exec, exec, s[12:13]
.LBB34_657:
	s_or_b64 exec, exec, s[10:11]
	v_mov_b32_e32 v75, 0
	ds_read_b32 v75, v75 offset:132
	s_waitcnt lgkmcnt(0)
	v_mul_f32_e32 v74, v74, v75
	buffer_store_dword v74, off, s[0:3], 0 offset:132
.LBB34_658:
	s_or_b64 exec, exec, s[8:9]
	buffer_load_dword v74, off, s[0:3], 0 offset:136
	v_cmp_ne_u32_e32 vcc, 34, v0
	s_waitcnt vmcnt(0)
	ds_write_b32 v72, v74
	s_waitcnt lgkmcnt(0)
	; wave barrier
	s_and_saveexec_b64 s[8:9], vcc
	s_cbranch_execz .LBB34_668
; %bb.659:
	s_and_b64 vcc, exec, s[4:5]
	s_cbranch_vccnz .LBB34_661
; %bb.660:
	buffer_load_dword v73, v73, s[0:3], 0 offen
	ds_read_b32 v74, v72
	s_waitcnt vmcnt(0) lgkmcnt(0)
	v_mul_f32_e32 v73, v73, v74
	s_cbranch_execz .LBB34_662
	s_branch .LBB34_663
.LBB34_661:
                                        ; implicit-def: $vgpr73
.LBB34_662:
	ds_read_b32 v73, v72
.LBB34_663:
	s_and_saveexec_b64 s[4:5], s[6:7]
	s_cbranch_execz .LBB34_667
; %bb.664:
	s_mov_b32 s6, 0
	v_add_u32_e32 v72, 0x94, v71
	v_add3_u32 v71, v71, s6, 4
	s_mov_b64 s[6:7], 0
.LBB34_665:                             ; =>This Inner Loop Header: Depth=1
	buffer_load_dword v74, v71, s[0:3], 0 offen
	ds_read_b32 v75, v72
	v_add_u32_e32 v0, 1, v0
	v_cmp_lt_u32_e32 vcc, 32, v0
	v_add_u32_e32 v72, 4, v72
	v_add_u32_e32 v71, 4, v71
	s_or_b64 s[6:7], vcc, s[6:7]
	s_waitcnt vmcnt(0) lgkmcnt(0)
	v_fmac_f32_e32 v73, v74, v75
	s_andn2_b64 exec, exec, s[6:7]
	s_cbranch_execnz .LBB34_665
; %bb.666:
	s_or_b64 exec, exec, s[6:7]
.LBB34_667:
	s_or_b64 exec, exec, s[4:5]
	v_mov_b32_e32 v0, 0
	ds_read_b32 v0, v0 offset:136
	s_waitcnt lgkmcnt(0)
	v_mul_f32_e32 v0, v73, v0
	buffer_store_dword v0, off, s[0:3], 0 offset:136
.LBB34_668:
	s_or_b64 exec, exec, s[8:9]
.LBB34_669:
	buffer_load_dword v0, off, s[0:3], 0
	buffer_load_dword v71, off, s[0:3], 0 offset:4
	buffer_load_dword v72, off, s[0:3], 0 offset:8
	;; [unrolled: 1-line block ×8, first 2 shown]
	s_waitcnt vmcnt(8)
	global_store_dword v[67:68], v0, off
	s_waitcnt vmcnt(8)
	global_store_dword v[69:70], v71, off
	buffer_load_dword v0, off, s[0:3], 0 offset:36
	buffer_load_dword v67, off, s[0:3], 0 offset:40
	;; [unrolled: 1-line block ×3, first 2 shown]
	s_nop 0
	buffer_load_dword v69, off, s[0:3], 0 offset:48
	buffer_load_dword v70, off, s[0:3], 0 offset:52
	;; [unrolled: 1-line block ×4, first 2 shown]
	s_waitcnt vmcnt(15)
	global_store_dword v[1:2], v72, off
	s_waitcnt vmcnt(15)
	global_store_dword v[3:4], v73, off
	;; [unrolled: 2-line block ×3, first 2 shown]
	buffer_load_dword v1, off, s[0:3], 0 offset:64
	buffer_load_dword v2, off, s[0:3], 0 offset:68
	;; [unrolled: 1-line block ×4, first 2 shown]
	s_nop 0
	buffer_load_dword v7, off, s[0:3], 0 offset:80
	buffer_load_dword v8, off, s[0:3], 0 offset:84
	;; [unrolled: 1-line block ×4, first 2 shown]
	s_waitcnt vmcnt(23)
	global_store_dword v[5:6], v75, off
	s_waitcnt vmcnt(23)
	global_store_dword v[9:10], v76, off
	;; [unrolled: 2-line block ×3, first 2 shown]
	buffer_load_dword v5, off, s[0:3], 0 offset:96
	buffer_load_dword v6, off, s[0:3], 0 offset:100
	;; [unrolled: 1-line block ×4, first 2 shown]
	s_nop 0
	buffer_load_dword v13, off, s[0:3], 0 offset:112
	buffer_load_dword v14, off, s[0:3], 0 offset:116
	;; [unrolled: 1-line block ×4, first 2 shown]
	s_waitcnt vmcnt(31)
	global_store_dword v[11:12], v78, off
	buffer_load_dword v11, off, s[0:3], 0 offset:128
	s_nop 0
	buffer_load_dword v12, off, s[0:3], 0 offset:132
	buffer_load_dword v76, off, s[0:3], 0 offset:136
	s_waitcnt vmcnt(32)
	global_store_dword v[15:16], v0, off
	s_waitcnt vmcnt(32)
	global_store_dword v[17:18], v67, off
	;; [unrolled: 2-line block ×26, first 2 shown]
.LBB34_670:
	s_endpgm
	.section	.rodata,"a",@progbits
	.p2align	6, 0x0
	.amdhsa_kernel _ZN9rocsolver6v33100L18trti2_kernel_smallILi35EfPfEEv13rocblas_fill_17rocblas_diagonal_T1_iil
		.amdhsa_group_segment_fixed_size 284
		.amdhsa_private_segment_fixed_size 144
		.amdhsa_kernarg_size 32
		.amdhsa_user_sgpr_count 6
		.amdhsa_user_sgpr_private_segment_buffer 1
		.amdhsa_user_sgpr_dispatch_ptr 0
		.amdhsa_user_sgpr_queue_ptr 0
		.amdhsa_user_sgpr_kernarg_segment_ptr 1
		.amdhsa_user_sgpr_dispatch_id 0
		.amdhsa_user_sgpr_flat_scratch_init 0
		.amdhsa_user_sgpr_private_segment_size 0
		.amdhsa_uses_dynamic_stack 0
		.amdhsa_system_sgpr_private_segment_wavefront_offset 1
		.amdhsa_system_sgpr_workgroup_id_x 1
		.amdhsa_system_sgpr_workgroup_id_y 0
		.amdhsa_system_sgpr_workgroup_id_z 0
		.amdhsa_system_sgpr_workgroup_info 0
		.amdhsa_system_vgpr_workitem_id 0
		.amdhsa_next_free_vgpr 81
		.amdhsa_next_free_sgpr 48
		.amdhsa_reserve_vcc 1
		.amdhsa_reserve_flat_scratch 0
		.amdhsa_float_round_mode_32 0
		.amdhsa_float_round_mode_16_64 0
		.amdhsa_float_denorm_mode_32 3
		.amdhsa_float_denorm_mode_16_64 3
		.amdhsa_dx10_clamp 1
		.amdhsa_ieee_mode 1
		.amdhsa_fp16_overflow 0
		.amdhsa_exception_fp_ieee_invalid_op 0
		.amdhsa_exception_fp_denorm_src 0
		.amdhsa_exception_fp_ieee_div_zero 0
		.amdhsa_exception_fp_ieee_overflow 0
		.amdhsa_exception_fp_ieee_underflow 0
		.amdhsa_exception_fp_ieee_inexact 0
		.amdhsa_exception_int_div_zero 0
	.end_amdhsa_kernel
	.section	.text._ZN9rocsolver6v33100L18trti2_kernel_smallILi35EfPfEEv13rocblas_fill_17rocblas_diagonal_T1_iil,"axG",@progbits,_ZN9rocsolver6v33100L18trti2_kernel_smallILi35EfPfEEv13rocblas_fill_17rocblas_diagonal_T1_iil,comdat
.Lfunc_end34:
	.size	_ZN9rocsolver6v33100L18trti2_kernel_smallILi35EfPfEEv13rocblas_fill_17rocblas_diagonal_T1_iil, .Lfunc_end34-_ZN9rocsolver6v33100L18trti2_kernel_smallILi35EfPfEEv13rocblas_fill_17rocblas_diagonal_T1_iil
                                        ; -- End function
	.set _ZN9rocsolver6v33100L18trti2_kernel_smallILi35EfPfEEv13rocblas_fill_17rocblas_diagonal_T1_iil.num_vgpr, 81
	.set _ZN9rocsolver6v33100L18trti2_kernel_smallILi35EfPfEEv13rocblas_fill_17rocblas_diagonal_T1_iil.num_agpr, 0
	.set _ZN9rocsolver6v33100L18trti2_kernel_smallILi35EfPfEEv13rocblas_fill_17rocblas_diagonal_T1_iil.numbered_sgpr, 48
	.set _ZN9rocsolver6v33100L18trti2_kernel_smallILi35EfPfEEv13rocblas_fill_17rocblas_diagonal_T1_iil.num_named_barrier, 0
	.set _ZN9rocsolver6v33100L18trti2_kernel_smallILi35EfPfEEv13rocblas_fill_17rocblas_diagonal_T1_iil.private_seg_size, 144
	.set _ZN9rocsolver6v33100L18trti2_kernel_smallILi35EfPfEEv13rocblas_fill_17rocblas_diagonal_T1_iil.uses_vcc, 1
	.set _ZN9rocsolver6v33100L18trti2_kernel_smallILi35EfPfEEv13rocblas_fill_17rocblas_diagonal_T1_iil.uses_flat_scratch, 0
	.set _ZN9rocsolver6v33100L18trti2_kernel_smallILi35EfPfEEv13rocblas_fill_17rocblas_diagonal_T1_iil.has_dyn_sized_stack, 0
	.set _ZN9rocsolver6v33100L18trti2_kernel_smallILi35EfPfEEv13rocblas_fill_17rocblas_diagonal_T1_iil.has_recursion, 0
	.set _ZN9rocsolver6v33100L18trti2_kernel_smallILi35EfPfEEv13rocblas_fill_17rocblas_diagonal_T1_iil.has_indirect_call, 0
	.section	.AMDGPU.csdata,"",@progbits
; Kernel info:
; codeLenInByte = 16876
; TotalNumSgprs: 52
; NumVgprs: 81
; ScratchSize: 144
; MemoryBound: 0
; FloatMode: 240
; IeeeMode: 1
; LDSByteSize: 284 bytes/workgroup (compile time only)
; SGPRBlocks: 6
; VGPRBlocks: 20
; NumSGPRsForWavesPerEU: 52
; NumVGPRsForWavesPerEU: 81
; Occupancy: 3
; WaveLimiterHint : 0
; COMPUTE_PGM_RSRC2:SCRATCH_EN: 1
; COMPUTE_PGM_RSRC2:USER_SGPR: 6
; COMPUTE_PGM_RSRC2:TRAP_HANDLER: 0
; COMPUTE_PGM_RSRC2:TGID_X_EN: 1
; COMPUTE_PGM_RSRC2:TGID_Y_EN: 0
; COMPUTE_PGM_RSRC2:TGID_Z_EN: 0
; COMPUTE_PGM_RSRC2:TIDIG_COMP_CNT: 0
	.section	.text._ZN9rocsolver6v33100L18trti2_kernel_smallILi36EfPfEEv13rocblas_fill_17rocblas_diagonal_T1_iil,"axG",@progbits,_ZN9rocsolver6v33100L18trti2_kernel_smallILi36EfPfEEv13rocblas_fill_17rocblas_diagonal_T1_iil,comdat
	.globl	_ZN9rocsolver6v33100L18trti2_kernel_smallILi36EfPfEEv13rocblas_fill_17rocblas_diagonal_T1_iil ; -- Begin function _ZN9rocsolver6v33100L18trti2_kernel_smallILi36EfPfEEv13rocblas_fill_17rocblas_diagonal_T1_iil
	.p2align	8
	.type	_ZN9rocsolver6v33100L18trti2_kernel_smallILi36EfPfEEv13rocblas_fill_17rocblas_diagonal_T1_iil,@function
_ZN9rocsolver6v33100L18trti2_kernel_smallILi36EfPfEEv13rocblas_fill_17rocblas_diagonal_T1_iil: ; @_ZN9rocsolver6v33100L18trti2_kernel_smallILi36EfPfEEv13rocblas_fill_17rocblas_diagonal_T1_iil
; %bb.0:
	s_add_u32 s0, s0, s7
	s_addc_u32 s1, s1, 0
	v_cmp_gt_u32_e32 vcc, 36, v0
	s_and_saveexec_b64 s[8:9], vcc
	s_cbranch_execz .LBB35_690
; %bb.1:
	s_load_dwordx8 s[8:15], s[4:5], 0x0
	s_ashr_i32 s7, s6, 31
	v_lshlrev_b32_e32 v73, 2, v0
	s_waitcnt lgkmcnt(0)
	s_ashr_i32 s5, s12, 31
	s_mov_b32 s4, s12
	s_mul_hi_u32 s12, s14, s6
	s_mul_i32 s7, s14, s7
	s_add_i32 s7, s12, s7
	s_mul_i32 s12, s15, s6
	s_add_i32 s7, s7, s12
	s_mul_i32 s6, s14, s6
	s_lshl_b64 s[6:7], s[6:7], 2
	s_add_u32 s6, s10, s6
	s_addc_u32 s7, s11, s7
	s_lshl_b64 s[4:5], s[4:5], 2
	s_add_u32 s4, s6, s4
	s_addc_u32 s5, s7, s5
	s_add_i32 s6, s13, s13
	v_add_u32_e32 v3, s6, v0
	v_ashrrev_i32_e32 v4, 31, v3
	v_lshlrev_b64 v[1:2], 2, v[3:4]
	v_add_u32_e32 v5, s13, v3
	v_mov_b32_e32 v4, s5
	v_add_co_u32_e32 v1, vcc, s4, v1
	v_ashrrev_i32_e32 v6, 31, v5
	v_addc_co_u32_e32 v2, vcc, v4, v2, vcc
	v_lshlrev_b64 v[3:4], 2, v[5:6]
	v_add_u32_e32 v7, s13, v5
	v_mov_b32_e32 v6, s5
	v_add_co_u32_e32 v3, vcc, s4, v3
	v_ashrrev_i32_e32 v8, 31, v7
	v_addc_co_u32_e32 v4, vcc, v6, v4, vcc
	v_lshlrev_b64 v[5:6], 2, v[7:8]
	v_mov_b32_e32 v8, s5
	v_add_co_u32_e32 v5, vcc, s4, v5
	v_add_u32_e32 v7, s13, v7
	v_addc_co_u32_e32 v6, vcc, v8, v6, vcc
	v_ashrrev_i32_e32 v8, 31, v7
	v_lshlrev_b64 v[9:10], 2, v[7:8]
	v_add_u32_e32 v11, s13, v7
	v_mov_b32_e32 v8, s5
	v_add_co_u32_e32 v9, vcc, s4, v9
	v_ashrrev_i32_e32 v12, 31, v11
	v_addc_co_u32_e32 v10, vcc, v8, v10, vcc
	v_lshlrev_b64 v[7:8], 2, v[11:12]
	v_mov_b32_e32 v12, s5
	v_add_co_u32_e32 v7, vcc, s4, v7
	v_add_u32_e32 v11, s13, v11
	v_addc_co_u32_e32 v8, vcc, v12, v8, vcc
	v_ashrrev_i32_e32 v12, 31, v11
	v_lshlrev_b64 v[13:14], 2, v[11:12]
	v_add_u32_e32 v15, s13, v11
	v_mov_b32_e32 v12, s5
	v_add_co_u32_e32 v13, vcc, s4, v13
	v_ashrrev_i32_e32 v16, 31, v15
	v_addc_co_u32_e32 v14, vcc, v12, v14, vcc
	v_lshlrev_b64 v[11:12], 2, v[15:16]
	v_add_u32_e32 v17, s13, v15
	v_mov_b32_e32 v16, s5
	v_add_co_u32_e32 v11, vcc, s4, v11
	v_ashrrev_i32_e32 v18, 31, v17
	v_addc_co_u32_e32 v12, vcc, v16, v12, vcc
	;; [unrolled: 6-line block ×3, first 2 shown]
	v_lshlrev_b64 v[17:18], 2, v[19:20]
	v_mov_b32_e32 v21, s5
	v_add_co_u32_e32 v17, vcc, s4, v17
	v_addc_co_u32_e32 v18, vcc, v21, v18, vcc
	v_add_u32_e32 v21, s13, v19
	v_ashrrev_i32_e32 v22, 31, v21
	v_lshlrev_b64 v[19:20], 2, v[21:22]
	v_mov_b32_e32 v23, s5
	v_add_co_u32_e32 v19, vcc, s4, v19
	v_addc_co_u32_e32 v20, vcc, v23, v20, vcc
	v_add_u32_e32 v23, s13, v21
	v_ashrrev_i32_e32 v24, 31, v23
	;; [unrolled: 6-line block ×9, first 2 shown]
	v_lshlrev_b64 v[35:36], 2, v[37:38]
	v_mov_b32_e32 v39, s5
	v_add_co_u32_e32 v35, vcc, s4, v35
	v_addc_co_u32_e32 v36, vcc, v39, v36, vcc
	v_add_u32_e32 v39, s13, v37
	global_load_dword v71, v73, s[4:5]
	v_ashrrev_i32_e32 v40, 31, v39
	v_lshlrev_b64 v[37:38], 2, v[39:40]
	v_mov_b32_e32 v41, s5
	v_add_co_u32_e32 v37, vcc, s4, v37
	v_addc_co_u32_e32 v38, vcc, v41, v38, vcc
	v_add_u32_e32 v41, s13, v39
	v_ashrrev_i32_e32 v42, 31, v41
	v_lshlrev_b64 v[39:40], 2, v[41:42]
	v_mov_b32_e32 v43, s5
	v_add_co_u32_e32 v39, vcc, s4, v39
	v_addc_co_u32_e32 v40, vcc, v43, v40, vcc
	v_add_u32_e32 v43, s13, v41
	;; [unrolled: 6-line block ×14, first 2 shown]
	v_ashrrev_i32_e32 v68, 31, v67
	v_lshlrev_b64 v[65:66], 2, v[67:68]
	v_add_u32_e32 v67, s13, v67
	v_ashrrev_i32_e32 v68, 31, v67
	v_mov_b32_e32 v69, s5
	v_add_co_u32_e32 v65, vcc, s4, v65
	v_lshlrev_b64 v[67:68], 2, v[67:68]
	v_addc_co_u32_e32 v66, vcc, v69, v66, vcc
	v_add_co_u32_e32 v67, vcc, s4, v67
	v_addc_co_u32_e32 v68, vcc, v69, v68, vcc
	v_mov_b32_e32 v70, s5
	v_add_co_u32_e32 v69, vcc, s4, v73
	global_load_dword v74, v[67:68], off
	s_ashr_i32 s5, s13, 31
	s_mov_b32 s4, s13
	v_addc_co_u32_e32 v70, vcc, 0, v70, vcc
	s_lshl_b64 s[4:5], s[4:5], 2
	s_waitcnt vmcnt(1)
	buffer_store_dword v71, off, s[0:3], 0
	v_mov_b32_e32 v72, s5
	v_add_co_u32_e32 v71, vcc, s4, v69
	v_addc_co_u32_e32 v72, vcc, v70, v72, vcc
	global_load_dword v75, v[71:72], off
	global_load_dword v76, v[1:2], off
	global_load_dword v77, v[3:4], off
	global_load_dword v78, v[5:6], off
	global_load_dword v79, v[9:10], off
	global_load_dword v80, v[7:8], off
	global_load_dword v81, v[13:14], off
	global_load_dword v82, v[11:12], off
	s_waitcnt vmcnt(7)
	buffer_store_dword v75, off, s[0:3], 0 offset:4
	s_waitcnt vmcnt(7)
	buffer_store_dword v76, off, s[0:3], 0 offset:8
	s_waitcnt vmcnt(7)
	buffer_store_dword v77, off, s[0:3], 0 offset:12
	s_waitcnt vmcnt(7)
	buffer_store_dword v78, off, s[0:3], 0 offset:16
	s_waitcnt vmcnt(7)
	buffer_store_dword v79, off, s[0:3], 0 offset:20
	s_waitcnt vmcnt(7)
	buffer_store_dword v80, off, s[0:3], 0 offset:24
	s_waitcnt vmcnt(7)
	buffer_store_dword v81, off, s[0:3], 0 offset:28
	s_waitcnt vmcnt(7)
	buffer_store_dword v82, off, s[0:3], 0 offset:32
	global_load_dword v75, v[15:16], off
	global_load_dword v76, v[17:18], off
	global_load_dword v77, v[19:20], off
	global_load_dword v78, v[21:22], off
	global_load_dword v79, v[23:24], off
	global_load_dword v80, v[25:26], off
	global_load_dword v81, v[27:28], off
	global_load_dword v82, v[29:30], off
	s_waitcnt vmcnt(7)
	buffer_store_dword v75, off, s[0:3], 0 offset:36
	s_waitcnt vmcnt(7)
	buffer_store_dword v76, off, s[0:3], 0 offset:40
	s_waitcnt vmcnt(7)
	buffer_store_dword v77, off, s[0:3], 0 offset:44
	s_waitcnt vmcnt(7)
	buffer_store_dword v78, off, s[0:3], 0 offset:48
	s_waitcnt vmcnt(7)
	buffer_store_dword v79, off, s[0:3], 0 offset:52
	s_waitcnt vmcnt(7)
	buffer_store_dword v80, off, s[0:3], 0 offset:56
	s_waitcnt vmcnt(7)
	buffer_store_dword v81, off, s[0:3], 0 offset:60
	s_waitcnt vmcnt(7)
	buffer_store_dword v82, off, s[0:3], 0 offset:64
	;; [unrolled: 24-line block ×3, first 2 shown]
	global_load_dword v75, v[47:48], off
	global_load_dword v76, v[49:50], off
	;; [unrolled: 1-line block ×8, first 2 shown]
	s_waitcnt vmcnt(7)
	buffer_store_dword v75, off, s[0:3], 0 offset:100
	s_waitcnt vmcnt(7)
	buffer_store_dword v76, off, s[0:3], 0 offset:104
	;; [unrolled: 2-line block ×5, first 2 shown]
	global_load_dword v75, v[63:64], off
	global_load_dword v76, v[65:66], off
	s_cmpk_lg_i32 s9, 0x84
	s_waitcnt vmcnt(9)
	buffer_store_dword v80, off, s[0:3], 0 offset:120
	s_waitcnt vmcnt(9)
	buffer_store_dword v81, off, s[0:3], 0 offset:124
	;; [unrolled: 2-line block ×5, first 2 shown]
	buffer_store_dword v74, off, s[0:3], 0 offset:140
	s_movk_i32 s12, 0x84
	s_cselect_b64 s[10:11], -1, 0
	s_cmpk_eq_i32 s9, 0x84
	v_mov_b32_e32 v74, -1.0
	s_cbranch_scc1 .LBB35_3
; %bb.2:
	v_mov_b32_e32 v74, 0
	v_lshl_add_u32 v74, v0, 2, v74
	buffer_load_dword v75, v74, s[0:3], 0 offen
	s_waitcnt vmcnt(0)
	v_div_scale_f32 v76, s[4:5], v75, v75, 1.0
	v_div_scale_f32 v77, vcc, 1.0, v75, 1.0
	v_rcp_f32_e32 v78, v76
	v_fma_f32 v79, -v76, v78, 1.0
	v_fmac_f32_e32 v78, v79, v78
	v_mul_f32_e32 v79, v77, v78
	v_fma_f32 v80, -v76, v79, v77
	v_fmac_f32_e32 v79, v80, v78
	v_fma_f32 v76, -v76, v79, v77
	v_div_fmas_f32 v76, v76, v78, v79
	v_div_fixup_f32 v75, v76, v75, 1.0
	buffer_store_dword v75, v74, s[0:3], 0 offen
	v_xor_b32_e32 v74, 0x80000000, v75
.LBB35_3:
	ds_write_b32 v73, v74
	s_cmpk_eq_i32 s8, 0x79
	v_add_u32_e32 v74, 0x90, v73
	v_mov_b32_e32 v75, v73
	s_mov_b64 s[4:5], -1
	s_cbranch_scc1 .LBB35_347
; %bb.4:
	buffer_load_dword v76, off, s[0:3], 0 offset:136
	s_movk_i32 s13, 0x44
	s_movk_i32 s31, 0x48
	;; [unrolled: 1-line block ×16, first 2 shown]
	v_cmp_eq_u32_e64 s[4:5], 35, v0
	s_waitcnt vmcnt(0)
	ds_write_b32 v74, v76
	s_waitcnt lgkmcnt(0)
	; wave barrier
	s_and_saveexec_b64 s[6:7], s[4:5]
	s_cbranch_execz .LBB35_10
; %bb.5:
	s_and_b64 vcc, exec, s[10:11]
	s_cbranch_vccz .LBB35_7
; %bb.6:
	buffer_load_dword v76, v75, s[0:3], 0 offen
	ds_read_b32 v77, v74
	s_waitcnt vmcnt(0) lgkmcnt(0)
	v_mul_f32_e32 v76, v76, v77
	s_cbranch_execz .LBB35_8
	s_branch .LBB35_9
.LBB35_7:
                                        ; implicit-def: $vgpr76
.LBB35_8:
	ds_read_b32 v76, v74
.LBB35_9:
	v_mov_b32_e32 v77, 0
	ds_read_b32 v77, v77 offset:136
	s_waitcnt lgkmcnt(0)
	v_mul_f32_e32 v76, v76, v77
	buffer_store_dword v76, off, s[0:3], 0 offset:136
.LBB35_10:
	s_or_b64 exec, exec, s[6:7]
	buffer_load_dword v76, off, s[0:3], 0 offset:132
	s_or_b32 s14, 0, 4
	s_or_b32 s15, 0, 8
	;; [unrolled: 1-line block ×3, first 2 shown]
	s_mov_b32 s17, 16
	s_mov_b32 s18, 20
	;; [unrolled: 1-line block ×15, first 2 shown]
	v_cmp_lt_u32_e64 s[6:7], 33, v0
	s_waitcnt vmcnt(0)
	ds_write_b32 v74, v76
	s_waitcnt lgkmcnt(0)
	; wave barrier
	s_and_saveexec_b64 s[8:9], s[6:7]
	s_cbranch_execz .LBB35_16
; %bb.11:
	s_andn2_b64 vcc, exec, s[10:11]
	s_cbranch_vccnz .LBB35_13
; %bb.12:
	buffer_load_dword v76, v75, s[0:3], 0 offen
	ds_read_b32 v77, v74
	s_waitcnt vmcnt(0) lgkmcnt(0)
	v_mul_f32_e32 v76, v76, v77
	s_cbranch_execz .LBB35_14
	s_branch .LBB35_15
.LBB35_13:
                                        ; implicit-def: $vgpr76
.LBB35_14:
	ds_read_b32 v76, v74
.LBB35_15:
	buffer_load_dword v79, off, s[0:3], 0 offset:136
	v_mov_b32_e32 v77, 0
	ds_read2_b32 v[77:78], v77 offset0:33 offset1:70
	s_waitcnt vmcnt(0) lgkmcnt(0)
	v_fma_f32 v78, v79, v78, v76
	v_cndmask_b32_e64 v76, v76, v78, s[4:5]
	v_mul_f32_e32 v76, v76, v77
	buffer_store_dword v76, off, s[0:3], 0 offset:132
.LBB35_16:
	s_or_b64 exec, exec, s[8:9]
	buffer_load_dword v76, off, s[0:3], 0 offset:128
	v_cmp_lt_u32_e64 s[4:5], 32, v0
	s_waitcnt vmcnt(0)
	ds_write_b32 v74, v76
	s_waitcnt lgkmcnt(0)
	; wave barrier
	s_and_saveexec_b64 s[8:9], s[4:5]
	s_cbranch_execz .LBB35_26
; %bb.17:
	s_andn2_b64 vcc, exec, s[10:11]
	s_cbranch_vccnz .LBB35_19
; %bb.18:
	buffer_load_dword v76, v75, s[0:3], 0 offen
	ds_read_b32 v77, v74
	s_waitcnt vmcnt(0) lgkmcnt(0)
	v_mul_f32_e32 v76, v76, v77
	s_cbranch_execz .LBB35_20
	s_branch .LBB35_21
.LBB35_19:
                                        ; implicit-def: $vgpr76
.LBB35_20:
	ds_read_b32 v76, v74
.LBB35_21:
	s_and_saveexec_b64 s[12:13], s[6:7]
	s_cbranch_execz .LBB35_25
; %bb.22:
	v_subrev_u32_e32 v77, 33, v0
	s_movk_i32 s48, 0x114
	s_mov_b64 s[6:7], 0
.LBB35_23:                              ; =>This Inner Loop Header: Depth=1
	v_mov_b32_e32 v78, s47
	buffer_load_dword v78, v78, s[0:3], 0 offen
	v_mov_b32_e32 v79, s48
	ds_read_b32 v79, v79
	v_add_u32_e32 v77, -1, v77
	s_add_i32 s48, s48, 4
	s_add_i32 s47, s47, 4
	v_cmp_eq_u32_e32 vcc, 0, v77
	s_or_b64 s[6:7], vcc, s[6:7]
	s_waitcnt vmcnt(0) lgkmcnt(0)
	v_fmac_f32_e32 v76, v78, v79
	s_andn2_b64 exec, exec, s[6:7]
	s_cbranch_execnz .LBB35_23
; %bb.24:
	s_or_b64 exec, exec, s[6:7]
.LBB35_25:
	s_or_b64 exec, exec, s[12:13]
	v_mov_b32_e32 v77, 0
	ds_read_b32 v77, v77 offset:128
	s_waitcnt lgkmcnt(0)
	v_mul_f32_e32 v76, v76, v77
	buffer_store_dword v76, off, s[0:3], 0 offset:128
.LBB35_26:
	s_or_b64 exec, exec, s[8:9]
	buffer_load_dword v76, off, s[0:3], 0 offset:124
	v_cmp_lt_u32_e64 s[6:7], 31, v0
	s_waitcnt vmcnt(0)
	ds_write_b32 v74, v76
	s_waitcnt lgkmcnt(0)
	; wave barrier
	s_and_saveexec_b64 s[8:9], s[6:7]
	s_cbranch_execz .LBB35_36
; %bb.27:
	s_andn2_b64 vcc, exec, s[10:11]
	s_cbranch_vccnz .LBB35_29
; %bb.28:
	buffer_load_dword v76, v75, s[0:3], 0 offen
	ds_read_b32 v77, v74
	s_waitcnt vmcnt(0) lgkmcnt(0)
	v_mul_f32_e32 v76, v76, v77
	s_cbranch_execz .LBB35_30
	s_branch .LBB35_31
.LBB35_29:
                                        ; implicit-def: $vgpr76
.LBB35_30:
	ds_read_b32 v76, v74
.LBB35_31:
	s_and_saveexec_b64 s[12:13], s[4:5]
	s_cbranch_execz .LBB35_35
; %bb.32:
	v_subrev_u32_e32 v77, 32, v0
	s_movk_i32 s47, 0x110
	s_mov_b64 s[4:5], 0
.LBB35_33:                              ; =>This Inner Loop Header: Depth=1
	v_mov_b32_e32 v78, s46
	buffer_load_dword v78, v78, s[0:3], 0 offen
	v_mov_b32_e32 v79, s47
	ds_read_b32 v79, v79
	v_add_u32_e32 v77, -1, v77
	s_add_i32 s47, s47, 4
	s_add_i32 s46, s46, 4
	v_cmp_eq_u32_e32 vcc, 0, v77
	s_or_b64 s[4:5], vcc, s[4:5]
	s_waitcnt vmcnt(0) lgkmcnt(0)
	v_fmac_f32_e32 v76, v78, v79
	s_andn2_b64 exec, exec, s[4:5]
	s_cbranch_execnz .LBB35_33
; %bb.34:
	s_or_b64 exec, exec, s[4:5]
.LBB35_35:
	s_or_b64 exec, exec, s[12:13]
	v_mov_b32_e32 v77, 0
	ds_read_b32 v77, v77 offset:124
	s_waitcnt lgkmcnt(0)
	v_mul_f32_e32 v76, v76, v77
	buffer_store_dword v76, off, s[0:3], 0 offset:124
.LBB35_36:
	;; [unrolled: 54-line block ×8, first 2 shown]
	s_or_b64 exec, exec, s[8:9]
	buffer_load_dword v76, off, s[0:3], 0 offset:96
	v_cmp_lt_u32_e64 s[4:5], 24, v0
	s_waitcnt vmcnt(0)
	ds_write_b32 v74, v76
	s_waitcnt lgkmcnt(0)
	; wave barrier
	s_and_saveexec_b64 s[8:9], s[4:5]
	s_cbranch_execz .LBB35_106
; %bb.97:
	s_andn2_b64 vcc, exec, s[10:11]
	s_cbranch_vccnz .LBB35_99
; %bb.98:
	buffer_load_dword v76, v75, s[0:3], 0 offen
	ds_read_b32 v77, v74
	s_waitcnt vmcnt(0) lgkmcnt(0)
	v_mul_f32_e32 v76, v76, v77
	s_cbranch_execz .LBB35_100
	s_branch .LBB35_101
.LBB35_99:
                                        ; implicit-def: $vgpr76
.LBB35_100:
	ds_read_b32 v76, v74
.LBB35_101:
	s_and_saveexec_b64 s[12:13], s[6:7]
	s_cbranch_execz .LBB35_105
; %bb.102:
	v_subrev_u32_e32 v77, 25, v0
	s_movk_i32 s40, 0xf4
	s_mov_b64 s[6:7], 0
.LBB35_103:                             ; =>This Inner Loop Header: Depth=1
	v_mov_b32_e32 v78, s39
	buffer_load_dword v78, v78, s[0:3], 0 offen
	v_mov_b32_e32 v79, s40
	ds_read_b32 v79, v79
	v_add_u32_e32 v77, -1, v77
	s_add_i32 s40, s40, 4
	s_add_i32 s39, s39, 4
	v_cmp_eq_u32_e32 vcc, 0, v77
	s_or_b64 s[6:7], vcc, s[6:7]
	s_waitcnt vmcnt(0) lgkmcnt(0)
	v_fmac_f32_e32 v76, v78, v79
	s_andn2_b64 exec, exec, s[6:7]
	s_cbranch_execnz .LBB35_103
; %bb.104:
	s_or_b64 exec, exec, s[6:7]
.LBB35_105:
	s_or_b64 exec, exec, s[12:13]
	v_mov_b32_e32 v77, 0
	ds_read_b32 v77, v77 offset:96
	s_waitcnt lgkmcnt(0)
	v_mul_f32_e32 v76, v76, v77
	buffer_store_dword v76, off, s[0:3], 0 offset:96
.LBB35_106:
	s_or_b64 exec, exec, s[8:9]
	buffer_load_dword v76, off, s[0:3], 0 offset:92
	v_cmp_lt_u32_e64 s[6:7], 23, v0
	s_waitcnt vmcnt(0)
	ds_write_b32 v74, v76
	s_waitcnt lgkmcnt(0)
	; wave barrier
	s_and_saveexec_b64 s[8:9], s[6:7]
	s_cbranch_execz .LBB35_116
; %bb.107:
	s_andn2_b64 vcc, exec, s[10:11]
	s_cbranch_vccnz .LBB35_109
; %bb.108:
	buffer_load_dword v76, v75, s[0:3], 0 offen
	ds_read_b32 v77, v74
	s_waitcnt vmcnt(0) lgkmcnt(0)
	v_mul_f32_e32 v76, v76, v77
	s_cbranch_execz .LBB35_110
	s_branch .LBB35_111
.LBB35_109:
                                        ; implicit-def: $vgpr76
.LBB35_110:
	ds_read_b32 v76, v74
.LBB35_111:
	s_and_saveexec_b64 s[12:13], s[4:5]
	s_cbranch_execz .LBB35_115
; %bb.112:
	v_subrev_u32_e32 v77, 24, v0
	s_movk_i32 s39, 0xf0
	s_mov_b64 s[4:5], 0
.LBB35_113:                             ; =>This Inner Loop Header: Depth=1
	v_mov_b32_e32 v78, s38
	buffer_load_dword v78, v78, s[0:3], 0 offen
	v_mov_b32_e32 v79, s39
	ds_read_b32 v79, v79
	v_add_u32_e32 v77, -1, v77
	s_add_i32 s39, s39, 4
	s_add_i32 s38, s38, 4
	v_cmp_eq_u32_e32 vcc, 0, v77
	s_or_b64 s[4:5], vcc, s[4:5]
	s_waitcnt vmcnt(0) lgkmcnt(0)
	v_fmac_f32_e32 v76, v78, v79
	s_andn2_b64 exec, exec, s[4:5]
	s_cbranch_execnz .LBB35_113
; %bb.114:
	s_or_b64 exec, exec, s[4:5]
.LBB35_115:
	s_or_b64 exec, exec, s[12:13]
	v_mov_b32_e32 v77, 0
	ds_read_b32 v77, v77 offset:92
	s_waitcnt lgkmcnt(0)
	v_mul_f32_e32 v76, v76, v77
	buffer_store_dword v76, off, s[0:3], 0 offset:92
.LBB35_116:
	;; [unrolled: 54-line block ×9, first 2 shown]
	s_or_b64 exec, exec, s[8:9]
	buffer_load_dword v76, off, s[0:3], 0 offset:60
	v_cmp_lt_u32_e64 s[6:7], 15, v0
	s_waitcnt vmcnt(0)
	ds_write_b32 v74, v76
	s_waitcnt lgkmcnt(0)
	; wave barrier
	s_and_saveexec_b64 s[8:9], s[6:7]
	s_cbranch_execz .LBB35_196
; %bb.187:
	s_andn2_b64 vcc, exec, s[10:11]
	s_cbranch_vccnz .LBB35_189
; %bb.188:
	buffer_load_dword v76, v75, s[0:3], 0 offen
	ds_read_b32 v77, v74
	s_waitcnt vmcnt(0) lgkmcnt(0)
	v_mul_f32_e32 v76, v76, v77
	s_cbranch_execz .LBB35_190
	s_branch .LBB35_191
.LBB35_189:
                                        ; implicit-def: $vgpr76
.LBB35_190:
	ds_read_b32 v76, v74
.LBB35_191:
	s_and_saveexec_b64 s[12:13], s[4:5]
	s_cbranch_execz .LBB35_195
; %bb.192:
	v_add_u32_e32 v77, -16, v0
	s_movk_i32 s30, 0xd0
	s_mov_b64 s[4:5], 0
.LBB35_193:                             ; =>This Inner Loop Header: Depth=1
	v_mov_b32_e32 v78, s29
	buffer_load_dword v78, v78, s[0:3], 0 offen
	v_mov_b32_e32 v79, s30
	ds_read_b32 v79, v79
	v_add_u32_e32 v77, -1, v77
	s_add_i32 s30, s30, 4
	s_add_i32 s29, s29, 4
	v_cmp_eq_u32_e32 vcc, 0, v77
	s_or_b64 s[4:5], vcc, s[4:5]
	s_waitcnt vmcnt(0) lgkmcnt(0)
	v_fmac_f32_e32 v76, v78, v79
	s_andn2_b64 exec, exec, s[4:5]
	s_cbranch_execnz .LBB35_193
; %bb.194:
	s_or_b64 exec, exec, s[4:5]
.LBB35_195:
	s_or_b64 exec, exec, s[12:13]
	v_mov_b32_e32 v77, 0
	ds_read_b32 v77, v77 offset:60
	s_waitcnt lgkmcnt(0)
	v_mul_f32_e32 v76, v76, v77
	buffer_store_dword v76, off, s[0:3], 0 offset:60
.LBB35_196:
	s_or_b64 exec, exec, s[8:9]
	buffer_load_dword v76, off, s[0:3], 0 offset:56
	v_cmp_lt_u32_e64 s[4:5], 14, v0
	s_waitcnt vmcnt(0)
	ds_write_b32 v74, v76
	s_waitcnt lgkmcnt(0)
	; wave barrier
	s_and_saveexec_b64 s[8:9], s[4:5]
	s_cbranch_execz .LBB35_206
; %bb.197:
	s_andn2_b64 vcc, exec, s[10:11]
	s_cbranch_vccnz .LBB35_199
; %bb.198:
	buffer_load_dword v76, v75, s[0:3], 0 offen
	ds_read_b32 v77, v74
	s_waitcnt vmcnt(0) lgkmcnt(0)
	v_mul_f32_e32 v76, v76, v77
	s_cbranch_execz .LBB35_200
	s_branch .LBB35_201
.LBB35_199:
                                        ; implicit-def: $vgpr76
.LBB35_200:
	ds_read_b32 v76, v74
.LBB35_201:
	s_and_saveexec_b64 s[12:13], s[6:7]
	s_cbranch_execz .LBB35_205
; %bb.202:
	v_add_u32_e32 v77, -15, v0
	s_movk_i32 s29, 0xcc
	s_mov_b64 s[6:7], 0
.LBB35_203:                             ; =>This Inner Loop Header: Depth=1
	v_mov_b32_e32 v78, s28
	buffer_load_dword v78, v78, s[0:3], 0 offen
	v_mov_b32_e32 v79, s29
	ds_read_b32 v79, v79
	v_add_u32_e32 v77, -1, v77
	s_add_i32 s29, s29, 4
	s_add_i32 s28, s28, 4
	v_cmp_eq_u32_e32 vcc, 0, v77
	s_or_b64 s[6:7], vcc, s[6:7]
	s_waitcnt vmcnt(0) lgkmcnt(0)
	v_fmac_f32_e32 v76, v78, v79
	s_andn2_b64 exec, exec, s[6:7]
	s_cbranch_execnz .LBB35_203
; %bb.204:
	s_or_b64 exec, exec, s[6:7]
.LBB35_205:
	s_or_b64 exec, exec, s[12:13]
	v_mov_b32_e32 v77, 0
	ds_read_b32 v77, v77 offset:56
	s_waitcnt lgkmcnt(0)
	v_mul_f32_e32 v76, v76, v77
	buffer_store_dword v76, off, s[0:3], 0 offset:56
.LBB35_206:
	;; [unrolled: 54-line block ×15, first 2 shown]
	s_or_b64 exec, exec, s[8:9]
	buffer_load_dword v76, off, s[0:3], 0
	v_cmp_ne_u32_e32 vcc, 0, v0
	s_waitcnt vmcnt(0)
	ds_write_b32 v74, v76
	s_waitcnt lgkmcnt(0)
	; wave barrier
	s_and_saveexec_b64 s[4:5], vcc
	s_cbranch_execz .LBB35_346
; %bb.337:
	s_andn2_b64 vcc, exec, s[10:11]
	s_cbranch_vccnz .LBB35_339
; %bb.338:
	buffer_load_dword v76, v75, s[0:3], 0 offen
	ds_read_b32 v77, v74
	s_waitcnt vmcnt(0) lgkmcnt(0)
	v_mul_f32_e32 v76, v76, v77
	s_cbranch_execz .LBB35_340
	s_branch .LBB35_341
.LBB35_339:
                                        ; implicit-def: $vgpr76
.LBB35_340:
	ds_read_b32 v76, v74
.LBB35_341:
	s_and_saveexec_b64 s[8:9], s[6:7]
	s_cbranch_execz .LBB35_345
; %bb.342:
	v_add_u32_e32 v77, -1, v0
	s_movk_i32 s12, 0x94
	s_mov_b64 s[6:7], 0
.LBB35_343:                             ; =>This Inner Loop Header: Depth=1
	v_mov_b32_e32 v78, s14
	buffer_load_dword v78, v78, s[0:3], 0 offen
	v_mov_b32_e32 v79, s12
	ds_read_b32 v79, v79
	v_add_u32_e32 v77, -1, v77
	s_add_i32 s12, s12, 4
	s_add_i32 s14, s14, 4
	v_cmp_eq_u32_e32 vcc, 0, v77
	s_or_b64 s[6:7], vcc, s[6:7]
	s_waitcnt vmcnt(0) lgkmcnt(0)
	v_fmac_f32_e32 v76, v78, v79
	s_andn2_b64 exec, exec, s[6:7]
	s_cbranch_execnz .LBB35_343
; %bb.344:
	s_or_b64 exec, exec, s[6:7]
.LBB35_345:
	s_or_b64 exec, exec, s[8:9]
	v_mov_b32_e32 v77, 0
	ds_read_b32 v77, v77
	s_waitcnt lgkmcnt(0)
	v_mul_f32_e32 v76, v76, v77
	buffer_store_dword v76, off, s[0:3], 0
.LBB35_346:
	s_or_b64 exec, exec, s[4:5]
	s_mov_b64 s[4:5], 0
.LBB35_347:
	s_and_b64 vcc, exec, s[4:5]
	s_cbranch_vccz .LBB35_689
; %bb.348:
	buffer_load_dword v76, off, s[0:3], 0 offset:4
	v_cmp_eq_u32_e64 s[6:7], 0, v0
	s_waitcnt vmcnt(0)
	ds_write_b32 v74, v76
	s_waitcnt lgkmcnt(0)
	; wave barrier
	s_and_saveexec_b64 s[4:5], s[6:7]
	s_cbranch_execz .LBB35_354
; %bb.349:
	s_and_b64 vcc, exec, s[10:11]
	s_cbranch_vccz .LBB35_351
; %bb.350:
	buffer_load_dword v76, v75, s[0:3], 0 offen
	ds_read_b32 v77, v74
	s_waitcnt vmcnt(0) lgkmcnt(0)
	v_mul_f32_e32 v76, v76, v77
	s_cbranch_execz .LBB35_352
	s_branch .LBB35_353
.LBB35_351:
                                        ; implicit-def: $vgpr76
.LBB35_352:
	ds_read_b32 v76, v74
.LBB35_353:
	v_mov_b32_e32 v77, 0
	ds_read_b32 v77, v77 offset:4
	s_waitcnt lgkmcnt(0)
	v_mul_f32_e32 v76, v76, v77
	buffer_store_dword v76, off, s[0:3], 0 offset:4
.LBB35_354:
	s_or_b64 exec, exec, s[4:5]
	buffer_load_dword v76, off, s[0:3], 0 offset:8
	v_cndmask_b32_e64 v77, 0, 1, s[10:11]
	v_cmp_gt_u32_e32 vcc, 2, v0
	v_cmp_ne_u32_e64 s[4:5], 1, v77
	s_waitcnt vmcnt(0)
	ds_write_b32 v74, v76
	s_waitcnt lgkmcnt(0)
	; wave barrier
	s_and_saveexec_b64 s[8:9], vcc
	s_cbranch_execz .LBB35_360
; %bb.355:
	s_and_b64 vcc, exec, s[4:5]
	s_cbranch_vccnz .LBB35_357
; %bb.356:
	buffer_load_dword v76, v75, s[0:3], 0 offen
	ds_read_b32 v77, v74
	s_waitcnt vmcnt(0) lgkmcnt(0)
	v_mul_f32_e32 v76, v76, v77
	s_cbranch_execz .LBB35_358
	s_branch .LBB35_359
.LBB35_357:
                                        ; implicit-def: $vgpr76
.LBB35_358:
	ds_read_b32 v76, v74
.LBB35_359:
	buffer_load_dword v79, off, s[0:3], 0 offset:4
	v_mov_b32_e32 v77, 0
	ds_read2_b32 v[77:78], v77 offset0:2 offset1:37
	s_waitcnt vmcnt(0) lgkmcnt(0)
	v_fma_f32 v78, v79, v78, v76
	v_cndmask_b32_e64 v76, v76, v78, s[6:7]
	v_mul_f32_e32 v76, v76, v77
	buffer_store_dword v76, off, s[0:3], 0 offset:8
.LBB35_360:
	s_or_b64 exec, exec, s[8:9]
	buffer_load_dword v76, off, s[0:3], 0 offset:12
	v_cmp_gt_u32_e32 vcc, 3, v0
	s_waitcnt vmcnt(0)
	ds_write_b32 v74, v76
	s_waitcnt lgkmcnt(0)
	; wave barrier
	s_and_saveexec_b64 s[8:9], vcc
	s_cbranch_execz .LBB35_368
; %bb.361:
	s_and_b64 vcc, exec, s[4:5]
	s_cbranch_vccnz .LBB35_363
; %bb.362:
	buffer_load_dword v76, v75, s[0:3], 0 offen
	ds_read_b32 v77, v74
	s_waitcnt vmcnt(0) lgkmcnt(0)
	v_mul_f32_e32 v76, v76, v77
	s_cbranch_execz .LBB35_364
	s_branch .LBB35_365
.LBB35_363:
                                        ; implicit-def: $vgpr76
.LBB35_364:
	ds_read_b32 v76, v74
.LBB35_365:
	v_cmp_ne_u32_e32 vcc, 2, v0
	s_and_saveexec_b64 s[10:11], vcc
	s_cbranch_execz .LBB35_367
; %bb.366:
	buffer_load_dword v77, v75, s[0:3], 0 offen offset:4
	buffer_load_dword v78, off, s[0:3], 0 offset:8
	v_mov_b32_e32 v79, 0
	ds_read_b32 v80, v74 offset:4
	ds_read_b32 v79, v79 offset:152
	s_waitcnt vmcnt(1) lgkmcnt(1)
	v_fmac_f32_e32 v76, v77, v80
	s_waitcnt vmcnt(0) lgkmcnt(0)
	v_fma_f32 v77, v78, v79, v76
	v_cndmask_b32_e64 v76, v76, v77, s[6:7]
.LBB35_367:
	s_or_b64 exec, exec, s[10:11]
	v_mov_b32_e32 v77, 0
	ds_read_b32 v77, v77 offset:12
	s_waitcnt lgkmcnt(0)
	v_mul_f32_e32 v76, v76, v77
	buffer_store_dword v76, off, s[0:3], 0 offset:12
.LBB35_368:
	s_or_b64 exec, exec, s[8:9]
	buffer_load_dword v76, off, s[0:3], 0 offset:16
	v_cmp_gt_u32_e32 vcc, 4, v0
	s_waitcnt vmcnt(0)
	ds_write_b32 v74, v76
	s_waitcnt lgkmcnt(0)
	; wave barrier
	s_and_saveexec_b64 s[6:7], vcc
	s_cbranch_execz .LBB35_378
; %bb.369:
	s_and_b64 vcc, exec, s[4:5]
	s_cbranch_vccnz .LBB35_371
; %bb.370:
	buffer_load_dword v76, v75, s[0:3], 0 offen
	ds_read_b32 v77, v74
	s_waitcnt vmcnt(0) lgkmcnt(0)
	v_mul_f32_e32 v76, v76, v77
	s_cbranch_execz .LBB35_372
	s_branch .LBB35_373
.LBB35_371:
                                        ; implicit-def: $vgpr76
.LBB35_372:
	ds_read_b32 v76, v74
.LBB35_373:
	v_cmp_ne_u32_e32 vcc, 3, v0
	s_and_saveexec_b64 s[8:9], vcc
	s_cbranch_execz .LBB35_377
; %bb.374:
	s_mov_b32 s10, 0
	v_add_u32_e32 v77, 0x94, v73
	v_add3_u32 v78, v73, s10, 4
	s_mov_b64 s[10:11], 0
	v_mov_b32_e32 v79, v0
.LBB35_375:                             ; =>This Inner Loop Header: Depth=1
	buffer_load_dword v80, v78, s[0:3], 0 offen
	ds_read_b32 v81, v77
	v_add_u32_e32 v79, 1, v79
	v_cmp_lt_u32_e32 vcc, 2, v79
	v_add_u32_e32 v77, 4, v77
	v_add_u32_e32 v78, 4, v78
	s_or_b64 s[10:11], vcc, s[10:11]
	s_waitcnt vmcnt(0) lgkmcnt(0)
	v_fmac_f32_e32 v76, v80, v81
	s_andn2_b64 exec, exec, s[10:11]
	s_cbranch_execnz .LBB35_375
; %bb.376:
	s_or_b64 exec, exec, s[10:11]
.LBB35_377:
	s_or_b64 exec, exec, s[8:9]
	v_mov_b32_e32 v77, 0
	ds_read_b32 v77, v77 offset:16
	s_waitcnt lgkmcnt(0)
	v_mul_f32_e32 v76, v76, v77
	buffer_store_dword v76, off, s[0:3], 0 offset:16
.LBB35_378:
	s_or_b64 exec, exec, s[6:7]
	buffer_load_dword v76, off, s[0:3], 0 offset:20
	v_cmp_gt_u32_e32 vcc, 5, v0
	s_waitcnt vmcnt(0)
	ds_write_b32 v74, v76
	s_waitcnt lgkmcnt(0)
	; wave barrier
	s_and_saveexec_b64 s[6:7], vcc
	s_cbranch_execz .LBB35_388
; %bb.379:
	s_and_b64 vcc, exec, s[4:5]
	s_cbranch_vccnz .LBB35_381
; %bb.380:
	buffer_load_dword v76, v75, s[0:3], 0 offen
	ds_read_b32 v77, v74
	s_waitcnt vmcnt(0) lgkmcnt(0)
	v_mul_f32_e32 v76, v76, v77
	s_cbranch_execz .LBB35_382
	s_branch .LBB35_383
.LBB35_381:
                                        ; implicit-def: $vgpr76
.LBB35_382:
	ds_read_b32 v76, v74
.LBB35_383:
	v_cmp_ne_u32_e32 vcc, 4, v0
	s_and_saveexec_b64 s[8:9], vcc
	s_cbranch_execz .LBB35_387
; %bb.384:
	s_mov_b32 s10, 0
	v_add_u32_e32 v77, 0x94, v73
	v_add3_u32 v78, v73, s10, 4
	s_mov_b64 s[10:11], 0
	v_mov_b32_e32 v79, v0
.LBB35_385:                             ; =>This Inner Loop Header: Depth=1
	buffer_load_dword v80, v78, s[0:3], 0 offen
	ds_read_b32 v81, v77
	v_add_u32_e32 v79, 1, v79
	v_cmp_lt_u32_e32 vcc, 3, v79
	v_add_u32_e32 v77, 4, v77
	v_add_u32_e32 v78, 4, v78
	s_or_b64 s[10:11], vcc, s[10:11]
	s_waitcnt vmcnt(0) lgkmcnt(0)
	v_fmac_f32_e32 v76, v80, v81
	s_andn2_b64 exec, exec, s[10:11]
	s_cbranch_execnz .LBB35_385
; %bb.386:
	s_or_b64 exec, exec, s[10:11]
.LBB35_387:
	s_or_b64 exec, exec, s[8:9]
	v_mov_b32_e32 v77, 0
	ds_read_b32 v77, v77 offset:20
	s_waitcnt lgkmcnt(0)
	v_mul_f32_e32 v76, v76, v77
	buffer_store_dword v76, off, s[0:3], 0 offset:20
.LBB35_388:
	;; [unrolled: 55-line block ×30, first 2 shown]
	s_or_b64 exec, exec, s[6:7]
	buffer_load_dword v76, off, s[0:3], 0 offset:136
	v_cmp_gt_u32_e64 s[6:7], 34, v0
	s_waitcnt vmcnt(0)
	ds_write_b32 v74, v76
	s_waitcnt lgkmcnt(0)
	; wave barrier
	s_and_saveexec_b64 s[8:9], s[6:7]
	s_cbranch_execz .LBB35_678
; %bb.669:
	s_and_b64 vcc, exec, s[4:5]
	s_cbranch_vccnz .LBB35_671
; %bb.670:
	buffer_load_dword v76, v75, s[0:3], 0 offen
	ds_read_b32 v77, v74
	s_waitcnt vmcnt(0) lgkmcnt(0)
	v_mul_f32_e32 v76, v76, v77
	s_cbranch_execz .LBB35_672
	s_branch .LBB35_673
.LBB35_671:
                                        ; implicit-def: $vgpr76
.LBB35_672:
	ds_read_b32 v76, v74
.LBB35_673:
	v_cmp_ne_u32_e32 vcc, 33, v0
	s_and_saveexec_b64 s[10:11], vcc
	s_cbranch_execz .LBB35_677
; %bb.674:
	s_mov_b32 s12, 0
	v_add_u32_e32 v77, 0x94, v73
	v_add3_u32 v78, v73, s12, 4
	s_mov_b64 s[12:13], 0
	v_mov_b32_e32 v79, v0
.LBB35_675:                             ; =>This Inner Loop Header: Depth=1
	buffer_load_dword v80, v78, s[0:3], 0 offen
	ds_read_b32 v81, v77
	v_add_u32_e32 v79, 1, v79
	v_cmp_lt_u32_e32 vcc, 32, v79
	v_add_u32_e32 v77, 4, v77
	v_add_u32_e32 v78, 4, v78
	s_or_b64 s[12:13], vcc, s[12:13]
	s_waitcnt vmcnt(0) lgkmcnt(0)
	v_fmac_f32_e32 v76, v80, v81
	s_andn2_b64 exec, exec, s[12:13]
	s_cbranch_execnz .LBB35_675
; %bb.676:
	s_or_b64 exec, exec, s[12:13]
.LBB35_677:
	s_or_b64 exec, exec, s[10:11]
	v_mov_b32_e32 v77, 0
	ds_read_b32 v77, v77 offset:136
	s_waitcnt lgkmcnt(0)
	v_mul_f32_e32 v76, v76, v77
	buffer_store_dword v76, off, s[0:3], 0 offset:136
.LBB35_678:
	s_or_b64 exec, exec, s[8:9]
	buffer_load_dword v76, off, s[0:3], 0 offset:140
	v_cmp_ne_u32_e32 vcc, 35, v0
	s_waitcnt vmcnt(0)
	ds_write_b32 v74, v76
	s_waitcnt lgkmcnt(0)
	; wave barrier
	s_and_saveexec_b64 s[8:9], vcc
	s_cbranch_execz .LBB35_688
; %bb.679:
	s_and_b64 vcc, exec, s[4:5]
	s_cbranch_vccnz .LBB35_681
; %bb.680:
	buffer_load_dword v75, v75, s[0:3], 0 offen
	ds_read_b32 v76, v74
	s_waitcnt vmcnt(0) lgkmcnt(0)
	v_mul_f32_e32 v75, v75, v76
	s_cbranch_execz .LBB35_682
	s_branch .LBB35_683
.LBB35_681:
                                        ; implicit-def: $vgpr75
.LBB35_682:
	ds_read_b32 v75, v74
.LBB35_683:
	s_and_saveexec_b64 s[4:5], s[6:7]
	s_cbranch_execz .LBB35_687
; %bb.684:
	s_mov_b32 s6, 0
	v_add_u32_e32 v74, 0x94, v73
	v_add3_u32 v73, v73, s6, 4
	s_mov_b64 s[6:7], 0
.LBB35_685:                             ; =>This Inner Loop Header: Depth=1
	buffer_load_dword v76, v73, s[0:3], 0 offen
	ds_read_b32 v77, v74
	v_add_u32_e32 v0, 1, v0
	v_cmp_lt_u32_e32 vcc, 33, v0
	v_add_u32_e32 v74, 4, v74
	v_add_u32_e32 v73, 4, v73
	s_or_b64 s[6:7], vcc, s[6:7]
	s_waitcnt vmcnt(0) lgkmcnt(0)
	v_fmac_f32_e32 v75, v76, v77
	s_andn2_b64 exec, exec, s[6:7]
	s_cbranch_execnz .LBB35_685
; %bb.686:
	s_or_b64 exec, exec, s[6:7]
.LBB35_687:
	s_or_b64 exec, exec, s[4:5]
	v_mov_b32_e32 v0, 0
	ds_read_b32 v0, v0 offset:140
	s_waitcnt lgkmcnt(0)
	v_mul_f32_e32 v0, v75, v0
	buffer_store_dword v0, off, s[0:3], 0 offset:140
.LBB35_688:
	s_or_b64 exec, exec, s[8:9]
.LBB35_689:
	buffer_load_dword v0, off, s[0:3], 0
	buffer_load_dword v73, off, s[0:3], 0 offset:4
	buffer_load_dword v74, off, s[0:3], 0 offset:8
	;; [unrolled: 1-line block ×7, first 2 shown]
	s_waitcnt vmcnt(7)
	global_store_dword v[69:70], v0, off
	buffer_load_dword v0, off, s[0:3], 0 offset:32
	s_nop 0
	buffer_load_dword v69, off, s[0:3], 0 offset:36
	s_waitcnt vmcnt(9)
	global_store_dword v[71:72], v73, off
	s_waitcnt vmcnt(9)
	global_store_dword v[1:2], v74, off
	buffer_load_dword v1, off, s[0:3], 0 offset:40
	s_nop 0
	buffer_load_dword v2, off, s[0:3], 0 offset:44
	buffer_load_dword v70, off, s[0:3], 0 offset:48
	;; [unrolled: 1-line block ×5, first 2 shown]
	s_waitcnt vmcnt(15)
	global_store_dword v[3:4], v75, off
	s_waitcnt vmcnt(15)
	global_store_dword v[5:6], v76, off
	s_waitcnt vmcnt(15)
	global_store_dword v[9:10], v77, off
	buffer_load_dword v3, off, s[0:3], 0 offset:64
	buffer_load_dword v4, off, s[0:3], 0 offset:68
	buffer_load_dword v5, off, s[0:3], 0 offset:72
	buffer_load_dword v6, off, s[0:3], 0 offset:76
	s_nop 0
	buffer_load_dword v9, off, s[0:3], 0 offset:80
	buffer_load_dword v10, off, s[0:3], 0 offset:84
	;; [unrolled: 1-line block ×4, first 2 shown]
	s_waitcnt vmcnt(23)
	global_store_dword v[7:8], v78, off
	s_waitcnt vmcnt(23)
	global_store_dword v[13:14], v79, off
	buffer_load_dword v7, off, s[0:3], 0 offset:96
	buffer_load_dword v8, off, s[0:3], 0 offset:100
	s_nop 0
	buffer_load_dword v13, off, s[0:3], 0 offset:104
	buffer_load_dword v14, off, s[0:3], 0 offset:108
	buffer_load_dword v76, off, s[0:3], 0 offset:112
	buffer_load_dword v77, off, s[0:3], 0 offset:116
	buffer_load_dword v78, off, s[0:3], 0 offset:120
	buffer_load_dword v79, off, s[0:3], 0 offset:124
	s_waitcnt vmcnt(30)
	global_store_dword v[11:12], v0, off
	s_waitcnt vmcnt(30)
	global_store_dword v[15:16], v69, off
	buffer_load_dword v0, off, s[0:3], 0 offset:128
	buffer_load_dword v11, off, s[0:3], 0 offset:132
	;; [unrolled: 1-line block ×3, first 2 shown]
	s_nop 0
	buffer_load_dword v15, off, s[0:3], 0 offset:140
	s_waitcnt vmcnt(32)
	global_store_dword v[17:18], v1, off
	s_waitcnt vmcnt(32)
	global_store_dword v[19:20], v2, off
	;; [unrolled: 2-line block ×26, first 2 shown]
.LBB35_690:
	s_endpgm
	.section	.rodata,"a",@progbits
	.p2align	6, 0x0
	.amdhsa_kernel _ZN9rocsolver6v33100L18trti2_kernel_smallILi36EfPfEEv13rocblas_fill_17rocblas_diagonal_T1_iil
		.amdhsa_group_segment_fixed_size 288
		.amdhsa_private_segment_fixed_size 160
		.amdhsa_kernarg_size 32
		.amdhsa_user_sgpr_count 6
		.amdhsa_user_sgpr_private_segment_buffer 1
		.amdhsa_user_sgpr_dispatch_ptr 0
		.amdhsa_user_sgpr_queue_ptr 0
		.amdhsa_user_sgpr_kernarg_segment_ptr 1
		.amdhsa_user_sgpr_dispatch_id 0
		.amdhsa_user_sgpr_flat_scratch_init 0
		.amdhsa_user_sgpr_private_segment_size 0
		.amdhsa_uses_dynamic_stack 0
		.amdhsa_system_sgpr_private_segment_wavefront_offset 1
		.amdhsa_system_sgpr_workgroup_id_x 1
		.amdhsa_system_sgpr_workgroup_id_y 0
		.amdhsa_system_sgpr_workgroup_id_z 0
		.amdhsa_system_sgpr_workgroup_info 0
		.amdhsa_system_vgpr_workitem_id 0
		.amdhsa_next_free_vgpr 83
		.amdhsa_next_free_sgpr 49
		.amdhsa_reserve_vcc 1
		.amdhsa_reserve_flat_scratch 0
		.amdhsa_float_round_mode_32 0
		.amdhsa_float_round_mode_16_64 0
		.amdhsa_float_denorm_mode_32 3
		.amdhsa_float_denorm_mode_16_64 3
		.amdhsa_dx10_clamp 1
		.amdhsa_ieee_mode 1
		.amdhsa_fp16_overflow 0
		.amdhsa_exception_fp_ieee_invalid_op 0
		.amdhsa_exception_fp_denorm_src 0
		.amdhsa_exception_fp_ieee_div_zero 0
		.amdhsa_exception_fp_ieee_overflow 0
		.amdhsa_exception_fp_ieee_underflow 0
		.amdhsa_exception_fp_ieee_inexact 0
		.amdhsa_exception_int_div_zero 0
	.end_amdhsa_kernel
	.section	.text._ZN9rocsolver6v33100L18trti2_kernel_smallILi36EfPfEEv13rocblas_fill_17rocblas_diagonal_T1_iil,"axG",@progbits,_ZN9rocsolver6v33100L18trti2_kernel_smallILi36EfPfEEv13rocblas_fill_17rocblas_diagonal_T1_iil,comdat
.Lfunc_end35:
	.size	_ZN9rocsolver6v33100L18trti2_kernel_smallILi36EfPfEEv13rocblas_fill_17rocblas_diagonal_T1_iil, .Lfunc_end35-_ZN9rocsolver6v33100L18trti2_kernel_smallILi36EfPfEEv13rocblas_fill_17rocblas_diagonal_T1_iil
                                        ; -- End function
	.set _ZN9rocsolver6v33100L18trti2_kernel_smallILi36EfPfEEv13rocblas_fill_17rocblas_diagonal_T1_iil.num_vgpr, 83
	.set _ZN9rocsolver6v33100L18trti2_kernel_smallILi36EfPfEEv13rocblas_fill_17rocblas_diagonal_T1_iil.num_agpr, 0
	.set _ZN9rocsolver6v33100L18trti2_kernel_smallILi36EfPfEEv13rocblas_fill_17rocblas_diagonal_T1_iil.numbered_sgpr, 49
	.set _ZN9rocsolver6v33100L18trti2_kernel_smallILi36EfPfEEv13rocblas_fill_17rocblas_diagonal_T1_iil.num_named_barrier, 0
	.set _ZN9rocsolver6v33100L18trti2_kernel_smallILi36EfPfEEv13rocblas_fill_17rocblas_diagonal_T1_iil.private_seg_size, 160
	.set _ZN9rocsolver6v33100L18trti2_kernel_smallILi36EfPfEEv13rocblas_fill_17rocblas_diagonal_T1_iil.uses_vcc, 1
	.set _ZN9rocsolver6v33100L18trti2_kernel_smallILi36EfPfEEv13rocblas_fill_17rocblas_diagonal_T1_iil.uses_flat_scratch, 0
	.set _ZN9rocsolver6v33100L18trti2_kernel_smallILi36EfPfEEv13rocblas_fill_17rocblas_diagonal_T1_iil.has_dyn_sized_stack, 0
	.set _ZN9rocsolver6v33100L18trti2_kernel_smallILi36EfPfEEv13rocblas_fill_17rocblas_diagonal_T1_iil.has_recursion, 0
	.set _ZN9rocsolver6v33100L18trti2_kernel_smallILi36EfPfEEv13rocblas_fill_17rocblas_diagonal_T1_iil.has_indirect_call, 0
	.section	.AMDGPU.csdata,"",@progbits
; Kernel info:
; codeLenInByte = 17364
; TotalNumSgprs: 53
; NumVgprs: 83
; ScratchSize: 160
; MemoryBound: 0
; FloatMode: 240
; IeeeMode: 1
; LDSByteSize: 288 bytes/workgroup (compile time only)
; SGPRBlocks: 6
; VGPRBlocks: 20
; NumSGPRsForWavesPerEU: 53
; NumVGPRsForWavesPerEU: 83
; Occupancy: 3
; WaveLimiterHint : 0
; COMPUTE_PGM_RSRC2:SCRATCH_EN: 1
; COMPUTE_PGM_RSRC2:USER_SGPR: 6
; COMPUTE_PGM_RSRC2:TRAP_HANDLER: 0
; COMPUTE_PGM_RSRC2:TGID_X_EN: 1
; COMPUTE_PGM_RSRC2:TGID_Y_EN: 0
; COMPUTE_PGM_RSRC2:TGID_Z_EN: 0
; COMPUTE_PGM_RSRC2:TIDIG_COMP_CNT: 0
	.section	.text._ZN9rocsolver6v33100L18trti2_kernel_smallILi37EfPfEEv13rocblas_fill_17rocblas_diagonal_T1_iil,"axG",@progbits,_ZN9rocsolver6v33100L18trti2_kernel_smallILi37EfPfEEv13rocblas_fill_17rocblas_diagonal_T1_iil,comdat
	.globl	_ZN9rocsolver6v33100L18trti2_kernel_smallILi37EfPfEEv13rocblas_fill_17rocblas_diagonal_T1_iil ; -- Begin function _ZN9rocsolver6v33100L18trti2_kernel_smallILi37EfPfEEv13rocblas_fill_17rocblas_diagonal_T1_iil
	.p2align	8
	.type	_ZN9rocsolver6v33100L18trti2_kernel_smallILi37EfPfEEv13rocblas_fill_17rocblas_diagonal_T1_iil,@function
_ZN9rocsolver6v33100L18trti2_kernel_smallILi37EfPfEEv13rocblas_fill_17rocblas_diagonal_T1_iil: ; @_ZN9rocsolver6v33100L18trti2_kernel_smallILi37EfPfEEv13rocblas_fill_17rocblas_diagonal_T1_iil
; %bb.0:
	s_add_u32 s0, s0, s7
	s_addc_u32 s1, s1, 0
	v_cmp_gt_u32_e32 vcc, 37, v0
	s_and_saveexec_b64 s[8:9], vcc
	s_cbranch_execz .LBB36_710
; %bb.1:
	s_load_dwordx8 s[8:15], s[4:5], 0x0
	s_ashr_i32 s7, s6, 31
	v_lshlrev_b32_e32 v75, 2, v0
	s_waitcnt lgkmcnt(0)
	s_ashr_i32 s5, s12, 31
	s_mov_b32 s4, s12
	s_mul_hi_u32 s12, s14, s6
	s_mul_i32 s7, s14, s7
	s_add_i32 s7, s12, s7
	s_mul_i32 s12, s15, s6
	s_add_i32 s7, s7, s12
	s_mul_i32 s6, s14, s6
	s_lshl_b64 s[6:7], s[6:7], 2
	s_add_u32 s6, s10, s6
	s_addc_u32 s7, s11, s7
	s_lshl_b64 s[4:5], s[4:5], 2
	s_add_u32 s4, s6, s4
	s_addc_u32 s5, s7, s5
	s_add_i32 s6, s13, s13
	v_add_u32_e32 v3, s6, v0
	v_ashrrev_i32_e32 v4, 31, v3
	v_lshlrev_b64 v[1:2], 2, v[3:4]
	v_add_u32_e32 v5, s13, v3
	v_add_co_u32_e32 v1, vcc, s4, v1
	v_mov_b32_e32 v4, s5
	v_ashrrev_i32_e32 v6, 31, v5
	v_addc_co_u32_e32 v2, vcc, v4, v2, vcc
	v_lshlrev_b64 v[3:4], 2, v[5:6]
	v_add_u32_e32 v7, s13, v5
	v_add_co_u32_e32 v3, vcc, s4, v3
	v_mov_b32_e32 v6, s5
	v_ashrrev_i32_e32 v8, 31, v7
	v_addc_co_u32_e32 v4, vcc, v6, v4, vcc
	v_lshlrev_b64 v[5:6], 2, v[7:8]
	v_add_u32_e32 v9, s13, v7
	v_add_co_u32_e32 v5, vcc, s4, v5
	v_mov_b32_e32 v8, s5
	v_ashrrev_i32_e32 v10, 31, v9
	v_addc_co_u32_e32 v6, vcc, v8, v6, vcc
	v_lshlrev_b64 v[7:8], 2, v[9:10]
	v_add_u32_e32 v11, s13, v9
	v_add_co_u32_e32 v7, vcc, s4, v7
	v_mov_b32_e32 v10, s5
	v_ashrrev_i32_e32 v12, 31, v11
	v_addc_co_u32_e32 v8, vcc, v10, v8, vcc
	v_lshlrev_b64 v[9:10], 2, v[11:12]
	v_add_u32_e32 v13, s13, v11
	v_add_co_u32_e32 v9, vcc, s4, v9
	v_mov_b32_e32 v12, s5
	v_ashrrev_i32_e32 v14, 31, v13
	v_addc_co_u32_e32 v10, vcc, v12, v10, vcc
	v_lshlrev_b64 v[11:12], 2, v[13:14]
	v_add_u32_e32 v15, s13, v13
	v_add_co_u32_e32 v11, vcc, s4, v11
	v_mov_b32_e32 v14, s5
	v_ashrrev_i32_e32 v16, 31, v15
	v_addc_co_u32_e32 v12, vcc, v14, v12, vcc
	v_lshlrev_b64 v[13:14], 2, v[15:16]
	v_add_u32_e32 v17, s13, v15
	v_add_co_u32_e32 v13, vcc, s4, v13
	v_mov_b32_e32 v16, s5
	v_ashrrev_i32_e32 v18, 31, v17
	v_addc_co_u32_e32 v14, vcc, v16, v14, vcc
	v_lshlrev_b64 v[15:16], 2, v[17:18]
	v_add_u32_e32 v19, s13, v17
	v_add_co_u32_e32 v15, vcc, s4, v15
	v_mov_b32_e32 v18, s5
	v_ashrrev_i32_e32 v20, 31, v19
	v_addc_co_u32_e32 v16, vcc, v18, v16, vcc
	v_lshlrev_b64 v[17:18], 2, v[19:20]
	v_add_u32_e32 v21, s13, v19
	v_add_co_u32_e32 v17, vcc, s4, v17
	v_mov_b32_e32 v20, s5
	v_ashrrev_i32_e32 v22, 31, v21
	v_addc_co_u32_e32 v18, vcc, v20, v18, vcc
	v_lshlrev_b64 v[19:20], 2, v[21:22]
	v_add_u32_e32 v23, s13, v21
	v_add_co_u32_e32 v19, vcc, s4, v19
	v_mov_b32_e32 v22, s5
	v_ashrrev_i32_e32 v24, 31, v23
	v_addc_co_u32_e32 v20, vcc, v22, v20, vcc
	v_lshlrev_b64 v[21:22], 2, v[23:24]
	v_add_u32_e32 v25, s13, v23
	v_add_co_u32_e32 v21, vcc, s4, v21
	v_mov_b32_e32 v24, s5
	v_ashrrev_i32_e32 v26, 31, v25
	v_addc_co_u32_e32 v22, vcc, v24, v22, vcc
	v_lshlrev_b64 v[23:24], 2, v[25:26]
	v_add_u32_e32 v27, s13, v25
	v_add_co_u32_e32 v23, vcc, s4, v23
	v_mov_b32_e32 v26, s5
	v_ashrrev_i32_e32 v28, 31, v27
	v_addc_co_u32_e32 v24, vcc, v26, v24, vcc
	v_lshlrev_b64 v[25:26], 2, v[27:28]
	v_add_u32_e32 v29, s13, v27
	v_add_co_u32_e32 v25, vcc, s4, v25
	v_mov_b32_e32 v28, s5
	v_ashrrev_i32_e32 v30, 31, v29
	v_addc_co_u32_e32 v26, vcc, v28, v26, vcc
	v_lshlrev_b64 v[27:28], 2, v[29:30]
	v_add_u32_e32 v31, s13, v29
	v_add_co_u32_e32 v27, vcc, s4, v27
	v_mov_b32_e32 v30, s5
	v_ashrrev_i32_e32 v32, 31, v31
	v_addc_co_u32_e32 v28, vcc, v30, v28, vcc
	v_lshlrev_b64 v[29:30], 2, v[31:32]
	v_add_u32_e32 v33, s13, v31
	global_load_dword v73, v75, s[4:5]
	v_add_co_u32_e32 v29, vcc, s4, v29
	v_mov_b32_e32 v32, s5
	v_ashrrev_i32_e32 v34, 31, v33
	v_addc_co_u32_e32 v30, vcc, v32, v30, vcc
	v_lshlrev_b64 v[31:32], 2, v[33:34]
	v_add_u32_e32 v35, s13, v33
	v_add_co_u32_e32 v31, vcc, s4, v31
	v_mov_b32_e32 v34, s5
	v_ashrrev_i32_e32 v36, 31, v35
	v_addc_co_u32_e32 v32, vcc, v34, v32, vcc
	v_lshlrev_b64 v[33:34], 2, v[35:36]
	v_add_u32_e32 v37, s13, v35
	;; [unrolled: 6-line block ×10, first 2 shown]
	v_mov_b32_e32 v52, s5
	v_add_co_u32_e32 v49, vcc, s4, v49
	v_ashrrev_i32_e32 v54, 31, v53
	v_addc_co_u32_e32 v50, vcc, v52, v50, vcc
	v_lshlrev_b64 v[51:52], 2, v[53:54]
	v_mov_b32_e32 v55, s5
	v_add_co_u32_e32 v51, vcc, s4, v51
	v_addc_co_u32_e32 v52, vcc, v55, v52, vcc
	v_add_u32_e32 v55, s13, v53
	v_ashrrev_i32_e32 v56, 31, v55
	v_lshlrev_b64 v[53:54], 2, v[55:56]
	v_mov_b32_e32 v57, s5
	v_add_co_u32_e32 v53, vcc, s4, v53
	v_addc_co_u32_e32 v54, vcc, v57, v54, vcc
	v_add_u32_e32 v57, s13, v55
	v_ashrrev_i32_e32 v58, 31, v57
	;; [unrolled: 6-line block ×8, first 2 shown]
	v_lshlrev_b64 v[67:68], 2, v[69:70]
	v_add_u32_e32 v69, s13, v69
	v_ashrrev_i32_e32 v70, 31, v69
	v_mov_b32_e32 v71, s5
	v_add_co_u32_e32 v67, vcc, s4, v67
	v_lshlrev_b64 v[69:70], 2, v[69:70]
	v_addc_co_u32_e32 v68, vcc, v71, v68, vcc
	v_add_co_u32_e32 v69, vcc, s4, v69
	v_addc_co_u32_e32 v70, vcc, v71, v70, vcc
	v_mov_b32_e32 v72, s5
	v_add_co_u32_e32 v71, vcc, s4, v75
	s_ashr_i32 s5, s13, 31
	s_mov_b32 s4, s13
	v_addc_co_u32_e32 v72, vcc, 0, v72, vcc
	s_lshl_b64 s[4:5], s[4:5], 2
	s_waitcnt vmcnt(0)
	buffer_store_dword v73, off, s[0:3], 0
	v_mov_b32_e32 v74, s5
	v_add_co_u32_e32 v73, vcc, s4, v71
	v_addc_co_u32_e32 v74, vcc, v72, v74, vcc
	global_load_dword v76, v[73:74], off
	s_cmpk_lg_i32 s9, 0x84
	s_movk_i32 s12, 0x84
	s_cselect_b64 s[10:11], -1, 0
	s_cmpk_eq_i32 s9, 0x84
	s_waitcnt vmcnt(0)
	buffer_store_dword v76, off, s[0:3], 0 offset:4
	global_load_dword v76, v[1:2], off
	s_waitcnt vmcnt(0)
	buffer_store_dword v76, off, s[0:3], 0 offset:8
	global_load_dword v76, v[3:4], off
	;; [unrolled: 3-line block ×35, first 2 shown]
	s_waitcnt vmcnt(0)
	buffer_store_dword v76, off, s[0:3], 0 offset:144
	v_mov_b32_e32 v76, -1.0
	s_cbranch_scc1 .LBB36_3
; %bb.2:
	v_mov_b32_e32 v76, 0
	v_lshl_add_u32 v76, v0, 2, v76
	buffer_load_dword v77, v76, s[0:3], 0 offen
	s_waitcnt vmcnt(0)
	v_div_scale_f32 v78, s[4:5], v77, v77, 1.0
	v_div_scale_f32 v79, vcc, 1.0, v77, 1.0
	v_rcp_f32_e32 v80, v78
	v_fma_f32 v81, -v78, v80, 1.0
	v_fmac_f32_e32 v80, v81, v80
	v_mul_f32_e32 v81, v79, v80
	v_fma_f32 v82, -v78, v81, v79
	v_fmac_f32_e32 v81, v82, v80
	v_fma_f32 v78, -v78, v81, v79
	v_div_fmas_f32 v78, v78, v80, v81
	v_div_fixup_f32 v77, v78, v77, 1.0
	buffer_store_dword v77, v76, s[0:3], 0 offen
	v_xor_b32_e32 v76, 0x80000000, v77
.LBB36_3:
	ds_write_b32 v75, v76
	s_cmpk_eq_i32 s8, 0x79
	v_add_u32_e32 v76, 0xa0, v75
	v_mov_b32_e32 v77, v75
	s_mov_b64 s[4:5], -1
	s_cbranch_scc1 .LBB36_357
; %bb.4:
	buffer_load_dword v78, off, s[0:3], 0 offset:140
	s_movk_i32 s30, 0x44
	s_movk_i32 s31, 0x48
	;; [unrolled: 1-line block ×17, first 2 shown]
	v_cmp_eq_u32_e64 s[4:5], 36, v0
	s_waitcnt vmcnt(0)
	ds_write_b32 v76, v78
	s_waitcnt lgkmcnt(0)
	; wave barrier
	s_and_saveexec_b64 s[6:7], s[4:5]
	s_cbranch_execz .LBB36_10
; %bb.5:
	s_and_b64 vcc, exec, s[10:11]
	s_cbranch_vccz .LBB36_7
; %bb.6:
	buffer_load_dword v78, v77, s[0:3], 0 offen
	ds_read_b32 v79, v76
	s_waitcnt vmcnt(0) lgkmcnt(0)
	v_mul_f32_e32 v78, v78, v79
	s_cbranch_execz .LBB36_8
	s_branch .LBB36_9
.LBB36_7:
                                        ; implicit-def: $vgpr78
.LBB36_8:
	ds_read_b32 v78, v76
.LBB36_9:
	v_mov_b32_e32 v79, 0
	ds_read_b32 v79, v79 offset:140
	s_waitcnt lgkmcnt(0)
	v_mul_f32_e32 v78, v78, v79
	buffer_store_dword v78, off, s[0:3], 0 offset:140
.LBB36_10:
	s_or_b64 exec, exec, s[6:7]
	buffer_load_dword v78, off, s[0:3], 0 offset:136
	s_or_b32 s14, 0, 4
	s_or_b32 s15, 0, 8
	s_or_b32 s16, 0, 12
	s_mov_b32 s17, 16
	s_mov_b32 s18, 20
	;; [unrolled: 1-line block ×15, first 2 shown]
	v_cmp_lt_u32_e64 s[6:7], 34, v0
	s_waitcnt vmcnt(0)
	ds_write_b32 v76, v78
	s_waitcnt lgkmcnt(0)
	; wave barrier
	s_and_saveexec_b64 s[8:9], s[6:7]
	s_cbranch_execz .LBB36_16
; %bb.11:
	s_andn2_b64 vcc, exec, s[10:11]
	s_cbranch_vccnz .LBB36_13
; %bb.12:
	buffer_load_dword v78, v77, s[0:3], 0 offen
	ds_read_b32 v79, v76
	s_waitcnt vmcnt(0) lgkmcnt(0)
	v_mul_f32_e32 v78, v78, v79
	s_cbranch_execz .LBB36_14
	s_branch .LBB36_15
.LBB36_13:
                                        ; implicit-def: $vgpr78
.LBB36_14:
	ds_read_b32 v78, v76
.LBB36_15:
	buffer_load_dword v81, off, s[0:3], 0 offset:140
	v_mov_b32_e32 v79, 0
	ds_read2_b32 v[79:80], v79 offset0:34 offset1:75
	s_waitcnt vmcnt(0) lgkmcnt(0)
	v_fma_f32 v80, v81, v80, v78
	v_cndmask_b32_e64 v78, v78, v80, s[4:5]
	v_mul_f32_e32 v78, v78, v79
	buffer_store_dword v78, off, s[0:3], 0 offset:136
.LBB36_16:
	s_or_b64 exec, exec, s[8:9]
	buffer_load_dword v78, off, s[0:3], 0 offset:132
	v_cmp_lt_u32_e64 s[4:5], 33, v0
	s_waitcnt vmcnt(0)
	ds_write_b32 v76, v78
	s_waitcnt lgkmcnt(0)
	; wave barrier
	s_and_saveexec_b64 s[8:9], s[4:5]
	s_cbranch_execz .LBB36_26
; %bb.17:
	s_andn2_b64 vcc, exec, s[10:11]
	s_cbranch_vccnz .LBB36_19
; %bb.18:
	buffer_load_dword v78, v77, s[0:3], 0 offen
	ds_read_b32 v79, v76
	s_waitcnt vmcnt(0) lgkmcnt(0)
	v_mul_f32_e32 v78, v78, v79
	s_cbranch_execz .LBB36_20
	s_branch .LBB36_21
.LBB36_19:
                                        ; implicit-def: $vgpr78
.LBB36_20:
	ds_read_b32 v78, v76
.LBB36_21:
	s_and_saveexec_b64 s[12:13], s[6:7]
	s_cbranch_execz .LBB36_25
; %bb.22:
	v_subrev_u32_e32 v79, 34, v0
	s_movk_i32 s49, 0x128
	s_mov_b64 s[6:7], 0
.LBB36_23:                              ; =>This Inner Loop Header: Depth=1
	v_mov_b32_e32 v80, s48
	buffer_load_dword v80, v80, s[0:3], 0 offen
	v_mov_b32_e32 v81, s49
	ds_read_b32 v81, v81
	v_add_u32_e32 v79, -1, v79
	s_add_i32 s49, s49, 4
	s_add_i32 s48, s48, 4
	v_cmp_eq_u32_e32 vcc, 0, v79
	s_or_b64 s[6:7], vcc, s[6:7]
	s_waitcnt vmcnt(0) lgkmcnt(0)
	v_fmac_f32_e32 v78, v80, v81
	s_andn2_b64 exec, exec, s[6:7]
	s_cbranch_execnz .LBB36_23
; %bb.24:
	s_or_b64 exec, exec, s[6:7]
.LBB36_25:
	s_or_b64 exec, exec, s[12:13]
	v_mov_b32_e32 v79, 0
	ds_read_b32 v79, v79 offset:132
	s_waitcnt lgkmcnt(0)
	v_mul_f32_e32 v78, v78, v79
	buffer_store_dword v78, off, s[0:3], 0 offset:132
.LBB36_26:
	s_or_b64 exec, exec, s[8:9]
	buffer_load_dword v78, off, s[0:3], 0 offset:128
	v_cmp_lt_u32_e64 s[6:7], 32, v0
	s_waitcnt vmcnt(0)
	ds_write_b32 v76, v78
	s_waitcnt lgkmcnt(0)
	; wave barrier
	s_and_saveexec_b64 s[8:9], s[6:7]
	s_cbranch_execz .LBB36_36
; %bb.27:
	s_andn2_b64 vcc, exec, s[10:11]
	s_cbranch_vccnz .LBB36_29
; %bb.28:
	buffer_load_dword v78, v77, s[0:3], 0 offen
	ds_read_b32 v79, v76
	s_waitcnt vmcnt(0) lgkmcnt(0)
	v_mul_f32_e32 v78, v78, v79
	s_cbranch_execz .LBB36_30
	s_branch .LBB36_31
.LBB36_29:
                                        ; implicit-def: $vgpr78
.LBB36_30:
	ds_read_b32 v78, v76
.LBB36_31:
	s_and_saveexec_b64 s[12:13], s[4:5]
	s_cbranch_execz .LBB36_35
; %bb.32:
	v_subrev_u32_e32 v79, 33, v0
	s_movk_i32 s48, 0x124
	s_mov_b64 s[4:5], 0
.LBB36_33:                              ; =>This Inner Loop Header: Depth=1
	v_mov_b32_e32 v80, s47
	buffer_load_dword v80, v80, s[0:3], 0 offen
	v_mov_b32_e32 v81, s48
	ds_read_b32 v81, v81
	v_add_u32_e32 v79, -1, v79
	s_add_i32 s48, s48, 4
	s_add_i32 s47, s47, 4
	v_cmp_eq_u32_e32 vcc, 0, v79
	s_or_b64 s[4:5], vcc, s[4:5]
	s_waitcnt vmcnt(0) lgkmcnt(0)
	v_fmac_f32_e32 v78, v80, v81
	s_andn2_b64 exec, exec, s[4:5]
	s_cbranch_execnz .LBB36_33
; %bb.34:
	s_or_b64 exec, exec, s[4:5]
.LBB36_35:
	s_or_b64 exec, exec, s[12:13]
	v_mov_b32_e32 v79, 0
	ds_read_b32 v79, v79 offset:128
	s_waitcnt lgkmcnt(0)
	v_mul_f32_e32 v78, v78, v79
	buffer_store_dword v78, off, s[0:3], 0 offset:128
.LBB36_36:
	;; [unrolled: 54-line block ×8, first 2 shown]
	s_or_b64 exec, exec, s[8:9]
	buffer_load_dword v78, off, s[0:3], 0 offset:100
	v_cmp_lt_u32_e64 s[4:5], 25, v0
	s_waitcnt vmcnt(0)
	ds_write_b32 v76, v78
	s_waitcnt lgkmcnt(0)
	; wave barrier
	s_and_saveexec_b64 s[8:9], s[4:5]
	s_cbranch_execz .LBB36_106
; %bb.97:
	s_andn2_b64 vcc, exec, s[10:11]
	s_cbranch_vccnz .LBB36_99
; %bb.98:
	buffer_load_dword v78, v77, s[0:3], 0 offen
	ds_read_b32 v79, v76
	s_waitcnt vmcnt(0) lgkmcnt(0)
	v_mul_f32_e32 v78, v78, v79
	s_cbranch_execz .LBB36_100
	s_branch .LBB36_101
.LBB36_99:
                                        ; implicit-def: $vgpr78
.LBB36_100:
	ds_read_b32 v78, v76
.LBB36_101:
	s_and_saveexec_b64 s[12:13], s[6:7]
	s_cbranch_execz .LBB36_105
; %bb.102:
	v_subrev_u32_e32 v79, 26, v0
	s_movk_i32 s41, 0x108
	s_mov_b64 s[6:7], 0
.LBB36_103:                             ; =>This Inner Loop Header: Depth=1
	v_mov_b32_e32 v80, s40
	buffer_load_dword v80, v80, s[0:3], 0 offen
	v_mov_b32_e32 v81, s41
	ds_read_b32 v81, v81
	v_add_u32_e32 v79, -1, v79
	s_add_i32 s41, s41, 4
	s_add_i32 s40, s40, 4
	v_cmp_eq_u32_e32 vcc, 0, v79
	s_or_b64 s[6:7], vcc, s[6:7]
	s_waitcnt vmcnt(0) lgkmcnt(0)
	v_fmac_f32_e32 v78, v80, v81
	s_andn2_b64 exec, exec, s[6:7]
	s_cbranch_execnz .LBB36_103
; %bb.104:
	s_or_b64 exec, exec, s[6:7]
.LBB36_105:
	s_or_b64 exec, exec, s[12:13]
	v_mov_b32_e32 v79, 0
	ds_read_b32 v79, v79 offset:100
	s_waitcnt lgkmcnt(0)
	v_mul_f32_e32 v78, v78, v79
	buffer_store_dword v78, off, s[0:3], 0 offset:100
.LBB36_106:
	s_or_b64 exec, exec, s[8:9]
	buffer_load_dword v78, off, s[0:3], 0 offset:96
	v_cmp_lt_u32_e64 s[6:7], 24, v0
	s_waitcnt vmcnt(0)
	ds_write_b32 v76, v78
	s_waitcnt lgkmcnt(0)
	; wave barrier
	s_and_saveexec_b64 s[8:9], s[6:7]
	s_cbranch_execz .LBB36_116
; %bb.107:
	s_andn2_b64 vcc, exec, s[10:11]
	s_cbranch_vccnz .LBB36_109
; %bb.108:
	buffer_load_dword v78, v77, s[0:3], 0 offen
	ds_read_b32 v79, v76
	s_waitcnt vmcnt(0) lgkmcnt(0)
	v_mul_f32_e32 v78, v78, v79
	s_cbranch_execz .LBB36_110
	s_branch .LBB36_111
.LBB36_109:
                                        ; implicit-def: $vgpr78
.LBB36_110:
	ds_read_b32 v78, v76
.LBB36_111:
	s_and_saveexec_b64 s[12:13], s[4:5]
	s_cbranch_execz .LBB36_115
; %bb.112:
	v_subrev_u32_e32 v79, 25, v0
	s_movk_i32 s40, 0x104
	s_mov_b64 s[4:5], 0
.LBB36_113:                             ; =>This Inner Loop Header: Depth=1
	v_mov_b32_e32 v80, s39
	buffer_load_dword v80, v80, s[0:3], 0 offen
	v_mov_b32_e32 v81, s40
	ds_read_b32 v81, v81
	v_add_u32_e32 v79, -1, v79
	s_add_i32 s40, s40, 4
	s_add_i32 s39, s39, 4
	v_cmp_eq_u32_e32 vcc, 0, v79
	s_or_b64 s[4:5], vcc, s[4:5]
	s_waitcnt vmcnt(0) lgkmcnt(0)
	v_fmac_f32_e32 v78, v80, v81
	s_andn2_b64 exec, exec, s[4:5]
	s_cbranch_execnz .LBB36_113
; %bb.114:
	s_or_b64 exec, exec, s[4:5]
.LBB36_115:
	s_or_b64 exec, exec, s[12:13]
	v_mov_b32_e32 v79, 0
	ds_read_b32 v79, v79 offset:96
	s_waitcnt lgkmcnt(0)
	v_mul_f32_e32 v78, v78, v79
	buffer_store_dword v78, off, s[0:3], 0 offset:96
.LBB36_116:
	s_or_b64 exec, exec, s[8:9]
	buffer_load_dword v78, off, s[0:3], 0 offset:92
	v_cmp_lt_u32_e64 s[4:5], 23, v0
	s_waitcnt vmcnt(0)
	ds_write_b32 v76, v78
	s_waitcnt lgkmcnt(0)
	; wave barrier
	s_and_saveexec_b64 s[8:9], s[4:5]
	s_cbranch_execz .LBB36_126
; %bb.117:
	s_andn2_b64 vcc, exec, s[10:11]
	s_cbranch_vccnz .LBB36_119
; %bb.118:
	buffer_load_dword v78, v77, s[0:3], 0 offen
	ds_read_b32 v79, v76
	s_waitcnt vmcnt(0) lgkmcnt(0)
	v_mul_f32_e32 v78, v78, v79
	s_cbranch_execz .LBB36_120
	s_branch .LBB36_121
.LBB36_119:
                                        ; implicit-def: $vgpr78
.LBB36_120:
	ds_read_b32 v78, v76
.LBB36_121:
	s_and_saveexec_b64 s[12:13], s[6:7]
	s_cbranch_execz .LBB36_125
; %bb.122:
	v_subrev_u32_e32 v79, 24, v0
	s_movk_i32 s39, 0x100
	s_mov_b64 s[6:7], 0
.LBB36_123:                             ; =>This Inner Loop Header: Depth=1
	v_mov_b32_e32 v80, s38
	buffer_load_dword v80, v80, s[0:3], 0 offen
	v_mov_b32_e32 v81, s39
	ds_read_b32 v81, v81
	v_add_u32_e32 v79, -1, v79
	s_add_i32 s39, s39, 4
	s_add_i32 s38, s38, 4
	v_cmp_eq_u32_e32 vcc, 0, v79
	s_or_b64 s[6:7], vcc, s[6:7]
	s_waitcnt vmcnt(0) lgkmcnt(0)
	v_fmac_f32_e32 v78, v80, v81
	s_andn2_b64 exec, exec, s[6:7]
	s_cbranch_execnz .LBB36_123
; %bb.124:
	s_or_b64 exec, exec, s[6:7]
.LBB36_125:
	s_or_b64 exec, exec, s[12:13]
	v_mov_b32_e32 v79, 0
	ds_read_b32 v79, v79 offset:92
	s_waitcnt lgkmcnt(0)
	v_mul_f32_e32 v78, v78, v79
	buffer_store_dword v78, off, s[0:3], 0 offset:92
.LBB36_126:
	s_or_b64 exec, exec, s[8:9]
	buffer_load_dword v78, off, s[0:3], 0 offset:88
	v_cmp_lt_u32_e64 s[6:7], 22, v0
	s_waitcnt vmcnt(0)
	ds_write_b32 v76, v78
	s_waitcnt lgkmcnt(0)
	; wave barrier
	s_and_saveexec_b64 s[8:9], s[6:7]
	s_cbranch_execz .LBB36_136
; %bb.127:
	s_andn2_b64 vcc, exec, s[10:11]
	s_cbranch_vccnz .LBB36_129
; %bb.128:
	buffer_load_dword v78, v77, s[0:3], 0 offen
	ds_read_b32 v79, v76
	s_waitcnt vmcnt(0) lgkmcnt(0)
	v_mul_f32_e32 v78, v78, v79
	s_cbranch_execz .LBB36_130
	s_branch .LBB36_131
.LBB36_129:
                                        ; implicit-def: $vgpr78
.LBB36_130:
	ds_read_b32 v78, v76
.LBB36_131:
	s_and_saveexec_b64 s[12:13], s[4:5]
	s_cbranch_execz .LBB36_135
; %bb.132:
	v_subrev_u32_e32 v79, 23, v0
	s_movk_i32 s38, 0xfc
	s_mov_b64 s[4:5], 0
.LBB36_133:                             ; =>This Inner Loop Header: Depth=1
	v_mov_b32_e32 v80, s37
	buffer_load_dword v80, v80, s[0:3], 0 offen
	v_mov_b32_e32 v81, s38
	ds_read_b32 v81, v81
	v_add_u32_e32 v79, -1, v79
	s_add_i32 s38, s38, 4
	s_add_i32 s37, s37, 4
	v_cmp_eq_u32_e32 vcc, 0, v79
	s_or_b64 s[4:5], vcc, s[4:5]
	s_waitcnt vmcnt(0) lgkmcnt(0)
	v_fmac_f32_e32 v78, v80, v81
	s_andn2_b64 exec, exec, s[4:5]
	s_cbranch_execnz .LBB36_133
; %bb.134:
	s_or_b64 exec, exec, s[4:5]
.LBB36_135:
	s_or_b64 exec, exec, s[12:13]
	v_mov_b32_e32 v79, 0
	ds_read_b32 v79, v79 offset:88
	s_waitcnt lgkmcnt(0)
	v_mul_f32_e32 v78, v78, v79
	buffer_store_dword v78, off, s[0:3], 0 offset:88
.LBB36_136:
	s_or_b64 exec, exec, s[8:9]
	buffer_load_dword v78, off, s[0:3], 0 offset:84
	v_cmp_lt_u32_e64 s[4:5], 21, v0
	s_waitcnt vmcnt(0)
	ds_write_b32 v76, v78
	s_waitcnt lgkmcnt(0)
	; wave barrier
	s_and_saveexec_b64 s[8:9], s[4:5]
	s_cbranch_execz .LBB36_146
; %bb.137:
	s_andn2_b64 vcc, exec, s[10:11]
	s_cbranch_vccnz .LBB36_139
; %bb.138:
	buffer_load_dword v78, v77, s[0:3], 0 offen
	ds_read_b32 v79, v76
	s_waitcnt vmcnt(0) lgkmcnt(0)
	v_mul_f32_e32 v78, v78, v79
	s_cbranch_execz .LBB36_140
	s_branch .LBB36_141
.LBB36_139:
                                        ; implicit-def: $vgpr78
.LBB36_140:
	ds_read_b32 v78, v76
.LBB36_141:
	s_and_saveexec_b64 s[12:13], s[6:7]
	s_cbranch_execz .LBB36_145
; %bb.142:
	v_subrev_u32_e32 v79, 22, v0
	s_movk_i32 s37, 0xf8
	s_mov_b64 s[6:7], 0
.LBB36_143:                             ; =>This Inner Loop Header: Depth=1
	v_mov_b32_e32 v80, s36
	buffer_load_dword v80, v80, s[0:3], 0 offen
	v_mov_b32_e32 v81, s37
	ds_read_b32 v81, v81
	v_add_u32_e32 v79, -1, v79
	s_add_i32 s37, s37, 4
	s_add_i32 s36, s36, 4
	v_cmp_eq_u32_e32 vcc, 0, v79
	s_or_b64 s[6:7], vcc, s[6:7]
	s_waitcnt vmcnt(0) lgkmcnt(0)
	v_fmac_f32_e32 v78, v80, v81
	s_andn2_b64 exec, exec, s[6:7]
	s_cbranch_execnz .LBB36_143
; %bb.144:
	s_or_b64 exec, exec, s[6:7]
.LBB36_145:
	s_or_b64 exec, exec, s[12:13]
	v_mov_b32_e32 v79, 0
	ds_read_b32 v79, v79 offset:84
	s_waitcnt lgkmcnt(0)
	v_mul_f32_e32 v78, v78, v79
	buffer_store_dword v78, off, s[0:3], 0 offset:84
.LBB36_146:
	s_or_b64 exec, exec, s[8:9]
	buffer_load_dword v78, off, s[0:3], 0 offset:80
	v_cmp_lt_u32_e64 s[6:7], 20, v0
	s_waitcnt vmcnt(0)
	ds_write_b32 v76, v78
	s_waitcnt lgkmcnt(0)
	; wave barrier
	s_and_saveexec_b64 s[8:9], s[6:7]
	s_cbranch_execz .LBB36_156
; %bb.147:
	s_andn2_b64 vcc, exec, s[10:11]
	s_cbranch_vccnz .LBB36_149
; %bb.148:
	buffer_load_dword v78, v77, s[0:3], 0 offen
	ds_read_b32 v79, v76
	s_waitcnt vmcnt(0) lgkmcnt(0)
	v_mul_f32_e32 v78, v78, v79
	s_cbranch_execz .LBB36_150
	s_branch .LBB36_151
.LBB36_149:
                                        ; implicit-def: $vgpr78
.LBB36_150:
	ds_read_b32 v78, v76
.LBB36_151:
	s_and_saveexec_b64 s[12:13], s[4:5]
	s_cbranch_execz .LBB36_155
; %bb.152:
	v_subrev_u32_e32 v79, 21, v0
	s_movk_i32 s36, 0xf4
	s_mov_b64 s[4:5], 0
.LBB36_153:                             ; =>This Inner Loop Header: Depth=1
	v_mov_b32_e32 v80, s35
	buffer_load_dword v80, v80, s[0:3], 0 offen
	v_mov_b32_e32 v81, s36
	ds_read_b32 v81, v81
	v_add_u32_e32 v79, -1, v79
	s_add_i32 s36, s36, 4
	s_add_i32 s35, s35, 4
	v_cmp_eq_u32_e32 vcc, 0, v79
	s_or_b64 s[4:5], vcc, s[4:5]
	s_waitcnt vmcnt(0) lgkmcnt(0)
	v_fmac_f32_e32 v78, v80, v81
	s_andn2_b64 exec, exec, s[4:5]
	s_cbranch_execnz .LBB36_153
; %bb.154:
	s_or_b64 exec, exec, s[4:5]
.LBB36_155:
	s_or_b64 exec, exec, s[12:13]
	v_mov_b32_e32 v79, 0
	ds_read_b32 v79, v79 offset:80
	s_waitcnt lgkmcnt(0)
	v_mul_f32_e32 v78, v78, v79
	buffer_store_dword v78, off, s[0:3], 0 offset:80
.LBB36_156:
	s_or_b64 exec, exec, s[8:9]
	buffer_load_dword v78, off, s[0:3], 0 offset:76
	v_cmp_lt_u32_e64 s[4:5], 19, v0
	s_waitcnt vmcnt(0)
	ds_write_b32 v76, v78
	s_waitcnt lgkmcnt(0)
	; wave barrier
	s_and_saveexec_b64 s[8:9], s[4:5]
	s_cbranch_execz .LBB36_166
; %bb.157:
	s_andn2_b64 vcc, exec, s[10:11]
	s_cbranch_vccnz .LBB36_159
; %bb.158:
	buffer_load_dword v78, v77, s[0:3], 0 offen
	ds_read_b32 v79, v76
	s_waitcnt vmcnt(0) lgkmcnt(0)
	v_mul_f32_e32 v78, v78, v79
	s_cbranch_execz .LBB36_160
	s_branch .LBB36_161
.LBB36_159:
                                        ; implicit-def: $vgpr78
.LBB36_160:
	ds_read_b32 v78, v76
.LBB36_161:
	s_and_saveexec_b64 s[12:13], s[6:7]
	s_cbranch_execz .LBB36_165
; %bb.162:
	v_subrev_u32_e32 v79, 20, v0
	s_movk_i32 s35, 0xf0
	s_mov_b64 s[6:7], 0
.LBB36_163:                             ; =>This Inner Loop Header: Depth=1
	v_mov_b32_e32 v80, s34
	buffer_load_dword v80, v80, s[0:3], 0 offen
	v_mov_b32_e32 v81, s35
	ds_read_b32 v81, v81
	v_add_u32_e32 v79, -1, v79
	s_add_i32 s35, s35, 4
	s_add_i32 s34, s34, 4
	v_cmp_eq_u32_e32 vcc, 0, v79
	s_or_b64 s[6:7], vcc, s[6:7]
	s_waitcnt vmcnt(0) lgkmcnt(0)
	v_fmac_f32_e32 v78, v80, v81
	s_andn2_b64 exec, exec, s[6:7]
	s_cbranch_execnz .LBB36_163
; %bb.164:
	s_or_b64 exec, exec, s[6:7]
.LBB36_165:
	s_or_b64 exec, exec, s[12:13]
	v_mov_b32_e32 v79, 0
	ds_read_b32 v79, v79 offset:76
	s_waitcnt lgkmcnt(0)
	v_mul_f32_e32 v78, v78, v79
	buffer_store_dword v78, off, s[0:3], 0 offset:76
.LBB36_166:
	s_or_b64 exec, exec, s[8:9]
	buffer_load_dword v78, off, s[0:3], 0 offset:72
	v_cmp_lt_u32_e64 s[6:7], 18, v0
	s_waitcnt vmcnt(0)
	ds_write_b32 v76, v78
	s_waitcnt lgkmcnt(0)
	; wave barrier
	s_and_saveexec_b64 s[8:9], s[6:7]
	s_cbranch_execz .LBB36_176
; %bb.167:
	s_andn2_b64 vcc, exec, s[10:11]
	s_cbranch_vccnz .LBB36_169
; %bb.168:
	buffer_load_dword v78, v77, s[0:3], 0 offen
	ds_read_b32 v79, v76
	s_waitcnt vmcnt(0) lgkmcnt(0)
	v_mul_f32_e32 v78, v78, v79
	s_cbranch_execz .LBB36_170
	s_branch .LBB36_171
.LBB36_169:
                                        ; implicit-def: $vgpr78
.LBB36_170:
	ds_read_b32 v78, v76
.LBB36_171:
	s_and_saveexec_b64 s[12:13], s[4:5]
	s_cbranch_execz .LBB36_175
; %bb.172:
	v_subrev_u32_e32 v79, 19, v0
	s_movk_i32 s34, 0xec
	s_mov_b64 s[4:5], 0
.LBB36_173:                             ; =>This Inner Loop Header: Depth=1
	v_mov_b32_e32 v80, s33
	buffer_load_dword v80, v80, s[0:3], 0 offen
	v_mov_b32_e32 v81, s34
	ds_read_b32 v81, v81
	v_add_u32_e32 v79, -1, v79
	s_add_i32 s34, s34, 4
	s_add_i32 s33, s33, 4
	v_cmp_eq_u32_e32 vcc, 0, v79
	s_or_b64 s[4:5], vcc, s[4:5]
	s_waitcnt vmcnt(0) lgkmcnt(0)
	v_fmac_f32_e32 v78, v80, v81
	s_andn2_b64 exec, exec, s[4:5]
	s_cbranch_execnz .LBB36_173
; %bb.174:
	s_or_b64 exec, exec, s[4:5]
.LBB36_175:
	s_or_b64 exec, exec, s[12:13]
	v_mov_b32_e32 v79, 0
	ds_read_b32 v79, v79 offset:72
	s_waitcnt lgkmcnt(0)
	v_mul_f32_e32 v78, v78, v79
	buffer_store_dword v78, off, s[0:3], 0 offset:72
.LBB36_176:
	s_or_b64 exec, exec, s[8:9]
	buffer_load_dword v78, off, s[0:3], 0 offset:68
	v_cmp_lt_u32_e64 s[4:5], 17, v0
	s_waitcnt vmcnt(0)
	ds_write_b32 v76, v78
	s_waitcnt lgkmcnt(0)
	; wave barrier
	s_and_saveexec_b64 s[8:9], s[4:5]
	s_cbranch_execz .LBB36_186
; %bb.177:
	s_andn2_b64 vcc, exec, s[10:11]
	s_cbranch_vccnz .LBB36_179
; %bb.178:
	buffer_load_dword v78, v77, s[0:3], 0 offen
	ds_read_b32 v79, v76
	s_waitcnt vmcnt(0) lgkmcnt(0)
	v_mul_f32_e32 v78, v78, v79
	s_cbranch_execz .LBB36_180
	s_branch .LBB36_181
.LBB36_179:
                                        ; implicit-def: $vgpr78
.LBB36_180:
	ds_read_b32 v78, v76
.LBB36_181:
	s_and_saveexec_b64 s[12:13], s[6:7]
	s_cbranch_execz .LBB36_185
; %bb.182:
	v_subrev_u32_e32 v79, 18, v0
	s_movk_i32 s33, 0xe8
	s_mov_b64 s[6:7], 0
.LBB36_183:                             ; =>This Inner Loop Header: Depth=1
	v_mov_b32_e32 v80, s31
	buffer_load_dword v80, v80, s[0:3], 0 offen
	v_mov_b32_e32 v81, s33
	ds_read_b32 v81, v81
	v_add_u32_e32 v79, -1, v79
	s_add_i32 s33, s33, 4
	s_add_i32 s31, s31, 4
	v_cmp_eq_u32_e32 vcc, 0, v79
	s_or_b64 s[6:7], vcc, s[6:7]
	s_waitcnt vmcnt(0) lgkmcnt(0)
	v_fmac_f32_e32 v78, v80, v81
	s_andn2_b64 exec, exec, s[6:7]
	s_cbranch_execnz .LBB36_183
; %bb.184:
	s_or_b64 exec, exec, s[6:7]
.LBB36_185:
	s_or_b64 exec, exec, s[12:13]
	v_mov_b32_e32 v79, 0
	ds_read_b32 v79, v79 offset:68
	s_waitcnt lgkmcnt(0)
	v_mul_f32_e32 v78, v78, v79
	buffer_store_dword v78, off, s[0:3], 0 offset:68
.LBB36_186:
	s_or_b64 exec, exec, s[8:9]
	buffer_load_dword v78, off, s[0:3], 0 offset:64
	v_cmp_lt_u32_e64 s[6:7], 16, v0
	s_waitcnt vmcnt(0)
	ds_write_b32 v76, v78
	s_waitcnt lgkmcnt(0)
	; wave barrier
	s_and_saveexec_b64 s[8:9], s[6:7]
	s_cbranch_execz .LBB36_196
; %bb.187:
	s_andn2_b64 vcc, exec, s[10:11]
	s_cbranch_vccnz .LBB36_189
; %bb.188:
	buffer_load_dword v78, v77, s[0:3], 0 offen
	ds_read_b32 v79, v76
	s_waitcnt vmcnt(0) lgkmcnt(0)
	v_mul_f32_e32 v78, v78, v79
	s_cbranch_execz .LBB36_190
	s_branch .LBB36_191
.LBB36_189:
                                        ; implicit-def: $vgpr78
.LBB36_190:
	ds_read_b32 v78, v76
.LBB36_191:
	s_and_saveexec_b64 s[12:13], s[4:5]
	s_cbranch_execz .LBB36_195
; %bb.192:
	v_subrev_u32_e32 v79, 17, v0
	s_movk_i32 s31, 0xe4
	s_mov_b64 s[4:5], 0
.LBB36_193:                             ; =>This Inner Loop Header: Depth=1
	v_mov_b32_e32 v80, s30
	buffer_load_dword v80, v80, s[0:3], 0 offen
	v_mov_b32_e32 v81, s31
	ds_read_b32 v81, v81
	v_add_u32_e32 v79, -1, v79
	s_add_i32 s31, s31, 4
	s_add_i32 s30, s30, 4
	v_cmp_eq_u32_e32 vcc, 0, v79
	s_or_b64 s[4:5], vcc, s[4:5]
	s_waitcnt vmcnt(0) lgkmcnt(0)
	v_fmac_f32_e32 v78, v80, v81
	s_andn2_b64 exec, exec, s[4:5]
	s_cbranch_execnz .LBB36_193
; %bb.194:
	s_or_b64 exec, exec, s[4:5]
.LBB36_195:
	s_or_b64 exec, exec, s[12:13]
	v_mov_b32_e32 v79, 0
	ds_read_b32 v79, v79 offset:64
	s_waitcnt lgkmcnt(0)
	v_mul_f32_e32 v78, v78, v79
	buffer_store_dword v78, off, s[0:3], 0 offset:64
.LBB36_196:
	s_or_b64 exec, exec, s[8:9]
	buffer_load_dword v78, off, s[0:3], 0 offset:60
	v_cmp_lt_u32_e64 s[4:5], 15, v0
	s_waitcnt vmcnt(0)
	ds_write_b32 v76, v78
	s_waitcnt lgkmcnt(0)
	; wave barrier
	s_and_saveexec_b64 s[8:9], s[4:5]
	s_cbranch_execz .LBB36_206
; %bb.197:
	s_andn2_b64 vcc, exec, s[10:11]
	s_cbranch_vccnz .LBB36_199
; %bb.198:
	buffer_load_dword v78, v77, s[0:3], 0 offen
	ds_read_b32 v79, v76
	s_waitcnt vmcnt(0) lgkmcnt(0)
	v_mul_f32_e32 v78, v78, v79
	s_cbranch_execz .LBB36_200
	s_branch .LBB36_201
.LBB36_199:
                                        ; implicit-def: $vgpr78
.LBB36_200:
	ds_read_b32 v78, v76
.LBB36_201:
	s_and_saveexec_b64 s[12:13], s[6:7]
	s_cbranch_execz .LBB36_205
; %bb.202:
	v_add_u32_e32 v79, -16, v0
	s_movk_i32 s30, 0xe0
	s_mov_b64 s[6:7], 0
.LBB36_203:                             ; =>This Inner Loop Header: Depth=1
	v_mov_b32_e32 v80, s29
	buffer_load_dword v80, v80, s[0:3], 0 offen
	v_mov_b32_e32 v81, s30
	ds_read_b32 v81, v81
	v_add_u32_e32 v79, -1, v79
	s_add_i32 s30, s30, 4
	s_add_i32 s29, s29, 4
	v_cmp_eq_u32_e32 vcc, 0, v79
	s_or_b64 s[6:7], vcc, s[6:7]
	s_waitcnt vmcnt(0) lgkmcnt(0)
	v_fmac_f32_e32 v78, v80, v81
	s_andn2_b64 exec, exec, s[6:7]
	s_cbranch_execnz .LBB36_203
; %bb.204:
	s_or_b64 exec, exec, s[6:7]
.LBB36_205:
	s_or_b64 exec, exec, s[12:13]
	v_mov_b32_e32 v79, 0
	ds_read_b32 v79, v79 offset:60
	s_waitcnt lgkmcnt(0)
	v_mul_f32_e32 v78, v78, v79
	buffer_store_dword v78, off, s[0:3], 0 offset:60
.LBB36_206:
	s_or_b64 exec, exec, s[8:9]
	buffer_load_dword v78, off, s[0:3], 0 offset:56
	v_cmp_lt_u32_e64 s[6:7], 14, v0
	s_waitcnt vmcnt(0)
	ds_write_b32 v76, v78
	s_waitcnt lgkmcnt(0)
	; wave barrier
	s_and_saveexec_b64 s[8:9], s[6:7]
	s_cbranch_execz .LBB36_216
; %bb.207:
	s_andn2_b64 vcc, exec, s[10:11]
	s_cbranch_vccnz .LBB36_209
; %bb.208:
	buffer_load_dword v78, v77, s[0:3], 0 offen
	ds_read_b32 v79, v76
	s_waitcnt vmcnt(0) lgkmcnt(0)
	v_mul_f32_e32 v78, v78, v79
	s_cbranch_execz .LBB36_210
	s_branch .LBB36_211
.LBB36_209:
                                        ; implicit-def: $vgpr78
.LBB36_210:
	ds_read_b32 v78, v76
.LBB36_211:
	s_and_saveexec_b64 s[12:13], s[4:5]
	s_cbranch_execz .LBB36_215
; %bb.212:
	v_add_u32_e32 v79, -15, v0
	s_movk_i32 s29, 0xdc
	s_mov_b64 s[4:5], 0
.LBB36_213:                             ; =>This Inner Loop Header: Depth=1
	v_mov_b32_e32 v80, s28
	buffer_load_dword v80, v80, s[0:3], 0 offen
	v_mov_b32_e32 v81, s29
	ds_read_b32 v81, v81
	v_add_u32_e32 v79, -1, v79
	s_add_i32 s29, s29, 4
	s_add_i32 s28, s28, 4
	v_cmp_eq_u32_e32 vcc, 0, v79
	s_or_b64 s[4:5], vcc, s[4:5]
	s_waitcnt vmcnt(0) lgkmcnt(0)
	v_fmac_f32_e32 v78, v80, v81
	s_andn2_b64 exec, exec, s[4:5]
	s_cbranch_execnz .LBB36_213
; %bb.214:
	s_or_b64 exec, exec, s[4:5]
.LBB36_215:
	s_or_b64 exec, exec, s[12:13]
	v_mov_b32_e32 v79, 0
	ds_read_b32 v79, v79 offset:56
	s_waitcnt lgkmcnt(0)
	v_mul_f32_e32 v78, v78, v79
	buffer_store_dword v78, off, s[0:3], 0 offset:56
.LBB36_216:
	;; [unrolled: 54-line block ×15, first 2 shown]
	s_or_b64 exec, exec, s[8:9]
	buffer_load_dword v78, off, s[0:3], 0
	v_cmp_ne_u32_e32 vcc, 0, v0
	s_waitcnt vmcnt(0)
	ds_write_b32 v76, v78
	s_waitcnt lgkmcnt(0)
	; wave barrier
	s_and_saveexec_b64 s[6:7], vcc
	s_cbranch_execz .LBB36_356
; %bb.347:
	s_andn2_b64 vcc, exec, s[10:11]
	s_cbranch_vccnz .LBB36_349
; %bb.348:
	buffer_load_dword v78, v77, s[0:3], 0 offen
	ds_read_b32 v79, v76
	s_waitcnt vmcnt(0) lgkmcnt(0)
	v_mul_f32_e32 v78, v78, v79
	s_cbranch_execz .LBB36_350
	s_branch .LBB36_351
.LBB36_349:
                                        ; implicit-def: $vgpr78
.LBB36_350:
	ds_read_b32 v78, v76
.LBB36_351:
	s_and_saveexec_b64 s[8:9], s[4:5]
	s_cbranch_execz .LBB36_355
; %bb.352:
	v_add_u32_e32 v79, -1, v0
	s_movk_i32 s12, 0xa4
	s_mov_b64 s[4:5], 0
.LBB36_353:                             ; =>This Inner Loop Header: Depth=1
	v_mov_b32_e32 v80, s14
	buffer_load_dword v80, v80, s[0:3], 0 offen
	v_mov_b32_e32 v81, s12
	ds_read_b32 v81, v81
	v_add_u32_e32 v79, -1, v79
	s_add_i32 s12, s12, 4
	s_add_i32 s14, s14, 4
	v_cmp_eq_u32_e32 vcc, 0, v79
	s_or_b64 s[4:5], vcc, s[4:5]
	s_waitcnt vmcnt(0) lgkmcnt(0)
	v_fmac_f32_e32 v78, v80, v81
	s_andn2_b64 exec, exec, s[4:5]
	s_cbranch_execnz .LBB36_353
; %bb.354:
	s_or_b64 exec, exec, s[4:5]
.LBB36_355:
	s_or_b64 exec, exec, s[8:9]
	v_mov_b32_e32 v79, 0
	ds_read_b32 v79, v79
	s_waitcnt lgkmcnt(0)
	v_mul_f32_e32 v78, v78, v79
	buffer_store_dword v78, off, s[0:3], 0
.LBB36_356:
	s_or_b64 exec, exec, s[6:7]
	s_mov_b64 s[4:5], 0
.LBB36_357:
	s_and_b64 vcc, exec, s[4:5]
	s_cbranch_vccz .LBB36_709
; %bb.358:
	buffer_load_dword v78, off, s[0:3], 0 offset:4
	v_cmp_eq_u32_e64 s[6:7], 0, v0
	s_waitcnt vmcnt(0)
	ds_write_b32 v76, v78
	s_waitcnt lgkmcnt(0)
	; wave barrier
	s_and_saveexec_b64 s[4:5], s[6:7]
	s_cbranch_execz .LBB36_364
; %bb.359:
	s_and_b64 vcc, exec, s[10:11]
	s_cbranch_vccz .LBB36_361
; %bb.360:
	buffer_load_dword v78, v77, s[0:3], 0 offen
	ds_read_b32 v79, v76
	s_waitcnt vmcnt(0) lgkmcnt(0)
	v_mul_f32_e32 v78, v78, v79
	s_cbranch_execz .LBB36_362
	s_branch .LBB36_363
.LBB36_361:
                                        ; implicit-def: $vgpr78
.LBB36_362:
	ds_read_b32 v78, v76
.LBB36_363:
	v_mov_b32_e32 v79, 0
	ds_read_b32 v79, v79 offset:4
	s_waitcnt lgkmcnt(0)
	v_mul_f32_e32 v78, v78, v79
	buffer_store_dword v78, off, s[0:3], 0 offset:4
.LBB36_364:
	s_or_b64 exec, exec, s[4:5]
	buffer_load_dword v78, off, s[0:3], 0 offset:8
	v_cndmask_b32_e64 v79, 0, 1, s[10:11]
	v_cmp_gt_u32_e32 vcc, 2, v0
	v_cmp_ne_u32_e64 s[4:5], 1, v79
	s_waitcnt vmcnt(0)
	ds_write_b32 v76, v78
	s_waitcnt lgkmcnt(0)
	; wave barrier
	s_and_saveexec_b64 s[8:9], vcc
	s_cbranch_execz .LBB36_370
; %bb.365:
	s_and_b64 vcc, exec, s[4:5]
	s_cbranch_vccnz .LBB36_367
; %bb.366:
	buffer_load_dword v78, v77, s[0:3], 0 offen
	ds_read_b32 v79, v76
	s_waitcnt vmcnt(0) lgkmcnt(0)
	v_mul_f32_e32 v78, v78, v79
	s_cbranch_execz .LBB36_368
	s_branch .LBB36_369
.LBB36_367:
                                        ; implicit-def: $vgpr78
.LBB36_368:
	ds_read_b32 v78, v76
.LBB36_369:
	buffer_load_dword v81, off, s[0:3], 0 offset:4
	v_mov_b32_e32 v79, 0
	ds_read2_b32 v[79:80], v79 offset0:2 offset1:41
	s_waitcnt vmcnt(0) lgkmcnt(0)
	v_fma_f32 v80, v81, v80, v78
	v_cndmask_b32_e64 v78, v78, v80, s[6:7]
	v_mul_f32_e32 v78, v78, v79
	buffer_store_dword v78, off, s[0:3], 0 offset:8
.LBB36_370:
	s_or_b64 exec, exec, s[8:9]
	buffer_load_dword v78, off, s[0:3], 0 offset:12
	v_cmp_gt_u32_e32 vcc, 3, v0
	s_waitcnt vmcnt(0)
	ds_write_b32 v76, v78
	s_waitcnt lgkmcnt(0)
	; wave barrier
	s_and_saveexec_b64 s[8:9], vcc
	s_cbranch_execz .LBB36_378
; %bb.371:
	s_and_b64 vcc, exec, s[4:5]
	s_cbranch_vccnz .LBB36_373
; %bb.372:
	buffer_load_dword v78, v77, s[0:3], 0 offen
	ds_read_b32 v79, v76
	s_waitcnt vmcnt(0) lgkmcnt(0)
	v_mul_f32_e32 v78, v78, v79
	s_cbranch_execz .LBB36_374
	s_branch .LBB36_375
.LBB36_373:
                                        ; implicit-def: $vgpr78
.LBB36_374:
	ds_read_b32 v78, v76
.LBB36_375:
	v_cmp_ne_u32_e32 vcc, 2, v0
	s_and_saveexec_b64 s[10:11], vcc
	s_cbranch_execz .LBB36_377
; %bb.376:
	buffer_load_dword v79, v77, s[0:3], 0 offen offset:4
	buffer_load_dword v80, off, s[0:3], 0 offset:8
	v_mov_b32_e32 v81, 0
	ds_read_b32 v82, v76 offset:4
	ds_read_b32 v81, v81 offset:168
	s_waitcnt vmcnt(1) lgkmcnt(1)
	v_fmac_f32_e32 v78, v79, v82
	s_waitcnt vmcnt(0) lgkmcnt(0)
	v_fma_f32 v79, v80, v81, v78
	v_cndmask_b32_e64 v78, v78, v79, s[6:7]
.LBB36_377:
	s_or_b64 exec, exec, s[10:11]
	v_mov_b32_e32 v79, 0
	ds_read_b32 v79, v79 offset:12
	s_waitcnt lgkmcnt(0)
	v_mul_f32_e32 v78, v78, v79
	buffer_store_dword v78, off, s[0:3], 0 offset:12
.LBB36_378:
	s_or_b64 exec, exec, s[8:9]
	buffer_load_dword v78, off, s[0:3], 0 offset:16
	v_cmp_gt_u32_e32 vcc, 4, v0
	s_waitcnt vmcnt(0)
	ds_write_b32 v76, v78
	s_waitcnt lgkmcnt(0)
	; wave barrier
	s_and_saveexec_b64 s[6:7], vcc
	s_cbranch_execz .LBB36_388
; %bb.379:
	s_and_b64 vcc, exec, s[4:5]
	s_cbranch_vccnz .LBB36_381
; %bb.380:
	buffer_load_dword v78, v77, s[0:3], 0 offen
	ds_read_b32 v79, v76
	s_waitcnt vmcnt(0) lgkmcnt(0)
	v_mul_f32_e32 v78, v78, v79
	s_cbranch_execz .LBB36_382
	s_branch .LBB36_383
.LBB36_381:
                                        ; implicit-def: $vgpr78
.LBB36_382:
	ds_read_b32 v78, v76
.LBB36_383:
	v_cmp_ne_u32_e32 vcc, 3, v0
	s_and_saveexec_b64 s[8:9], vcc
	s_cbranch_execz .LBB36_387
; %bb.384:
	s_mov_b32 s10, 0
	v_add_u32_e32 v79, 0xa4, v75
	v_add3_u32 v80, v75, s10, 4
	s_mov_b64 s[10:11], 0
	v_mov_b32_e32 v81, v0
.LBB36_385:                             ; =>This Inner Loop Header: Depth=1
	buffer_load_dword v82, v80, s[0:3], 0 offen
	ds_read_b32 v83, v79
	v_add_u32_e32 v81, 1, v81
	v_cmp_lt_u32_e32 vcc, 2, v81
	v_add_u32_e32 v79, 4, v79
	v_add_u32_e32 v80, 4, v80
	s_or_b64 s[10:11], vcc, s[10:11]
	s_waitcnt vmcnt(0) lgkmcnt(0)
	v_fmac_f32_e32 v78, v82, v83
	s_andn2_b64 exec, exec, s[10:11]
	s_cbranch_execnz .LBB36_385
; %bb.386:
	s_or_b64 exec, exec, s[10:11]
.LBB36_387:
	s_or_b64 exec, exec, s[8:9]
	v_mov_b32_e32 v79, 0
	ds_read_b32 v79, v79 offset:16
	s_waitcnt lgkmcnt(0)
	v_mul_f32_e32 v78, v78, v79
	buffer_store_dword v78, off, s[0:3], 0 offset:16
.LBB36_388:
	s_or_b64 exec, exec, s[6:7]
	buffer_load_dword v78, off, s[0:3], 0 offset:20
	v_cmp_gt_u32_e32 vcc, 5, v0
	s_waitcnt vmcnt(0)
	ds_write_b32 v76, v78
	s_waitcnt lgkmcnt(0)
	; wave barrier
	s_and_saveexec_b64 s[6:7], vcc
	s_cbranch_execz .LBB36_398
; %bb.389:
	s_and_b64 vcc, exec, s[4:5]
	s_cbranch_vccnz .LBB36_391
; %bb.390:
	buffer_load_dword v78, v77, s[0:3], 0 offen
	ds_read_b32 v79, v76
	s_waitcnt vmcnt(0) lgkmcnt(0)
	v_mul_f32_e32 v78, v78, v79
	s_cbranch_execz .LBB36_392
	s_branch .LBB36_393
.LBB36_391:
                                        ; implicit-def: $vgpr78
.LBB36_392:
	ds_read_b32 v78, v76
.LBB36_393:
	v_cmp_ne_u32_e32 vcc, 4, v0
	s_and_saveexec_b64 s[8:9], vcc
	s_cbranch_execz .LBB36_397
; %bb.394:
	s_mov_b32 s10, 0
	v_add_u32_e32 v79, 0xa4, v75
	v_add3_u32 v80, v75, s10, 4
	s_mov_b64 s[10:11], 0
	v_mov_b32_e32 v81, v0
.LBB36_395:                             ; =>This Inner Loop Header: Depth=1
	buffer_load_dword v82, v80, s[0:3], 0 offen
	ds_read_b32 v83, v79
	v_add_u32_e32 v81, 1, v81
	v_cmp_lt_u32_e32 vcc, 3, v81
	v_add_u32_e32 v79, 4, v79
	v_add_u32_e32 v80, 4, v80
	s_or_b64 s[10:11], vcc, s[10:11]
	s_waitcnt vmcnt(0) lgkmcnt(0)
	v_fmac_f32_e32 v78, v82, v83
	s_andn2_b64 exec, exec, s[10:11]
	s_cbranch_execnz .LBB36_395
; %bb.396:
	s_or_b64 exec, exec, s[10:11]
.LBB36_397:
	s_or_b64 exec, exec, s[8:9]
	v_mov_b32_e32 v79, 0
	ds_read_b32 v79, v79 offset:20
	s_waitcnt lgkmcnt(0)
	v_mul_f32_e32 v78, v78, v79
	buffer_store_dword v78, off, s[0:3], 0 offset:20
.LBB36_398:
	s_or_b64 exec, exec, s[6:7]
	buffer_load_dword v78, off, s[0:3], 0 offset:24
	v_cmp_gt_u32_e32 vcc, 6, v0
	s_waitcnt vmcnt(0)
	ds_write_b32 v76, v78
	s_waitcnt lgkmcnt(0)
	; wave barrier
	s_and_saveexec_b64 s[6:7], vcc
	s_cbranch_execz .LBB36_408
; %bb.399:
	s_and_b64 vcc, exec, s[4:5]
	s_cbranch_vccnz .LBB36_401
; %bb.400:
	buffer_load_dword v78, v77, s[0:3], 0 offen
	ds_read_b32 v79, v76
	s_waitcnt vmcnt(0) lgkmcnt(0)
	v_mul_f32_e32 v78, v78, v79
	s_cbranch_execz .LBB36_402
	s_branch .LBB36_403
.LBB36_401:
                                        ; implicit-def: $vgpr78
.LBB36_402:
	ds_read_b32 v78, v76
.LBB36_403:
	v_cmp_ne_u32_e32 vcc, 5, v0
	s_and_saveexec_b64 s[8:9], vcc
	s_cbranch_execz .LBB36_407
; %bb.404:
	s_mov_b32 s10, 0
	v_add_u32_e32 v79, 0xa4, v75
	v_add3_u32 v80, v75, s10, 4
	s_mov_b64 s[10:11], 0
	v_mov_b32_e32 v81, v0
.LBB36_405:                             ; =>This Inner Loop Header: Depth=1
	buffer_load_dword v82, v80, s[0:3], 0 offen
	ds_read_b32 v83, v79
	v_add_u32_e32 v81, 1, v81
	v_cmp_lt_u32_e32 vcc, 4, v81
	v_add_u32_e32 v79, 4, v79
	v_add_u32_e32 v80, 4, v80
	s_or_b64 s[10:11], vcc, s[10:11]
	s_waitcnt vmcnt(0) lgkmcnt(0)
	v_fmac_f32_e32 v78, v82, v83
	s_andn2_b64 exec, exec, s[10:11]
	s_cbranch_execnz .LBB36_405
; %bb.406:
	s_or_b64 exec, exec, s[10:11]
.LBB36_407:
	s_or_b64 exec, exec, s[8:9]
	v_mov_b32_e32 v79, 0
	ds_read_b32 v79, v79 offset:24
	s_waitcnt lgkmcnt(0)
	v_mul_f32_e32 v78, v78, v79
	buffer_store_dword v78, off, s[0:3], 0 offset:24
.LBB36_408:
	s_or_b64 exec, exec, s[6:7]
	buffer_load_dword v78, off, s[0:3], 0 offset:28
	v_cmp_gt_u32_e32 vcc, 7, v0
	s_waitcnt vmcnt(0)
	ds_write_b32 v76, v78
	s_waitcnt lgkmcnt(0)
	; wave barrier
	s_and_saveexec_b64 s[6:7], vcc
	s_cbranch_execz .LBB36_418
; %bb.409:
	s_and_b64 vcc, exec, s[4:5]
	s_cbranch_vccnz .LBB36_411
; %bb.410:
	buffer_load_dword v78, v77, s[0:3], 0 offen
	ds_read_b32 v79, v76
	s_waitcnt vmcnt(0) lgkmcnt(0)
	v_mul_f32_e32 v78, v78, v79
	s_cbranch_execz .LBB36_412
	s_branch .LBB36_413
.LBB36_411:
                                        ; implicit-def: $vgpr78
.LBB36_412:
	ds_read_b32 v78, v76
.LBB36_413:
	v_cmp_ne_u32_e32 vcc, 6, v0
	s_and_saveexec_b64 s[8:9], vcc
	s_cbranch_execz .LBB36_417
; %bb.414:
	s_mov_b32 s10, 0
	v_add_u32_e32 v79, 0xa4, v75
	v_add3_u32 v80, v75, s10, 4
	s_mov_b64 s[10:11], 0
	v_mov_b32_e32 v81, v0
.LBB36_415:                             ; =>This Inner Loop Header: Depth=1
	buffer_load_dword v82, v80, s[0:3], 0 offen
	ds_read_b32 v83, v79
	v_add_u32_e32 v81, 1, v81
	v_cmp_lt_u32_e32 vcc, 5, v81
	v_add_u32_e32 v79, 4, v79
	v_add_u32_e32 v80, 4, v80
	s_or_b64 s[10:11], vcc, s[10:11]
	s_waitcnt vmcnt(0) lgkmcnt(0)
	v_fmac_f32_e32 v78, v82, v83
	s_andn2_b64 exec, exec, s[10:11]
	s_cbranch_execnz .LBB36_415
; %bb.416:
	s_or_b64 exec, exec, s[10:11]
.LBB36_417:
	s_or_b64 exec, exec, s[8:9]
	v_mov_b32_e32 v79, 0
	ds_read_b32 v79, v79 offset:28
	s_waitcnt lgkmcnt(0)
	v_mul_f32_e32 v78, v78, v79
	buffer_store_dword v78, off, s[0:3], 0 offset:28
.LBB36_418:
	s_or_b64 exec, exec, s[6:7]
	buffer_load_dword v78, off, s[0:3], 0 offset:32
	v_cmp_gt_u32_e32 vcc, 8, v0
	s_waitcnt vmcnt(0)
	ds_write_b32 v76, v78
	s_waitcnt lgkmcnt(0)
	; wave barrier
	s_and_saveexec_b64 s[6:7], vcc
	s_cbranch_execz .LBB36_428
; %bb.419:
	s_and_b64 vcc, exec, s[4:5]
	s_cbranch_vccnz .LBB36_421
; %bb.420:
	buffer_load_dword v78, v77, s[0:3], 0 offen
	ds_read_b32 v79, v76
	s_waitcnt vmcnt(0) lgkmcnt(0)
	v_mul_f32_e32 v78, v78, v79
	s_cbranch_execz .LBB36_422
	s_branch .LBB36_423
.LBB36_421:
                                        ; implicit-def: $vgpr78
.LBB36_422:
	ds_read_b32 v78, v76
.LBB36_423:
	v_cmp_ne_u32_e32 vcc, 7, v0
	s_and_saveexec_b64 s[8:9], vcc
	s_cbranch_execz .LBB36_427
; %bb.424:
	s_mov_b32 s10, 0
	v_add_u32_e32 v79, 0xa4, v75
	v_add3_u32 v80, v75, s10, 4
	s_mov_b64 s[10:11], 0
	v_mov_b32_e32 v81, v0
.LBB36_425:                             ; =>This Inner Loop Header: Depth=1
	buffer_load_dword v82, v80, s[0:3], 0 offen
	ds_read_b32 v83, v79
	v_add_u32_e32 v81, 1, v81
	v_cmp_lt_u32_e32 vcc, 6, v81
	v_add_u32_e32 v79, 4, v79
	v_add_u32_e32 v80, 4, v80
	s_or_b64 s[10:11], vcc, s[10:11]
	s_waitcnt vmcnt(0) lgkmcnt(0)
	v_fmac_f32_e32 v78, v82, v83
	s_andn2_b64 exec, exec, s[10:11]
	s_cbranch_execnz .LBB36_425
; %bb.426:
	s_or_b64 exec, exec, s[10:11]
.LBB36_427:
	s_or_b64 exec, exec, s[8:9]
	v_mov_b32_e32 v79, 0
	ds_read_b32 v79, v79 offset:32
	s_waitcnt lgkmcnt(0)
	v_mul_f32_e32 v78, v78, v79
	buffer_store_dword v78, off, s[0:3], 0 offset:32
.LBB36_428:
	s_or_b64 exec, exec, s[6:7]
	buffer_load_dword v78, off, s[0:3], 0 offset:36
	v_cmp_gt_u32_e32 vcc, 9, v0
	s_waitcnt vmcnt(0)
	ds_write_b32 v76, v78
	s_waitcnt lgkmcnt(0)
	; wave barrier
	s_and_saveexec_b64 s[6:7], vcc
	s_cbranch_execz .LBB36_438
; %bb.429:
	s_and_b64 vcc, exec, s[4:5]
	s_cbranch_vccnz .LBB36_431
; %bb.430:
	buffer_load_dword v78, v77, s[0:3], 0 offen
	ds_read_b32 v79, v76
	s_waitcnt vmcnt(0) lgkmcnt(0)
	v_mul_f32_e32 v78, v78, v79
	s_cbranch_execz .LBB36_432
	s_branch .LBB36_433
.LBB36_431:
                                        ; implicit-def: $vgpr78
.LBB36_432:
	ds_read_b32 v78, v76
.LBB36_433:
	v_cmp_ne_u32_e32 vcc, 8, v0
	s_and_saveexec_b64 s[8:9], vcc
	s_cbranch_execz .LBB36_437
; %bb.434:
	s_mov_b32 s10, 0
	v_add_u32_e32 v79, 0xa4, v75
	v_add3_u32 v80, v75, s10, 4
	s_mov_b64 s[10:11], 0
	v_mov_b32_e32 v81, v0
.LBB36_435:                             ; =>This Inner Loop Header: Depth=1
	buffer_load_dword v82, v80, s[0:3], 0 offen
	ds_read_b32 v83, v79
	v_add_u32_e32 v81, 1, v81
	v_cmp_lt_u32_e32 vcc, 7, v81
	v_add_u32_e32 v79, 4, v79
	v_add_u32_e32 v80, 4, v80
	s_or_b64 s[10:11], vcc, s[10:11]
	s_waitcnt vmcnt(0) lgkmcnt(0)
	v_fmac_f32_e32 v78, v82, v83
	s_andn2_b64 exec, exec, s[10:11]
	s_cbranch_execnz .LBB36_435
; %bb.436:
	s_or_b64 exec, exec, s[10:11]
.LBB36_437:
	s_or_b64 exec, exec, s[8:9]
	v_mov_b32_e32 v79, 0
	ds_read_b32 v79, v79 offset:36
	s_waitcnt lgkmcnt(0)
	v_mul_f32_e32 v78, v78, v79
	buffer_store_dword v78, off, s[0:3], 0 offset:36
.LBB36_438:
	s_or_b64 exec, exec, s[6:7]
	buffer_load_dword v78, off, s[0:3], 0 offset:40
	v_cmp_gt_u32_e32 vcc, 10, v0
	s_waitcnt vmcnt(0)
	ds_write_b32 v76, v78
	s_waitcnt lgkmcnt(0)
	; wave barrier
	s_and_saveexec_b64 s[6:7], vcc
	s_cbranch_execz .LBB36_448
; %bb.439:
	s_and_b64 vcc, exec, s[4:5]
	s_cbranch_vccnz .LBB36_441
; %bb.440:
	buffer_load_dword v78, v77, s[0:3], 0 offen
	ds_read_b32 v79, v76
	s_waitcnt vmcnt(0) lgkmcnt(0)
	v_mul_f32_e32 v78, v78, v79
	s_cbranch_execz .LBB36_442
	s_branch .LBB36_443
.LBB36_441:
                                        ; implicit-def: $vgpr78
.LBB36_442:
	ds_read_b32 v78, v76
.LBB36_443:
	v_cmp_ne_u32_e32 vcc, 9, v0
	s_and_saveexec_b64 s[8:9], vcc
	s_cbranch_execz .LBB36_447
; %bb.444:
	s_mov_b32 s10, 0
	v_add_u32_e32 v79, 0xa4, v75
	v_add3_u32 v80, v75, s10, 4
	s_mov_b64 s[10:11], 0
	v_mov_b32_e32 v81, v0
.LBB36_445:                             ; =>This Inner Loop Header: Depth=1
	buffer_load_dword v82, v80, s[0:3], 0 offen
	ds_read_b32 v83, v79
	v_add_u32_e32 v81, 1, v81
	v_cmp_lt_u32_e32 vcc, 8, v81
	v_add_u32_e32 v79, 4, v79
	v_add_u32_e32 v80, 4, v80
	s_or_b64 s[10:11], vcc, s[10:11]
	s_waitcnt vmcnt(0) lgkmcnt(0)
	v_fmac_f32_e32 v78, v82, v83
	s_andn2_b64 exec, exec, s[10:11]
	s_cbranch_execnz .LBB36_445
; %bb.446:
	s_or_b64 exec, exec, s[10:11]
.LBB36_447:
	s_or_b64 exec, exec, s[8:9]
	v_mov_b32_e32 v79, 0
	ds_read_b32 v79, v79 offset:40
	s_waitcnt lgkmcnt(0)
	v_mul_f32_e32 v78, v78, v79
	buffer_store_dword v78, off, s[0:3], 0 offset:40
.LBB36_448:
	s_or_b64 exec, exec, s[6:7]
	buffer_load_dword v78, off, s[0:3], 0 offset:44
	v_cmp_gt_u32_e32 vcc, 11, v0
	s_waitcnt vmcnt(0)
	ds_write_b32 v76, v78
	s_waitcnt lgkmcnt(0)
	; wave barrier
	s_and_saveexec_b64 s[6:7], vcc
	s_cbranch_execz .LBB36_458
; %bb.449:
	s_and_b64 vcc, exec, s[4:5]
	s_cbranch_vccnz .LBB36_451
; %bb.450:
	buffer_load_dword v78, v77, s[0:3], 0 offen
	ds_read_b32 v79, v76
	s_waitcnt vmcnt(0) lgkmcnt(0)
	v_mul_f32_e32 v78, v78, v79
	s_cbranch_execz .LBB36_452
	s_branch .LBB36_453
.LBB36_451:
                                        ; implicit-def: $vgpr78
.LBB36_452:
	ds_read_b32 v78, v76
.LBB36_453:
	v_cmp_ne_u32_e32 vcc, 10, v0
	s_and_saveexec_b64 s[8:9], vcc
	s_cbranch_execz .LBB36_457
; %bb.454:
	s_mov_b32 s10, 0
	v_add_u32_e32 v79, 0xa4, v75
	v_add3_u32 v80, v75, s10, 4
	s_mov_b64 s[10:11], 0
	v_mov_b32_e32 v81, v0
.LBB36_455:                             ; =>This Inner Loop Header: Depth=1
	buffer_load_dword v82, v80, s[0:3], 0 offen
	ds_read_b32 v83, v79
	v_add_u32_e32 v81, 1, v81
	v_cmp_lt_u32_e32 vcc, 9, v81
	v_add_u32_e32 v79, 4, v79
	v_add_u32_e32 v80, 4, v80
	s_or_b64 s[10:11], vcc, s[10:11]
	s_waitcnt vmcnt(0) lgkmcnt(0)
	v_fmac_f32_e32 v78, v82, v83
	s_andn2_b64 exec, exec, s[10:11]
	s_cbranch_execnz .LBB36_455
; %bb.456:
	s_or_b64 exec, exec, s[10:11]
.LBB36_457:
	s_or_b64 exec, exec, s[8:9]
	v_mov_b32_e32 v79, 0
	ds_read_b32 v79, v79 offset:44
	s_waitcnt lgkmcnt(0)
	v_mul_f32_e32 v78, v78, v79
	buffer_store_dword v78, off, s[0:3], 0 offset:44
.LBB36_458:
	s_or_b64 exec, exec, s[6:7]
	buffer_load_dword v78, off, s[0:3], 0 offset:48
	v_cmp_gt_u32_e32 vcc, 12, v0
	s_waitcnt vmcnt(0)
	ds_write_b32 v76, v78
	s_waitcnt lgkmcnt(0)
	; wave barrier
	s_and_saveexec_b64 s[6:7], vcc
	s_cbranch_execz .LBB36_468
; %bb.459:
	s_and_b64 vcc, exec, s[4:5]
	s_cbranch_vccnz .LBB36_461
; %bb.460:
	buffer_load_dword v78, v77, s[0:3], 0 offen
	ds_read_b32 v79, v76
	s_waitcnt vmcnt(0) lgkmcnt(0)
	v_mul_f32_e32 v78, v78, v79
	s_cbranch_execz .LBB36_462
	s_branch .LBB36_463
.LBB36_461:
                                        ; implicit-def: $vgpr78
.LBB36_462:
	ds_read_b32 v78, v76
.LBB36_463:
	v_cmp_ne_u32_e32 vcc, 11, v0
	s_and_saveexec_b64 s[8:9], vcc
	s_cbranch_execz .LBB36_467
; %bb.464:
	s_mov_b32 s10, 0
	v_add_u32_e32 v79, 0xa4, v75
	v_add3_u32 v80, v75, s10, 4
	s_mov_b64 s[10:11], 0
	v_mov_b32_e32 v81, v0
.LBB36_465:                             ; =>This Inner Loop Header: Depth=1
	buffer_load_dword v82, v80, s[0:3], 0 offen
	ds_read_b32 v83, v79
	v_add_u32_e32 v81, 1, v81
	v_cmp_lt_u32_e32 vcc, 10, v81
	v_add_u32_e32 v79, 4, v79
	v_add_u32_e32 v80, 4, v80
	s_or_b64 s[10:11], vcc, s[10:11]
	s_waitcnt vmcnt(0) lgkmcnt(0)
	v_fmac_f32_e32 v78, v82, v83
	s_andn2_b64 exec, exec, s[10:11]
	s_cbranch_execnz .LBB36_465
; %bb.466:
	s_or_b64 exec, exec, s[10:11]
.LBB36_467:
	s_or_b64 exec, exec, s[8:9]
	v_mov_b32_e32 v79, 0
	ds_read_b32 v79, v79 offset:48
	s_waitcnt lgkmcnt(0)
	v_mul_f32_e32 v78, v78, v79
	buffer_store_dword v78, off, s[0:3], 0 offset:48
.LBB36_468:
	s_or_b64 exec, exec, s[6:7]
	buffer_load_dword v78, off, s[0:3], 0 offset:52
	v_cmp_gt_u32_e32 vcc, 13, v0
	s_waitcnt vmcnt(0)
	ds_write_b32 v76, v78
	s_waitcnt lgkmcnt(0)
	; wave barrier
	s_and_saveexec_b64 s[6:7], vcc
	s_cbranch_execz .LBB36_478
; %bb.469:
	s_and_b64 vcc, exec, s[4:5]
	s_cbranch_vccnz .LBB36_471
; %bb.470:
	buffer_load_dword v78, v77, s[0:3], 0 offen
	ds_read_b32 v79, v76
	s_waitcnt vmcnt(0) lgkmcnt(0)
	v_mul_f32_e32 v78, v78, v79
	s_cbranch_execz .LBB36_472
	s_branch .LBB36_473
.LBB36_471:
                                        ; implicit-def: $vgpr78
.LBB36_472:
	ds_read_b32 v78, v76
.LBB36_473:
	v_cmp_ne_u32_e32 vcc, 12, v0
	s_and_saveexec_b64 s[8:9], vcc
	s_cbranch_execz .LBB36_477
; %bb.474:
	s_mov_b32 s10, 0
	v_add_u32_e32 v79, 0xa4, v75
	v_add3_u32 v80, v75, s10, 4
	s_mov_b64 s[10:11], 0
	v_mov_b32_e32 v81, v0
.LBB36_475:                             ; =>This Inner Loop Header: Depth=1
	buffer_load_dword v82, v80, s[0:3], 0 offen
	ds_read_b32 v83, v79
	v_add_u32_e32 v81, 1, v81
	v_cmp_lt_u32_e32 vcc, 11, v81
	v_add_u32_e32 v79, 4, v79
	v_add_u32_e32 v80, 4, v80
	s_or_b64 s[10:11], vcc, s[10:11]
	s_waitcnt vmcnt(0) lgkmcnt(0)
	v_fmac_f32_e32 v78, v82, v83
	s_andn2_b64 exec, exec, s[10:11]
	s_cbranch_execnz .LBB36_475
; %bb.476:
	s_or_b64 exec, exec, s[10:11]
.LBB36_477:
	s_or_b64 exec, exec, s[8:9]
	v_mov_b32_e32 v79, 0
	ds_read_b32 v79, v79 offset:52
	s_waitcnt lgkmcnt(0)
	v_mul_f32_e32 v78, v78, v79
	buffer_store_dword v78, off, s[0:3], 0 offset:52
.LBB36_478:
	s_or_b64 exec, exec, s[6:7]
	buffer_load_dword v78, off, s[0:3], 0 offset:56
	v_cmp_gt_u32_e32 vcc, 14, v0
	s_waitcnt vmcnt(0)
	ds_write_b32 v76, v78
	s_waitcnt lgkmcnt(0)
	; wave barrier
	s_and_saveexec_b64 s[6:7], vcc
	s_cbranch_execz .LBB36_488
; %bb.479:
	s_and_b64 vcc, exec, s[4:5]
	s_cbranch_vccnz .LBB36_481
; %bb.480:
	buffer_load_dword v78, v77, s[0:3], 0 offen
	ds_read_b32 v79, v76
	s_waitcnt vmcnt(0) lgkmcnt(0)
	v_mul_f32_e32 v78, v78, v79
	s_cbranch_execz .LBB36_482
	s_branch .LBB36_483
.LBB36_481:
                                        ; implicit-def: $vgpr78
.LBB36_482:
	ds_read_b32 v78, v76
.LBB36_483:
	v_cmp_ne_u32_e32 vcc, 13, v0
	s_and_saveexec_b64 s[8:9], vcc
	s_cbranch_execz .LBB36_487
; %bb.484:
	s_mov_b32 s10, 0
	v_add_u32_e32 v79, 0xa4, v75
	v_add3_u32 v80, v75, s10, 4
	s_mov_b64 s[10:11], 0
	v_mov_b32_e32 v81, v0
.LBB36_485:                             ; =>This Inner Loop Header: Depth=1
	buffer_load_dword v82, v80, s[0:3], 0 offen
	ds_read_b32 v83, v79
	v_add_u32_e32 v81, 1, v81
	v_cmp_lt_u32_e32 vcc, 12, v81
	v_add_u32_e32 v79, 4, v79
	v_add_u32_e32 v80, 4, v80
	s_or_b64 s[10:11], vcc, s[10:11]
	s_waitcnt vmcnt(0) lgkmcnt(0)
	v_fmac_f32_e32 v78, v82, v83
	s_andn2_b64 exec, exec, s[10:11]
	s_cbranch_execnz .LBB36_485
; %bb.486:
	s_or_b64 exec, exec, s[10:11]
.LBB36_487:
	s_or_b64 exec, exec, s[8:9]
	v_mov_b32_e32 v79, 0
	ds_read_b32 v79, v79 offset:56
	s_waitcnt lgkmcnt(0)
	v_mul_f32_e32 v78, v78, v79
	buffer_store_dword v78, off, s[0:3], 0 offset:56
.LBB36_488:
	s_or_b64 exec, exec, s[6:7]
	buffer_load_dword v78, off, s[0:3], 0 offset:60
	v_cmp_gt_u32_e32 vcc, 15, v0
	s_waitcnt vmcnt(0)
	ds_write_b32 v76, v78
	s_waitcnt lgkmcnt(0)
	; wave barrier
	s_and_saveexec_b64 s[6:7], vcc
	s_cbranch_execz .LBB36_498
; %bb.489:
	s_and_b64 vcc, exec, s[4:5]
	s_cbranch_vccnz .LBB36_491
; %bb.490:
	buffer_load_dword v78, v77, s[0:3], 0 offen
	ds_read_b32 v79, v76
	s_waitcnt vmcnt(0) lgkmcnt(0)
	v_mul_f32_e32 v78, v78, v79
	s_cbranch_execz .LBB36_492
	s_branch .LBB36_493
.LBB36_491:
                                        ; implicit-def: $vgpr78
.LBB36_492:
	ds_read_b32 v78, v76
.LBB36_493:
	v_cmp_ne_u32_e32 vcc, 14, v0
	s_and_saveexec_b64 s[8:9], vcc
	s_cbranch_execz .LBB36_497
; %bb.494:
	s_mov_b32 s10, 0
	v_add_u32_e32 v79, 0xa4, v75
	v_add3_u32 v80, v75, s10, 4
	s_mov_b64 s[10:11], 0
	v_mov_b32_e32 v81, v0
.LBB36_495:                             ; =>This Inner Loop Header: Depth=1
	buffer_load_dword v82, v80, s[0:3], 0 offen
	ds_read_b32 v83, v79
	v_add_u32_e32 v81, 1, v81
	v_cmp_lt_u32_e32 vcc, 13, v81
	v_add_u32_e32 v79, 4, v79
	v_add_u32_e32 v80, 4, v80
	s_or_b64 s[10:11], vcc, s[10:11]
	s_waitcnt vmcnt(0) lgkmcnt(0)
	v_fmac_f32_e32 v78, v82, v83
	s_andn2_b64 exec, exec, s[10:11]
	s_cbranch_execnz .LBB36_495
; %bb.496:
	s_or_b64 exec, exec, s[10:11]
.LBB36_497:
	s_or_b64 exec, exec, s[8:9]
	v_mov_b32_e32 v79, 0
	ds_read_b32 v79, v79 offset:60
	s_waitcnt lgkmcnt(0)
	v_mul_f32_e32 v78, v78, v79
	buffer_store_dword v78, off, s[0:3], 0 offset:60
.LBB36_498:
	s_or_b64 exec, exec, s[6:7]
	buffer_load_dword v78, off, s[0:3], 0 offset:64
	v_cmp_gt_u32_e32 vcc, 16, v0
	s_waitcnt vmcnt(0)
	ds_write_b32 v76, v78
	s_waitcnt lgkmcnt(0)
	; wave barrier
	s_and_saveexec_b64 s[6:7], vcc
	s_cbranch_execz .LBB36_508
; %bb.499:
	s_and_b64 vcc, exec, s[4:5]
	s_cbranch_vccnz .LBB36_501
; %bb.500:
	buffer_load_dword v78, v77, s[0:3], 0 offen
	ds_read_b32 v79, v76
	s_waitcnt vmcnt(0) lgkmcnt(0)
	v_mul_f32_e32 v78, v78, v79
	s_cbranch_execz .LBB36_502
	s_branch .LBB36_503
.LBB36_501:
                                        ; implicit-def: $vgpr78
.LBB36_502:
	ds_read_b32 v78, v76
.LBB36_503:
	v_cmp_ne_u32_e32 vcc, 15, v0
	s_and_saveexec_b64 s[8:9], vcc
	s_cbranch_execz .LBB36_507
; %bb.504:
	s_mov_b32 s10, 0
	v_add_u32_e32 v79, 0xa4, v75
	v_add3_u32 v80, v75, s10, 4
	s_mov_b64 s[10:11], 0
	v_mov_b32_e32 v81, v0
.LBB36_505:                             ; =>This Inner Loop Header: Depth=1
	buffer_load_dword v82, v80, s[0:3], 0 offen
	ds_read_b32 v83, v79
	v_add_u32_e32 v81, 1, v81
	v_cmp_lt_u32_e32 vcc, 14, v81
	v_add_u32_e32 v79, 4, v79
	v_add_u32_e32 v80, 4, v80
	s_or_b64 s[10:11], vcc, s[10:11]
	s_waitcnt vmcnt(0) lgkmcnt(0)
	v_fmac_f32_e32 v78, v82, v83
	s_andn2_b64 exec, exec, s[10:11]
	s_cbranch_execnz .LBB36_505
; %bb.506:
	s_or_b64 exec, exec, s[10:11]
.LBB36_507:
	s_or_b64 exec, exec, s[8:9]
	v_mov_b32_e32 v79, 0
	ds_read_b32 v79, v79 offset:64
	s_waitcnt lgkmcnt(0)
	v_mul_f32_e32 v78, v78, v79
	buffer_store_dword v78, off, s[0:3], 0 offset:64
.LBB36_508:
	s_or_b64 exec, exec, s[6:7]
	buffer_load_dword v78, off, s[0:3], 0 offset:68
	v_cmp_gt_u32_e32 vcc, 17, v0
	s_waitcnt vmcnt(0)
	ds_write_b32 v76, v78
	s_waitcnt lgkmcnt(0)
	; wave barrier
	s_and_saveexec_b64 s[6:7], vcc
	s_cbranch_execz .LBB36_518
; %bb.509:
	s_and_b64 vcc, exec, s[4:5]
	s_cbranch_vccnz .LBB36_511
; %bb.510:
	buffer_load_dword v78, v77, s[0:3], 0 offen
	ds_read_b32 v79, v76
	s_waitcnt vmcnt(0) lgkmcnt(0)
	v_mul_f32_e32 v78, v78, v79
	s_cbranch_execz .LBB36_512
	s_branch .LBB36_513
.LBB36_511:
                                        ; implicit-def: $vgpr78
.LBB36_512:
	ds_read_b32 v78, v76
.LBB36_513:
	v_cmp_ne_u32_e32 vcc, 16, v0
	s_and_saveexec_b64 s[8:9], vcc
	s_cbranch_execz .LBB36_517
; %bb.514:
	s_mov_b32 s10, 0
	v_add_u32_e32 v79, 0xa4, v75
	v_add3_u32 v80, v75, s10, 4
	s_mov_b64 s[10:11], 0
	v_mov_b32_e32 v81, v0
.LBB36_515:                             ; =>This Inner Loop Header: Depth=1
	buffer_load_dword v82, v80, s[0:3], 0 offen
	ds_read_b32 v83, v79
	v_add_u32_e32 v81, 1, v81
	v_cmp_lt_u32_e32 vcc, 15, v81
	v_add_u32_e32 v79, 4, v79
	v_add_u32_e32 v80, 4, v80
	s_or_b64 s[10:11], vcc, s[10:11]
	s_waitcnt vmcnt(0) lgkmcnt(0)
	v_fmac_f32_e32 v78, v82, v83
	s_andn2_b64 exec, exec, s[10:11]
	s_cbranch_execnz .LBB36_515
; %bb.516:
	s_or_b64 exec, exec, s[10:11]
.LBB36_517:
	s_or_b64 exec, exec, s[8:9]
	v_mov_b32_e32 v79, 0
	ds_read_b32 v79, v79 offset:68
	s_waitcnt lgkmcnt(0)
	v_mul_f32_e32 v78, v78, v79
	buffer_store_dword v78, off, s[0:3], 0 offset:68
.LBB36_518:
	s_or_b64 exec, exec, s[6:7]
	buffer_load_dword v78, off, s[0:3], 0 offset:72
	v_cmp_gt_u32_e32 vcc, 18, v0
	s_waitcnt vmcnt(0)
	ds_write_b32 v76, v78
	s_waitcnt lgkmcnt(0)
	; wave barrier
	s_and_saveexec_b64 s[6:7], vcc
	s_cbranch_execz .LBB36_528
; %bb.519:
	s_and_b64 vcc, exec, s[4:5]
	s_cbranch_vccnz .LBB36_521
; %bb.520:
	buffer_load_dword v78, v77, s[0:3], 0 offen
	ds_read_b32 v79, v76
	s_waitcnt vmcnt(0) lgkmcnt(0)
	v_mul_f32_e32 v78, v78, v79
	s_cbranch_execz .LBB36_522
	s_branch .LBB36_523
.LBB36_521:
                                        ; implicit-def: $vgpr78
.LBB36_522:
	ds_read_b32 v78, v76
.LBB36_523:
	v_cmp_ne_u32_e32 vcc, 17, v0
	s_and_saveexec_b64 s[8:9], vcc
	s_cbranch_execz .LBB36_527
; %bb.524:
	s_mov_b32 s10, 0
	v_add_u32_e32 v79, 0xa4, v75
	v_add3_u32 v80, v75, s10, 4
	s_mov_b64 s[10:11], 0
	v_mov_b32_e32 v81, v0
.LBB36_525:                             ; =>This Inner Loop Header: Depth=1
	buffer_load_dword v82, v80, s[0:3], 0 offen
	ds_read_b32 v83, v79
	v_add_u32_e32 v81, 1, v81
	v_cmp_lt_u32_e32 vcc, 16, v81
	v_add_u32_e32 v79, 4, v79
	v_add_u32_e32 v80, 4, v80
	s_or_b64 s[10:11], vcc, s[10:11]
	s_waitcnt vmcnt(0) lgkmcnt(0)
	v_fmac_f32_e32 v78, v82, v83
	s_andn2_b64 exec, exec, s[10:11]
	s_cbranch_execnz .LBB36_525
; %bb.526:
	s_or_b64 exec, exec, s[10:11]
.LBB36_527:
	s_or_b64 exec, exec, s[8:9]
	v_mov_b32_e32 v79, 0
	ds_read_b32 v79, v79 offset:72
	s_waitcnt lgkmcnt(0)
	v_mul_f32_e32 v78, v78, v79
	buffer_store_dword v78, off, s[0:3], 0 offset:72
.LBB36_528:
	s_or_b64 exec, exec, s[6:7]
	buffer_load_dword v78, off, s[0:3], 0 offset:76
	v_cmp_gt_u32_e32 vcc, 19, v0
	s_waitcnt vmcnt(0)
	ds_write_b32 v76, v78
	s_waitcnt lgkmcnt(0)
	; wave barrier
	s_and_saveexec_b64 s[6:7], vcc
	s_cbranch_execz .LBB36_538
; %bb.529:
	s_and_b64 vcc, exec, s[4:5]
	s_cbranch_vccnz .LBB36_531
; %bb.530:
	buffer_load_dword v78, v77, s[0:3], 0 offen
	ds_read_b32 v79, v76
	s_waitcnt vmcnt(0) lgkmcnt(0)
	v_mul_f32_e32 v78, v78, v79
	s_cbranch_execz .LBB36_532
	s_branch .LBB36_533
.LBB36_531:
                                        ; implicit-def: $vgpr78
.LBB36_532:
	ds_read_b32 v78, v76
.LBB36_533:
	v_cmp_ne_u32_e32 vcc, 18, v0
	s_and_saveexec_b64 s[8:9], vcc
	s_cbranch_execz .LBB36_537
; %bb.534:
	s_mov_b32 s10, 0
	v_add_u32_e32 v79, 0xa4, v75
	v_add3_u32 v80, v75, s10, 4
	s_mov_b64 s[10:11], 0
	v_mov_b32_e32 v81, v0
.LBB36_535:                             ; =>This Inner Loop Header: Depth=1
	buffer_load_dword v82, v80, s[0:3], 0 offen
	ds_read_b32 v83, v79
	v_add_u32_e32 v81, 1, v81
	v_cmp_lt_u32_e32 vcc, 17, v81
	v_add_u32_e32 v79, 4, v79
	v_add_u32_e32 v80, 4, v80
	s_or_b64 s[10:11], vcc, s[10:11]
	s_waitcnt vmcnt(0) lgkmcnt(0)
	v_fmac_f32_e32 v78, v82, v83
	s_andn2_b64 exec, exec, s[10:11]
	s_cbranch_execnz .LBB36_535
; %bb.536:
	s_or_b64 exec, exec, s[10:11]
.LBB36_537:
	s_or_b64 exec, exec, s[8:9]
	v_mov_b32_e32 v79, 0
	ds_read_b32 v79, v79 offset:76
	s_waitcnt lgkmcnt(0)
	v_mul_f32_e32 v78, v78, v79
	buffer_store_dword v78, off, s[0:3], 0 offset:76
.LBB36_538:
	s_or_b64 exec, exec, s[6:7]
	buffer_load_dword v78, off, s[0:3], 0 offset:80
	v_cmp_gt_u32_e32 vcc, 20, v0
	s_waitcnt vmcnt(0)
	ds_write_b32 v76, v78
	s_waitcnt lgkmcnt(0)
	; wave barrier
	s_and_saveexec_b64 s[6:7], vcc
	s_cbranch_execz .LBB36_548
; %bb.539:
	s_and_b64 vcc, exec, s[4:5]
	s_cbranch_vccnz .LBB36_541
; %bb.540:
	buffer_load_dword v78, v77, s[0:3], 0 offen
	ds_read_b32 v79, v76
	s_waitcnt vmcnt(0) lgkmcnt(0)
	v_mul_f32_e32 v78, v78, v79
	s_cbranch_execz .LBB36_542
	s_branch .LBB36_543
.LBB36_541:
                                        ; implicit-def: $vgpr78
.LBB36_542:
	ds_read_b32 v78, v76
.LBB36_543:
	v_cmp_ne_u32_e32 vcc, 19, v0
	s_and_saveexec_b64 s[8:9], vcc
	s_cbranch_execz .LBB36_547
; %bb.544:
	s_mov_b32 s10, 0
	v_add_u32_e32 v79, 0xa4, v75
	v_add3_u32 v80, v75, s10, 4
	s_mov_b64 s[10:11], 0
	v_mov_b32_e32 v81, v0
.LBB36_545:                             ; =>This Inner Loop Header: Depth=1
	buffer_load_dword v82, v80, s[0:3], 0 offen
	ds_read_b32 v83, v79
	v_add_u32_e32 v81, 1, v81
	v_cmp_lt_u32_e32 vcc, 18, v81
	v_add_u32_e32 v79, 4, v79
	v_add_u32_e32 v80, 4, v80
	s_or_b64 s[10:11], vcc, s[10:11]
	s_waitcnt vmcnt(0) lgkmcnt(0)
	v_fmac_f32_e32 v78, v82, v83
	s_andn2_b64 exec, exec, s[10:11]
	s_cbranch_execnz .LBB36_545
; %bb.546:
	s_or_b64 exec, exec, s[10:11]
.LBB36_547:
	s_or_b64 exec, exec, s[8:9]
	v_mov_b32_e32 v79, 0
	ds_read_b32 v79, v79 offset:80
	s_waitcnt lgkmcnt(0)
	v_mul_f32_e32 v78, v78, v79
	buffer_store_dword v78, off, s[0:3], 0 offset:80
.LBB36_548:
	s_or_b64 exec, exec, s[6:7]
	buffer_load_dword v78, off, s[0:3], 0 offset:84
	v_cmp_gt_u32_e32 vcc, 21, v0
	s_waitcnt vmcnt(0)
	ds_write_b32 v76, v78
	s_waitcnt lgkmcnt(0)
	; wave barrier
	s_and_saveexec_b64 s[6:7], vcc
	s_cbranch_execz .LBB36_558
; %bb.549:
	s_and_b64 vcc, exec, s[4:5]
	s_cbranch_vccnz .LBB36_551
; %bb.550:
	buffer_load_dword v78, v77, s[0:3], 0 offen
	ds_read_b32 v79, v76
	s_waitcnt vmcnt(0) lgkmcnt(0)
	v_mul_f32_e32 v78, v78, v79
	s_cbranch_execz .LBB36_552
	s_branch .LBB36_553
.LBB36_551:
                                        ; implicit-def: $vgpr78
.LBB36_552:
	ds_read_b32 v78, v76
.LBB36_553:
	v_cmp_ne_u32_e32 vcc, 20, v0
	s_and_saveexec_b64 s[8:9], vcc
	s_cbranch_execz .LBB36_557
; %bb.554:
	s_mov_b32 s10, 0
	v_add_u32_e32 v79, 0xa4, v75
	v_add3_u32 v80, v75, s10, 4
	s_mov_b64 s[10:11], 0
	v_mov_b32_e32 v81, v0
.LBB36_555:                             ; =>This Inner Loop Header: Depth=1
	buffer_load_dword v82, v80, s[0:3], 0 offen
	ds_read_b32 v83, v79
	v_add_u32_e32 v81, 1, v81
	v_cmp_lt_u32_e32 vcc, 19, v81
	v_add_u32_e32 v79, 4, v79
	v_add_u32_e32 v80, 4, v80
	s_or_b64 s[10:11], vcc, s[10:11]
	s_waitcnt vmcnt(0) lgkmcnt(0)
	v_fmac_f32_e32 v78, v82, v83
	s_andn2_b64 exec, exec, s[10:11]
	s_cbranch_execnz .LBB36_555
; %bb.556:
	s_or_b64 exec, exec, s[10:11]
.LBB36_557:
	s_or_b64 exec, exec, s[8:9]
	v_mov_b32_e32 v79, 0
	ds_read_b32 v79, v79 offset:84
	s_waitcnt lgkmcnt(0)
	v_mul_f32_e32 v78, v78, v79
	buffer_store_dword v78, off, s[0:3], 0 offset:84
.LBB36_558:
	s_or_b64 exec, exec, s[6:7]
	buffer_load_dword v78, off, s[0:3], 0 offset:88
	v_cmp_gt_u32_e32 vcc, 22, v0
	s_waitcnt vmcnt(0)
	ds_write_b32 v76, v78
	s_waitcnt lgkmcnt(0)
	; wave barrier
	s_and_saveexec_b64 s[6:7], vcc
	s_cbranch_execz .LBB36_568
; %bb.559:
	s_and_b64 vcc, exec, s[4:5]
	s_cbranch_vccnz .LBB36_561
; %bb.560:
	buffer_load_dword v78, v77, s[0:3], 0 offen
	ds_read_b32 v79, v76
	s_waitcnt vmcnt(0) lgkmcnt(0)
	v_mul_f32_e32 v78, v78, v79
	s_cbranch_execz .LBB36_562
	s_branch .LBB36_563
.LBB36_561:
                                        ; implicit-def: $vgpr78
.LBB36_562:
	ds_read_b32 v78, v76
.LBB36_563:
	v_cmp_ne_u32_e32 vcc, 21, v0
	s_and_saveexec_b64 s[8:9], vcc
	s_cbranch_execz .LBB36_567
; %bb.564:
	s_mov_b32 s10, 0
	v_add_u32_e32 v79, 0xa4, v75
	v_add3_u32 v80, v75, s10, 4
	s_mov_b64 s[10:11], 0
	v_mov_b32_e32 v81, v0
.LBB36_565:                             ; =>This Inner Loop Header: Depth=1
	buffer_load_dword v82, v80, s[0:3], 0 offen
	ds_read_b32 v83, v79
	v_add_u32_e32 v81, 1, v81
	v_cmp_lt_u32_e32 vcc, 20, v81
	v_add_u32_e32 v79, 4, v79
	v_add_u32_e32 v80, 4, v80
	s_or_b64 s[10:11], vcc, s[10:11]
	s_waitcnt vmcnt(0) lgkmcnt(0)
	v_fmac_f32_e32 v78, v82, v83
	s_andn2_b64 exec, exec, s[10:11]
	s_cbranch_execnz .LBB36_565
; %bb.566:
	s_or_b64 exec, exec, s[10:11]
.LBB36_567:
	s_or_b64 exec, exec, s[8:9]
	v_mov_b32_e32 v79, 0
	ds_read_b32 v79, v79 offset:88
	s_waitcnt lgkmcnt(0)
	v_mul_f32_e32 v78, v78, v79
	buffer_store_dword v78, off, s[0:3], 0 offset:88
.LBB36_568:
	s_or_b64 exec, exec, s[6:7]
	buffer_load_dword v78, off, s[0:3], 0 offset:92
	v_cmp_gt_u32_e32 vcc, 23, v0
	s_waitcnt vmcnt(0)
	ds_write_b32 v76, v78
	s_waitcnt lgkmcnt(0)
	; wave barrier
	s_and_saveexec_b64 s[6:7], vcc
	s_cbranch_execz .LBB36_578
; %bb.569:
	s_and_b64 vcc, exec, s[4:5]
	s_cbranch_vccnz .LBB36_571
; %bb.570:
	buffer_load_dword v78, v77, s[0:3], 0 offen
	ds_read_b32 v79, v76
	s_waitcnt vmcnt(0) lgkmcnt(0)
	v_mul_f32_e32 v78, v78, v79
	s_cbranch_execz .LBB36_572
	s_branch .LBB36_573
.LBB36_571:
                                        ; implicit-def: $vgpr78
.LBB36_572:
	ds_read_b32 v78, v76
.LBB36_573:
	v_cmp_ne_u32_e32 vcc, 22, v0
	s_and_saveexec_b64 s[8:9], vcc
	s_cbranch_execz .LBB36_577
; %bb.574:
	s_mov_b32 s10, 0
	v_add_u32_e32 v79, 0xa4, v75
	v_add3_u32 v80, v75, s10, 4
	s_mov_b64 s[10:11], 0
	v_mov_b32_e32 v81, v0
.LBB36_575:                             ; =>This Inner Loop Header: Depth=1
	buffer_load_dword v82, v80, s[0:3], 0 offen
	ds_read_b32 v83, v79
	v_add_u32_e32 v81, 1, v81
	v_cmp_lt_u32_e32 vcc, 21, v81
	v_add_u32_e32 v79, 4, v79
	v_add_u32_e32 v80, 4, v80
	s_or_b64 s[10:11], vcc, s[10:11]
	s_waitcnt vmcnt(0) lgkmcnt(0)
	v_fmac_f32_e32 v78, v82, v83
	s_andn2_b64 exec, exec, s[10:11]
	s_cbranch_execnz .LBB36_575
; %bb.576:
	s_or_b64 exec, exec, s[10:11]
.LBB36_577:
	s_or_b64 exec, exec, s[8:9]
	v_mov_b32_e32 v79, 0
	ds_read_b32 v79, v79 offset:92
	s_waitcnt lgkmcnt(0)
	v_mul_f32_e32 v78, v78, v79
	buffer_store_dword v78, off, s[0:3], 0 offset:92
.LBB36_578:
	s_or_b64 exec, exec, s[6:7]
	buffer_load_dword v78, off, s[0:3], 0 offset:96
	v_cmp_gt_u32_e32 vcc, 24, v0
	s_waitcnt vmcnt(0)
	ds_write_b32 v76, v78
	s_waitcnt lgkmcnt(0)
	; wave barrier
	s_and_saveexec_b64 s[6:7], vcc
	s_cbranch_execz .LBB36_588
; %bb.579:
	s_and_b64 vcc, exec, s[4:5]
	s_cbranch_vccnz .LBB36_581
; %bb.580:
	buffer_load_dword v78, v77, s[0:3], 0 offen
	ds_read_b32 v79, v76
	s_waitcnt vmcnt(0) lgkmcnt(0)
	v_mul_f32_e32 v78, v78, v79
	s_cbranch_execz .LBB36_582
	s_branch .LBB36_583
.LBB36_581:
                                        ; implicit-def: $vgpr78
.LBB36_582:
	ds_read_b32 v78, v76
.LBB36_583:
	v_cmp_ne_u32_e32 vcc, 23, v0
	s_and_saveexec_b64 s[8:9], vcc
	s_cbranch_execz .LBB36_587
; %bb.584:
	s_mov_b32 s10, 0
	v_add_u32_e32 v79, 0xa4, v75
	v_add3_u32 v80, v75, s10, 4
	s_mov_b64 s[10:11], 0
	v_mov_b32_e32 v81, v0
.LBB36_585:                             ; =>This Inner Loop Header: Depth=1
	buffer_load_dword v82, v80, s[0:3], 0 offen
	ds_read_b32 v83, v79
	v_add_u32_e32 v81, 1, v81
	v_cmp_lt_u32_e32 vcc, 22, v81
	v_add_u32_e32 v79, 4, v79
	v_add_u32_e32 v80, 4, v80
	s_or_b64 s[10:11], vcc, s[10:11]
	s_waitcnt vmcnt(0) lgkmcnt(0)
	v_fmac_f32_e32 v78, v82, v83
	s_andn2_b64 exec, exec, s[10:11]
	s_cbranch_execnz .LBB36_585
; %bb.586:
	s_or_b64 exec, exec, s[10:11]
.LBB36_587:
	s_or_b64 exec, exec, s[8:9]
	v_mov_b32_e32 v79, 0
	ds_read_b32 v79, v79 offset:96
	s_waitcnt lgkmcnt(0)
	v_mul_f32_e32 v78, v78, v79
	buffer_store_dword v78, off, s[0:3], 0 offset:96
.LBB36_588:
	s_or_b64 exec, exec, s[6:7]
	buffer_load_dword v78, off, s[0:3], 0 offset:100
	v_cmp_gt_u32_e32 vcc, 25, v0
	s_waitcnt vmcnt(0)
	ds_write_b32 v76, v78
	s_waitcnt lgkmcnt(0)
	; wave barrier
	s_and_saveexec_b64 s[6:7], vcc
	s_cbranch_execz .LBB36_598
; %bb.589:
	s_and_b64 vcc, exec, s[4:5]
	s_cbranch_vccnz .LBB36_591
; %bb.590:
	buffer_load_dword v78, v77, s[0:3], 0 offen
	ds_read_b32 v79, v76
	s_waitcnt vmcnt(0) lgkmcnt(0)
	v_mul_f32_e32 v78, v78, v79
	s_cbranch_execz .LBB36_592
	s_branch .LBB36_593
.LBB36_591:
                                        ; implicit-def: $vgpr78
.LBB36_592:
	ds_read_b32 v78, v76
.LBB36_593:
	v_cmp_ne_u32_e32 vcc, 24, v0
	s_and_saveexec_b64 s[8:9], vcc
	s_cbranch_execz .LBB36_597
; %bb.594:
	s_mov_b32 s10, 0
	v_add_u32_e32 v79, 0xa4, v75
	v_add3_u32 v80, v75, s10, 4
	s_mov_b64 s[10:11], 0
	v_mov_b32_e32 v81, v0
.LBB36_595:                             ; =>This Inner Loop Header: Depth=1
	buffer_load_dword v82, v80, s[0:3], 0 offen
	ds_read_b32 v83, v79
	v_add_u32_e32 v81, 1, v81
	v_cmp_lt_u32_e32 vcc, 23, v81
	v_add_u32_e32 v79, 4, v79
	v_add_u32_e32 v80, 4, v80
	s_or_b64 s[10:11], vcc, s[10:11]
	s_waitcnt vmcnt(0) lgkmcnt(0)
	v_fmac_f32_e32 v78, v82, v83
	s_andn2_b64 exec, exec, s[10:11]
	s_cbranch_execnz .LBB36_595
; %bb.596:
	s_or_b64 exec, exec, s[10:11]
.LBB36_597:
	s_or_b64 exec, exec, s[8:9]
	v_mov_b32_e32 v79, 0
	ds_read_b32 v79, v79 offset:100
	s_waitcnt lgkmcnt(0)
	v_mul_f32_e32 v78, v78, v79
	buffer_store_dword v78, off, s[0:3], 0 offset:100
.LBB36_598:
	s_or_b64 exec, exec, s[6:7]
	buffer_load_dword v78, off, s[0:3], 0 offset:104
	v_cmp_gt_u32_e32 vcc, 26, v0
	s_waitcnt vmcnt(0)
	ds_write_b32 v76, v78
	s_waitcnt lgkmcnt(0)
	; wave barrier
	s_and_saveexec_b64 s[6:7], vcc
	s_cbranch_execz .LBB36_608
; %bb.599:
	s_and_b64 vcc, exec, s[4:5]
	s_cbranch_vccnz .LBB36_601
; %bb.600:
	buffer_load_dword v78, v77, s[0:3], 0 offen
	ds_read_b32 v79, v76
	s_waitcnt vmcnt(0) lgkmcnt(0)
	v_mul_f32_e32 v78, v78, v79
	s_cbranch_execz .LBB36_602
	s_branch .LBB36_603
.LBB36_601:
                                        ; implicit-def: $vgpr78
.LBB36_602:
	ds_read_b32 v78, v76
.LBB36_603:
	v_cmp_ne_u32_e32 vcc, 25, v0
	s_and_saveexec_b64 s[8:9], vcc
	s_cbranch_execz .LBB36_607
; %bb.604:
	s_mov_b32 s10, 0
	v_add_u32_e32 v79, 0xa4, v75
	v_add3_u32 v80, v75, s10, 4
	s_mov_b64 s[10:11], 0
	v_mov_b32_e32 v81, v0
.LBB36_605:                             ; =>This Inner Loop Header: Depth=1
	buffer_load_dword v82, v80, s[0:3], 0 offen
	ds_read_b32 v83, v79
	v_add_u32_e32 v81, 1, v81
	v_cmp_lt_u32_e32 vcc, 24, v81
	v_add_u32_e32 v79, 4, v79
	v_add_u32_e32 v80, 4, v80
	s_or_b64 s[10:11], vcc, s[10:11]
	s_waitcnt vmcnt(0) lgkmcnt(0)
	v_fmac_f32_e32 v78, v82, v83
	s_andn2_b64 exec, exec, s[10:11]
	s_cbranch_execnz .LBB36_605
; %bb.606:
	s_or_b64 exec, exec, s[10:11]
.LBB36_607:
	s_or_b64 exec, exec, s[8:9]
	v_mov_b32_e32 v79, 0
	ds_read_b32 v79, v79 offset:104
	s_waitcnt lgkmcnt(0)
	v_mul_f32_e32 v78, v78, v79
	buffer_store_dword v78, off, s[0:3], 0 offset:104
.LBB36_608:
	s_or_b64 exec, exec, s[6:7]
	buffer_load_dword v78, off, s[0:3], 0 offset:108
	v_cmp_gt_u32_e32 vcc, 27, v0
	s_waitcnt vmcnt(0)
	ds_write_b32 v76, v78
	s_waitcnt lgkmcnt(0)
	; wave barrier
	s_and_saveexec_b64 s[6:7], vcc
	s_cbranch_execz .LBB36_618
; %bb.609:
	s_and_b64 vcc, exec, s[4:5]
	s_cbranch_vccnz .LBB36_611
; %bb.610:
	buffer_load_dword v78, v77, s[0:3], 0 offen
	ds_read_b32 v79, v76
	s_waitcnt vmcnt(0) lgkmcnt(0)
	v_mul_f32_e32 v78, v78, v79
	s_cbranch_execz .LBB36_612
	s_branch .LBB36_613
.LBB36_611:
                                        ; implicit-def: $vgpr78
.LBB36_612:
	ds_read_b32 v78, v76
.LBB36_613:
	v_cmp_ne_u32_e32 vcc, 26, v0
	s_and_saveexec_b64 s[8:9], vcc
	s_cbranch_execz .LBB36_617
; %bb.614:
	s_mov_b32 s10, 0
	v_add_u32_e32 v79, 0xa4, v75
	v_add3_u32 v80, v75, s10, 4
	s_mov_b64 s[10:11], 0
	v_mov_b32_e32 v81, v0
.LBB36_615:                             ; =>This Inner Loop Header: Depth=1
	buffer_load_dword v82, v80, s[0:3], 0 offen
	ds_read_b32 v83, v79
	v_add_u32_e32 v81, 1, v81
	v_cmp_lt_u32_e32 vcc, 25, v81
	v_add_u32_e32 v79, 4, v79
	v_add_u32_e32 v80, 4, v80
	s_or_b64 s[10:11], vcc, s[10:11]
	s_waitcnt vmcnt(0) lgkmcnt(0)
	v_fmac_f32_e32 v78, v82, v83
	s_andn2_b64 exec, exec, s[10:11]
	s_cbranch_execnz .LBB36_615
; %bb.616:
	s_or_b64 exec, exec, s[10:11]
.LBB36_617:
	s_or_b64 exec, exec, s[8:9]
	v_mov_b32_e32 v79, 0
	ds_read_b32 v79, v79 offset:108
	s_waitcnt lgkmcnt(0)
	v_mul_f32_e32 v78, v78, v79
	buffer_store_dword v78, off, s[0:3], 0 offset:108
.LBB36_618:
	s_or_b64 exec, exec, s[6:7]
	buffer_load_dword v78, off, s[0:3], 0 offset:112
	v_cmp_gt_u32_e32 vcc, 28, v0
	s_waitcnt vmcnt(0)
	ds_write_b32 v76, v78
	s_waitcnt lgkmcnt(0)
	; wave barrier
	s_and_saveexec_b64 s[6:7], vcc
	s_cbranch_execz .LBB36_628
; %bb.619:
	s_and_b64 vcc, exec, s[4:5]
	s_cbranch_vccnz .LBB36_621
; %bb.620:
	buffer_load_dword v78, v77, s[0:3], 0 offen
	ds_read_b32 v79, v76
	s_waitcnt vmcnt(0) lgkmcnt(0)
	v_mul_f32_e32 v78, v78, v79
	s_cbranch_execz .LBB36_622
	s_branch .LBB36_623
.LBB36_621:
                                        ; implicit-def: $vgpr78
.LBB36_622:
	ds_read_b32 v78, v76
.LBB36_623:
	v_cmp_ne_u32_e32 vcc, 27, v0
	s_and_saveexec_b64 s[8:9], vcc
	s_cbranch_execz .LBB36_627
; %bb.624:
	s_mov_b32 s10, 0
	v_add_u32_e32 v79, 0xa4, v75
	v_add3_u32 v80, v75, s10, 4
	s_mov_b64 s[10:11], 0
	v_mov_b32_e32 v81, v0
.LBB36_625:                             ; =>This Inner Loop Header: Depth=1
	buffer_load_dword v82, v80, s[0:3], 0 offen
	ds_read_b32 v83, v79
	v_add_u32_e32 v81, 1, v81
	v_cmp_lt_u32_e32 vcc, 26, v81
	v_add_u32_e32 v79, 4, v79
	v_add_u32_e32 v80, 4, v80
	s_or_b64 s[10:11], vcc, s[10:11]
	s_waitcnt vmcnt(0) lgkmcnt(0)
	v_fmac_f32_e32 v78, v82, v83
	s_andn2_b64 exec, exec, s[10:11]
	s_cbranch_execnz .LBB36_625
; %bb.626:
	s_or_b64 exec, exec, s[10:11]
.LBB36_627:
	s_or_b64 exec, exec, s[8:9]
	v_mov_b32_e32 v79, 0
	ds_read_b32 v79, v79 offset:112
	s_waitcnt lgkmcnt(0)
	v_mul_f32_e32 v78, v78, v79
	buffer_store_dword v78, off, s[0:3], 0 offset:112
.LBB36_628:
	s_or_b64 exec, exec, s[6:7]
	buffer_load_dword v78, off, s[0:3], 0 offset:116
	v_cmp_gt_u32_e32 vcc, 29, v0
	s_waitcnt vmcnt(0)
	ds_write_b32 v76, v78
	s_waitcnt lgkmcnt(0)
	; wave barrier
	s_and_saveexec_b64 s[6:7], vcc
	s_cbranch_execz .LBB36_638
; %bb.629:
	s_and_b64 vcc, exec, s[4:5]
	s_cbranch_vccnz .LBB36_631
; %bb.630:
	buffer_load_dword v78, v77, s[0:3], 0 offen
	ds_read_b32 v79, v76
	s_waitcnt vmcnt(0) lgkmcnt(0)
	v_mul_f32_e32 v78, v78, v79
	s_cbranch_execz .LBB36_632
	s_branch .LBB36_633
.LBB36_631:
                                        ; implicit-def: $vgpr78
.LBB36_632:
	ds_read_b32 v78, v76
.LBB36_633:
	v_cmp_ne_u32_e32 vcc, 28, v0
	s_and_saveexec_b64 s[8:9], vcc
	s_cbranch_execz .LBB36_637
; %bb.634:
	s_mov_b32 s10, 0
	v_add_u32_e32 v79, 0xa4, v75
	v_add3_u32 v80, v75, s10, 4
	s_mov_b64 s[10:11], 0
	v_mov_b32_e32 v81, v0
.LBB36_635:                             ; =>This Inner Loop Header: Depth=1
	buffer_load_dword v82, v80, s[0:3], 0 offen
	ds_read_b32 v83, v79
	v_add_u32_e32 v81, 1, v81
	v_cmp_lt_u32_e32 vcc, 27, v81
	v_add_u32_e32 v79, 4, v79
	v_add_u32_e32 v80, 4, v80
	s_or_b64 s[10:11], vcc, s[10:11]
	s_waitcnt vmcnt(0) lgkmcnt(0)
	v_fmac_f32_e32 v78, v82, v83
	s_andn2_b64 exec, exec, s[10:11]
	s_cbranch_execnz .LBB36_635
; %bb.636:
	s_or_b64 exec, exec, s[10:11]
.LBB36_637:
	s_or_b64 exec, exec, s[8:9]
	v_mov_b32_e32 v79, 0
	ds_read_b32 v79, v79 offset:116
	s_waitcnt lgkmcnt(0)
	v_mul_f32_e32 v78, v78, v79
	buffer_store_dword v78, off, s[0:3], 0 offset:116
.LBB36_638:
	s_or_b64 exec, exec, s[6:7]
	buffer_load_dword v78, off, s[0:3], 0 offset:120
	v_cmp_gt_u32_e32 vcc, 30, v0
	s_waitcnt vmcnt(0)
	ds_write_b32 v76, v78
	s_waitcnt lgkmcnt(0)
	; wave barrier
	s_and_saveexec_b64 s[6:7], vcc
	s_cbranch_execz .LBB36_648
; %bb.639:
	s_and_b64 vcc, exec, s[4:5]
	s_cbranch_vccnz .LBB36_641
; %bb.640:
	buffer_load_dword v78, v77, s[0:3], 0 offen
	ds_read_b32 v79, v76
	s_waitcnt vmcnt(0) lgkmcnt(0)
	v_mul_f32_e32 v78, v78, v79
	s_cbranch_execz .LBB36_642
	s_branch .LBB36_643
.LBB36_641:
                                        ; implicit-def: $vgpr78
.LBB36_642:
	ds_read_b32 v78, v76
.LBB36_643:
	v_cmp_ne_u32_e32 vcc, 29, v0
	s_and_saveexec_b64 s[8:9], vcc
	s_cbranch_execz .LBB36_647
; %bb.644:
	s_mov_b32 s10, 0
	v_add_u32_e32 v79, 0xa4, v75
	v_add3_u32 v80, v75, s10, 4
	s_mov_b64 s[10:11], 0
	v_mov_b32_e32 v81, v0
.LBB36_645:                             ; =>This Inner Loop Header: Depth=1
	buffer_load_dword v82, v80, s[0:3], 0 offen
	ds_read_b32 v83, v79
	v_add_u32_e32 v81, 1, v81
	v_cmp_lt_u32_e32 vcc, 28, v81
	v_add_u32_e32 v79, 4, v79
	v_add_u32_e32 v80, 4, v80
	s_or_b64 s[10:11], vcc, s[10:11]
	s_waitcnt vmcnt(0) lgkmcnt(0)
	v_fmac_f32_e32 v78, v82, v83
	s_andn2_b64 exec, exec, s[10:11]
	s_cbranch_execnz .LBB36_645
; %bb.646:
	s_or_b64 exec, exec, s[10:11]
.LBB36_647:
	s_or_b64 exec, exec, s[8:9]
	v_mov_b32_e32 v79, 0
	ds_read_b32 v79, v79 offset:120
	s_waitcnt lgkmcnt(0)
	v_mul_f32_e32 v78, v78, v79
	buffer_store_dword v78, off, s[0:3], 0 offset:120
.LBB36_648:
	s_or_b64 exec, exec, s[6:7]
	buffer_load_dword v78, off, s[0:3], 0 offset:124
	v_cmp_gt_u32_e32 vcc, 31, v0
	s_waitcnt vmcnt(0)
	ds_write_b32 v76, v78
	s_waitcnt lgkmcnt(0)
	; wave barrier
	s_and_saveexec_b64 s[6:7], vcc
	s_cbranch_execz .LBB36_658
; %bb.649:
	s_and_b64 vcc, exec, s[4:5]
	s_cbranch_vccnz .LBB36_651
; %bb.650:
	buffer_load_dword v78, v77, s[0:3], 0 offen
	ds_read_b32 v79, v76
	s_waitcnt vmcnt(0) lgkmcnt(0)
	v_mul_f32_e32 v78, v78, v79
	s_cbranch_execz .LBB36_652
	s_branch .LBB36_653
.LBB36_651:
                                        ; implicit-def: $vgpr78
.LBB36_652:
	ds_read_b32 v78, v76
.LBB36_653:
	v_cmp_ne_u32_e32 vcc, 30, v0
	s_and_saveexec_b64 s[8:9], vcc
	s_cbranch_execz .LBB36_657
; %bb.654:
	s_mov_b32 s10, 0
	v_add_u32_e32 v79, 0xa4, v75
	v_add3_u32 v80, v75, s10, 4
	s_mov_b64 s[10:11], 0
	v_mov_b32_e32 v81, v0
.LBB36_655:                             ; =>This Inner Loop Header: Depth=1
	buffer_load_dword v82, v80, s[0:3], 0 offen
	ds_read_b32 v83, v79
	v_add_u32_e32 v81, 1, v81
	v_cmp_lt_u32_e32 vcc, 29, v81
	v_add_u32_e32 v79, 4, v79
	v_add_u32_e32 v80, 4, v80
	s_or_b64 s[10:11], vcc, s[10:11]
	s_waitcnt vmcnt(0) lgkmcnt(0)
	v_fmac_f32_e32 v78, v82, v83
	s_andn2_b64 exec, exec, s[10:11]
	s_cbranch_execnz .LBB36_655
; %bb.656:
	s_or_b64 exec, exec, s[10:11]
.LBB36_657:
	s_or_b64 exec, exec, s[8:9]
	v_mov_b32_e32 v79, 0
	ds_read_b32 v79, v79 offset:124
	s_waitcnt lgkmcnt(0)
	v_mul_f32_e32 v78, v78, v79
	buffer_store_dword v78, off, s[0:3], 0 offset:124
.LBB36_658:
	s_or_b64 exec, exec, s[6:7]
	buffer_load_dword v78, off, s[0:3], 0 offset:128
	v_cmp_gt_u32_e32 vcc, 32, v0
	s_waitcnt vmcnt(0)
	ds_write_b32 v76, v78
	s_waitcnt lgkmcnt(0)
	; wave barrier
	s_and_saveexec_b64 s[6:7], vcc
	s_cbranch_execz .LBB36_668
; %bb.659:
	s_and_b64 vcc, exec, s[4:5]
	s_cbranch_vccnz .LBB36_661
; %bb.660:
	buffer_load_dword v78, v77, s[0:3], 0 offen
	ds_read_b32 v79, v76
	s_waitcnt vmcnt(0) lgkmcnt(0)
	v_mul_f32_e32 v78, v78, v79
	s_cbranch_execz .LBB36_662
	s_branch .LBB36_663
.LBB36_661:
                                        ; implicit-def: $vgpr78
.LBB36_662:
	ds_read_b32 v78, v76
.LBB36_663:
	v_cmp_ne_u32_e32 vcc, 31, v0
	s_and_saveexec_b64 s[8:9], vcc
	s_cbranch_execz .LBB36_667
; %bb.664:
	s_mov_b32 s10, 0
	v_add_u32_e32 v79, 0xa4, v75
	v_add3_u32 v80, v75, s10, 4
	s_mov_b64 s[10:11], 0
	v_mov_b32_e32 v81, v0
.LBB36_665:                             ; =>This Inner Loop Header: Depth=1
	buffer_load_dword v82, v80, s[0:3], 0 offen
	ds_read_b32 v83, v79
	v_add_u32_e32 v81, 1, v81
	v_cmp_lt_u32_e32 vcc, 30, v81
	v_add_u32_e32 v79, 4, v79
	v_add_u32_e32 v80, 4, v80
	s_or_b64 s[10:11], vcc, s[10:11]
	s_waitcnt vmcnt(0) lgkmcnt(0)
	v_fmac_f32_e32 v78, v82, v83
	s_andn2_b64 exec, exec, s[10:11]
	s_cbranch_execnz .LBB36_665
; %bb.666:
	s_or_b64 exec, exec, s[10:11]
.LBB36_667:
	s_or_b64 exec, exec, s[8:9]
	v_mov_b32_e32 v79, 0
	ds_read_b32 v79, v79 offset:128
	s_waitcnt lgkmcnt(0)
	v_mul_f32_e32 v78, v78, v79
	buffer_store_dword v78, off, s[0:3], 0 offset:128
.LBB36_668:
	s_or_b64 exec, exec, s[6:7]
	buffer_load_dword v78, off, s[0:3], 0 offset:132
	v_cmp_gt_u32_e32 vcc, 33, v0
	s_waitcnt vmcnt(0)
	ds_write_b32 v76, v78
	s_waitcnt lgkmcnt(0)
	; wave barrier
	s_and_saveexec_b64 s[6:7], vcc
	s_cbranch_execz .LBB36_678
; %bb.669:
	s_and_b64 vcc, exec, s[4:5]
	s_cbranch_vccnz .LBB36_671
; %bb.670:
	buffer_load_dword v78, v77, s[0:3], 0 offen
	ds_read_b32 v79, v76
	s_waitcnt vmcnt(0) lgkmcnt(0)
	v_mul_f32_e32 v78, v78, v79
	s_cbranch_execz .LBB36_672
	s_branch .LBB36_673
.LBB36_671:
                                        ; implicit-def: $vgpr78
.LBB36_672:
	ds_read_b32 v78, v76
.LBB36_673:
	v_cmp_ne_u32_e32 vcc, 32, v0
	s_and_saveexec_b64 s[8:9], vcc
	s_cbranch_execz .LBB36_677
; %bb.674:
	s_mov_b32 s10, 0
	v_add_u32_e32 v79, 0xa4, v75
	v_add3_u32 v80, v75, s10, 4
	s_mov_b64 s[10:11], 0
	v_mov_b32_e32 v81, v0
.LBB36_675:                             ; =>This Inner Loop Header: Depth=1
	buffer_load_dword v82, v80, s[0:3], 0 offen
	ds_read_b32 v83, v79
	v_add_u32_e32 v81, 1, v81
	v_cmp_lt_u32_e32 vcc, 31, v81
	v_add_u32_e32 v79, 4, v79
	v_add_u32_e32 v80, 4, v80
	s_or_b64 s[10:11], vcc, s[10:11]
	s_waitcnt vmcnt(0) lgkmcnt(0)
	v_fmac_f32_e32 v78, v82, v83
	s_andn2_b64 exec, exec, s[10:11]
	s_cbranch_execnz .LBB36_675
; %bb.676:
	s_or_b64 exec, exec, s[10:11]
.LBB36_677:
	s_or_b64 exec, exec, s[8:9]
	v_mov_b32_e32 v79, 0
	ds_read_b32 v79, v79 offset:132
	s_waitcnt lgkmcnt(0)
	v_mul_f32_e32 v78, v78, v79
	buffer_store_dword v78, off, s[0:3], 0 offset:132
.LBB36_678:
	s_or_b64 exec, exec, s[6:7]
	buffer_load_dword v78, off, s[0:3], 0 offset:136
	v_cmp_gt_u32_e32 vcc, 34, v0
	s_waitcnt vmcnt(0)
	ds_write_b32 v76, v78
	s_waitcnt lgkmcnt(0)
	; wave barrier
	s_and_saveexec_b64 s[6:7], vcc
	s_cbranch_execz .LBB36_688
; %bb.679:
	s_and_b64 vcc, exec, s[4:5]
	s_cbranch_vccnz .LBB36_681
; %bb.680:
	buffer_load_dword v78, v77, s[0:3], 0 offen
	ds_read_b32 v79, v76
	s_waitcnt vmcnt(0) lgkmcnt(0)
	v_mul_f32_e32 v78, v78, v79
	s_cbranch_execz .LBB36_682
	s_branch .LBB36_683
.LBB36_681:
                                        ; implicit-def: $vgpr78
.LBB36_682:
	ds_read_b32 v78, v76
.LBB36_683:
	v_cmp_ne_u32_e32 vcc, 33, v0
	s_and_saveexec_b64 s[8:9], vcc
	s_cbranch_execz .LBB36_687
; %bb.684:
	s_mov_b32 s10, 0
	v_add_u32_e32 v79, 0xa4, v75
	v_add3_u32 v80, v75, s10, 4
	s_mov_b64 s[10:11], 0
	v_mov_b32_e32 v81, v0
.LBB36_685:                             ; =>This Inner Loop Header: Depth=1
	buffer_load_dword v82, v80, s[0:3], 0 offen
	ds_read_b32 v83, v79
	v_add_u32_e32 v81, 1, v81
	v_cmp_lt_u32_e32 vcc, 32, v81
	v_add_u32_e32 v79, 4, v79
	v_add_u32_e32 v80, 4, v80
	s_or_b64 s[10:11], vcc, s[10:11]
	s_waitcnt vmcnt(0) lgkmcnt(0)
	v_fmac_f32_e32 v78, v82, v83
	s_andn2_b64 exec, exec, s[10:11]
	s_cbranch_execnz .LBB36_685
; %bb.686:
	s_or_b64 exec, exec, s[10:11]
.LBB36_687:
	s_or_b64 exec, exec, s[8:9]
	v_mov_b32_e32 v79, 0
	ds_read_b32 v79, v79 offset:136
	s_waitcnt lgkmcnt(0)
	v_mul_f32_e32 v78, v78, v79
	buffer_store_dword v78, off, s[0:3], 0 offset:136
.LBB36_688:
	s_or_b64 exec, exec, s[6:7]
	buffer_load_dword v78, off, s[0:3], 0 offset:140
	v_cmp_gt_u32_e64 s[6:7], 35, v0
	s_waitcnt vmcnt(0)
	ds_write_b32 v76, v78
	s_waitcnt lgkmcnt(0)
	; wave barrier
	s_and_saveexec_b64 s[8:9], s[6:7]
	s_cbranch_execz .LBB36_698
; %bb.689:
	s_and_b64 vcc, exec, s[4:5]
	s_cbranch_vccnz .LBB36_691
; %bb.690:
	buffer_load_dword v78, v77, s[0:3], 0 offen
	ds_read_b32 v79, v76
	s_waitcnt vmcnt(0) lgkmcnt(0)
	v_mul_f32_e32 v78, v78, v79
	s_cbranch_execz .LBB36_692
	s_branch .LBB36_693
.LBB36_691:
                                        ; implicit-def: $vgpr78
.LBB36_692:
	ds_read_b32 v78, v76
.LBB36_693:
	v_cmp_ne_u32_e32 vcc, 34, v0
	s_and_saveexec_b64 s[10:11], vcc
	s_cbranch_execz .LBB36_697
; %bb.694:
	s_mov_b32 s12, 0
	v_add_u32_e32 v79, 0xa4, v75
	v_add3_u32 v80, v75, s12, 4
	s_mov_b64 s[12:13], 0
	v_mov_b32_e32 v81, v0
.LBB36_695:                             ; =>This Inner Loop Header: Depth=1
	buffer_load_dword v82, v80, s[0:3], 0 offen
	ds_read_b32 v83, v79
	v_add_u32_e32 v81, 1, v81
	v_cmp_lt_u32_e32 vcc, 33, v81
	v_add_u32_e32 v79, 4, v79
	v_add_u32_e32 v80, 4, v80
	s_or_b64 s[12:13], vcc, s[12:13]
	s_waitcnt vmcnt(0) lgkmcnt(0)
	v_fmac_f32_e32 v78, v82, v83
	s_andn2_b64 exec, exec, s[12:13]
	s_cbranch_execnz .LBB36_695
; %bb.696:
	s_or_b64 exec, exec, s[12:13]
.LBB36_697:
	s_or_b64 exec, exec, s[10:11]
	v_mov_b32_e32 v79, 0
	ds_read_b32 v79, v79 offset:140
	s_waitcnt lgkmcnt(0)
	v_mul_f32_e32 v78, v78, v79
	buffer_store_dword v78, off, s[0:3], 0 offset:140
.LBB36_698:
	s_or_b64 exec, exec, s[8:9]
	buffer_load_dword v78, off, s[0:3], 0 offset:144
	v_cmp_ne_u32_e32 vcc, 36, v0
	s_waitcnt vmcnt(0)
	ds_write_b32 v76, v78
	s_waitcnt lgkmcnt(0)
	; wave barrier
	s_and_saveexec_b64 s[8:9], vcc
	s_cbranch_execz .LBB36_708
; %bb.699:
	s_and_b64 vcc, exec, s[4:5]
	s_cbranch_vccnz .LBB36_701
; %bb.700:
	buffer_load_dword v77, v77, s[0:3], 0 offen
	ds_read_b32 v78, v76
	s_waitcnt vmcnt(0) lgkmcnt(0)
	v_mul_f32_e32 v77, v77, v78
	s_cbranch_execz .LBB36_702
	s_branch .LBB36_703
.LBB36_701:
                                        ; implicit-def: $vgpr77
.LBB36_702:
	ds_read_b32 v77, v76
.LBB36_703:
	s_and_saveexec_b64 s[4:5], s[6:7]
	s_cbranch_execz .LBB36_707
; %bb.704:
	s_mov_b32 s6, 0
	v_add_u32_e32 v76, 0xa4, v75
	v_add3_u32 v75, v75, s6, 4
	s_mov_b64 s[6:7], 0
.LBB36_705:                             ; =>This Inner Loop Header: Depth=1
	buffer_load_dword v78, v75, s[0:3], 0 offen
	ds_read_b32 v79, v76
	v_add_u32_e32 v0, 1, v0
	v_cmp_lt_u32_e32 vcc, 34, v0
	v_add_u32_e32 v76, 4, v76
	v_add_u32_e32 v75, 4, v75
	s_or_b64 s[6:7], vcc, s[6:7]
	s_waitcnt vmcnt(0) lgkmcnt(0)
	v_fmac_f32_e32 v77, v78, v79
	s_andn2_b64 exec, exec, s[6:7]
	s_cbranch_execnz .LBB36_705
; %bb.706:
	s_or_b64 exec, exec, s[6:7]
.LBB36_707:
	s_or_b64 exec, exec, s[4:5]
	v_mov_b32_e32 v0, 0
	ds_read_b32 v0, v0 offset:144
	s_waitcnt lgkmcnt(0)
	v_mul_f32_e32 v0, v77, v0
	buffer_store_dword v0, off, s[0:3], 0 offset:144
.LBB36_708:
	s_or_b64 exec, exec, s[8:9]
.LBB36_709:
	buffer_load_dword v0, off, s[0:3], 0
	buffer_load_dword v75, off, s[0:3], 0 offset:4
	buffer_load_dword v76, off, s[0:3], 0 offset:8
	;; [unrolled: 1-line block ×7, first 2 shown]
	s_waitcnt vmcnt(7)
	global_store_dword v[71:72], v0, off
	s_waitcnt vmcnt(7)
	global_store_dword v[73:74], v75, off
	buffer_load_dword v0, off, s[0:3], 0 offset:32
	buffer_load_dword v71, off, s[0:3], 0 offset:36
	;; [unrolled: 1-line block ×3, first 2 shown]
	s_waitcnt vmcnt(10)
	global_store_dword v[1:2], v76, off
	s_waitcnt vmcnt(10)
	global_store_dword v[3:4], v77, off
	buffer_load_dword v1, off, s[0:3], 0 offset:44
	buffer_load_dword v2, off, s[0:3], 0 offset:48
	s_nop 0
	buffer_load_dword v3, off, s[0:3], 0 offset:52
	buffer_load_dword v4, off, s[0:3], 0 offset:56
	;; [unrolled: 1-line block ×3, first 2 shown]
	s_waitcnt vmcnt(15)
	global_store_dword v[5:6], v78, off
	s_waitcnt vmcnt(15)
	global_store_dword v[7:8], v79, off
	buffer_load_dword v5, off, s[0:3], 0 offset:64
	buffer_load_dword v6, off, s[0:3], 0 offset:68
	s_nop 0
	buffer_load_dword v7, off, s[0:3], 0 offset:72
	buffer_load_dword v8, off, s[0:3], 0 offset:76
	;; [unrolled: 1-line block ×6, first 2 shown]
	s_waitcnt vmcnt(23)
	global_store_dword v[9:10], v80, off
	s_waitcnt vmcnt(23)
	global_store_dword v[11:12], v81, off
	;; [unrolled: 2-line block ×3, first 2 shown]
	buffer_load_dword v0, off, s[0:3], 0 offset:96
	s_nop 0
	buffer_load_dword v9, off, s[0:3], 0 offset:100
	buffer_load_dword v10, off, s[0:3], 0 offset:104
	;; [unrolled: 1-line block ×7, first 2 shown]
	s_waitcnt vmcnt(29)
	global_store_dword v[15:16], v71, off
	s_waitcnt vmcnt(29)
	global_store_dword v[17:18], v72, off
	buffer_load_dword v15, off, s[0:3], 0 offset:128
	buffer_load_dword v16, off, s[0:3], 0 offset:132
	s_nop 0
	buffer_load_dword v17, off, s[0:3], 0 offset:136
	buffer_load_dword v18, off, s[0:3], 0 offset:140
	;; [unrolled: 1-line block ×3, first 2 shown]
	s_waitcnt vmcnt(32)
	global_store_dword v[19:20], v1, off
	s_waitcnt vmcnt(32)
	global_store_dword v[21:22], v2, off
	;; [unrolled: 2-line block ×26, first 2 shown]
.LBB36_710:
	s_endpgm
	.section	.rodata,"a",@progbits
	.p2align	6, 0x0
	.amdhsa_kernel _ZN9rocsolver6v33100L18trti2_kernel_smallILi37EfPfEEv13rocblas_fill_17rocblas_diagonal_T1_iil
		.amdhsa_group_segment_fixed_size 308
		.amdhsa_private_segment_fixed_size 160
		.amdhsa_kernarg_size 32
		.amdhsa_user_sgpr_count 6
		.amdhsa_user_sgpr_private_segment_buffer 1
		.amdhsa_user_sgpr_dispatch_ptr 0
		.amdhsa_user_sgpr_queue_ptr 0
		.amdhsa_user_sgpr_kernarg_segment_ptr 1
		.amdhsa_user_sgpr_dispatch_id 0
		.amdhsa_user_sgpr_flat_scratch_init 0
		.amdhsa_user_sgpr_private_segment_size 0
		.amdhsa_uses_dynamic_stack 0
		.amdhsa_system_sgpr_private_segment_wavefront_offset 1
		.amdhsa_system_sgpr_workgroup_id_x 1
		.amdhsa_system_sgpr_workgroup_id_y 0
		.amdhsa_system_sgpr_workgroup_id_z 0
		.amdhsa_system_sgpr_workgroup_info 0
		.amdhsa_system_vgpr_workitem_id 0
		.amdhsa_next_free_vgpr 84
		.amdhsa_next_free_sgpr 50
		.amdhsa_reserve_vcc 1
		.amdhsa_reserve_flat_scratch 0
		.amdhsa_float_round_mode_32 0
		.amdhsa_float_round_mode_16_64 0
		.amdhsa_float_denorm_mode_32 3
		.amdhsa_float_denorm_mode_16_64 3
		.amdhsa_dx10_clamp 1
		.amdhsa_ieee_mode 1
		.amdhsa_fp16_overflow 0
		.amdhsa_exception_fp_ieee_invalid_op 0
		.amdhsa_exception_fp_denorm_src 0
		.amdhsa_exception_fp_ieee_div_zero 0
		.amdhsa_exception_fp_ieee_overflow 0
		.amdhsa_exception_fp_ieee_underflow 0
		.amdhsa_exception_fp_ieee_inexact 0
		.amdhsa_exception_int_div_zero 0
	.end_amdhsa_kernel
	.section	.text._ZN9rocsolver6v33100L18trti2_kernel_smallILi37EfPfEEv13rocblas_fill_17rocblas_diagonal_T1_iil,"axG",@progbits,_ZN9rocsolver6v33100L18trti2_kernel_smallILi37EfPfEEv13rocblas_fill_17rocblas_diagonal_T1_iil,comdat
.Lfunc_end36:
	.size	_ZN9rocsolver6v33100L18trti2_kernel_smallILi37EfPfEEv13rocblas_fill_17rocblas_diagonal_T1_iil, .Lfunc_end36-_ZN9rocsolver6v33100L18trti2_kernel_smallILi37EfPfEEv13rocblas_fill_17rocblas_diagonal_T1_iil
                                        ; -- End function
	.set _ZN9rocsolver6v33100L18trti2_kernel_smallILi37EfPfEEv13rocblas_fill_17rocblas_diagonal_T1_iil.num_vgpr, 84
	.set _ZN9rocsolver6v33100L18trti2_kernel_smallILi37EfPfEEv13rocblas_fill_17rocblas_diagonal_T1_iil.num_agpr, 0
	.set _ZN9rocsolver6v33100L18trti2_kernel_smallILi37EfPfEEv13rocblas_fill_17rocblas_diagonal_T1_iil.numbered_sgpr, 50
	.set _ZN9rocsolver6v33100L18trti2_kernel_smallILi37EfPfEEv13rocblas_fill_17rocblas_diagonal_T1_iil.num_named_barrier, 0
	.set _ZN9rocsolver6v33100L18trti2_kernel_smallILi37EfPfEEv13rocblas_fill_17rocblas_diagonal_T1_iil.private_seg_size, 160
	.set _ZN9rocsolver6v33100L18trti2_kernel_smallILi37EfPfEEv13rocblas_fill_17rocblas_diagonal_T1_iil.uses_vcc, 1
	.set _ZN9rocsolver6v33100L18trti2_kernel_smallILi37EfPfEEv13rocblas_fill_17rocblas_diagonal_T1_iil.uses_flat_scratch, 0
	.set _ZN9rocsolver6v33100L18trti2_kernel_smallILi37EfPfEEv13rocblas_fill_17rocblas_diagonal_T1_iil.has_dyn_sized_stack, 0
	.set _ZN9rocsolver6v33100L18trti2_kernel_smallILi37EfPfEEv13rocblas_fill_17rocblas_diagonal_T1_iil.has_recursion, 0
	.set _ZN9rocsolver6v33100L18trti2_kernel_smallILi37EfPfEEv13rocblas_fill_17rocblas_diagonal_T1_iil.has_indirect_call, 0
	.section	.AMDGPU.csdata,"",@progbits
; Kernel info:
; codeLenInByte = 17860
; TotalNumSgprs: 54
; NumVgprs: 84
; ScratchSize: 160
; MemoryBound: 0
; FloatMode: 240
; IeeeMode: 1
; LDSByteSize: 308 bytes/workgroup (compile time only)
; SGPRBlocks: 6
; VGPRBlocks: 20
; NumSGPRsForWavesPerEU: 54
; NumVGPRsForWavesPerEU: 84
; Occupancy: 3
; WaveLimiterHint : 0
; COMPUTE_PGM_RSRC2:SCRATCH_EN: 1
; COMPUTE_PGM_RSRC2:USER_SGPR: 6
; COMPUTE_PGM_RSRC2:TRAP_HANDLER: 0
; COMPUTE_PGM_RSRC2:TGID_X_EN: 1
; COMPUTE_PGM_RSRC2:TGID_Y_EN: 0
; COMPUTE_PGM_RSRC2:TGID_Z_EN: 0
; COMPUTE_PGM_RSRC2:TIDIG_COMP_CNT: 0
	.section	.text._ZN9rocsolver6v33100L18trti2_kernel_smallILi38EfPfEEv13rocblas_fill_17rocblas_diagonal_T1_iil,"axG",@progbits,_ZN9rocsolver6v33100L18trti2_kernel_smallILi38EfPfEEv13rocblas_fill_17rocblas_diagonal_T1_iil,comdat
	.globl	_ZN9rocsolver6v33100L18trti2_kernel_smallILi38EfPfEEv13rocblas_fill_17rocblas_diagonal_T1_iil ; -- Begin function _ZN9rocsolver6v33100L18trti2_kernel_smallILi38EfPfEEv13rocblas_fill_17rocblas_diagonal_T1_iil
	.p2align	8
	.type	_ZN9rocsolver6v33100L18trti2_kernel_smallILi38EfPfEEv13rocblas_fill_17rocblas_diagonal_T1_iil,@function
_ZN9rocsolver6v33100L18trti2_kernel_smallILi38EfPfEEv13rocblas_fill_17rocblas_diagonal_T1_iil: ; @_ZN9rocsolver6v33100L18trti2_kernel_smallILi38EfPfEEv13rocblas_fill_17rocblas_diagonal_T1_iil
; %bb.0:
	s_add_u32 s0, s0, s7
	s_addc_u32 s1, s1, 0
	v_cmp_gt_u32_e32 vcc, 38, v0
	s_and_saveexec_b64 s[8:9], vcc
	s_cbranch_execz .LBB37_730
; %bb.1:
	s_load_dwordx8 s[8:15], s[4:5], 0x0
	s_ashr_i32 s7, s6, 31
	v_lshlrev_b32_e32 v77, 2, v0
	s_waitcnt lgkmcnt(0)
	s_ashr_i32 s5, s12, 31
	s_mov_b32 s4, s12
	s_mul_hi_u32 s12, s14, s6
	s_mul_i32 s7, s14, s7
	s_add_i32 s7, s12, s7
	s_mul_i32 s12, s15, s6
	s_add_i32 s7, s7, s12
	s_mul_i32 s6, s14, s6
	s_lshl_b64 s[6:7], s[6:7], 2
	s_add_u32 s6, s10, s6
	s_addc_u32 s7, s11, s7
	s_lshl_b64 s[4:5], s[4:5], 2
	s_add_u32 s4, s6, s4
	s_addc_u32 s5, s7, s5
	v_mov_b32_e32 v2, s5
	v_add_co_u32_e32 v1, vcc, s4, v77
	s_ashr_i32 s7, s13, 31
	s_mov_b32 s6, s13
	v_addc_co_u32_e32 v2, vcc, 0, v2, vcc
	s_lshl_b64 s[6:7], s[6:7], 2
	v_add_co_u32_e32 v3, vcc, s6, v1
	s_add_i32 s6, s13, s13
	v_add_u32_e32 v7, s6, v0
	v_ashrrev_i32_e32 v8, 31, v7
	v_mov_b32_e32 v4, s7
	v_lshlrev_b64 v[5:6], 2, v[7:8]
	v_addc_co_u32_e32 v4, vcc, v2, v4, vcc
	v_add_u32_e32 v9, s13, v7
	v_mov_b32_e32 v8, s5
	v_add_co_u32_e32 v5, vcc, s4, v5
	v_ashrrev_i32_e32 v10, 31, v9
	v_addc_co_u32_e32 v6, vcc, v8, v6, vcc
	v_lshlrev_b64 v[7:8], 2, v[9:10]
	v_add_u32_e32 v11, s13, v9
	v_mov_b32_e32 v10, s5
	v_add_co_u32_e32 v7, vcc, s4, v7
	v_ashrrev_i32_e32 v12, 31, v11
	v_addc_co_u32_e32 v8, vcc, v10, v8, vcc
	v_lshlrev_b64 v[9:10], 2, v[11:12]
	;; [unrolled: 6-line block ×34, first 2 shown]
	v_mov_b32_e32 v76, s5
	v_add_co_u32_e32 v73, vcc, s4, v73
	v_add_u32_e32 v75, s13, v75
	v_addc_co_u32_e32 v74, vcc, v76, v74, vcc
	v_ashrrev_i32_e32 v76, 31, v75
	v_lshlrev_b64 v[75:76], 2, v[75:76]
	global_load_dword v78, v77, s[4:5]
	global_load_dword v79, v[3:4], off
	global_load_dword v80, v[5:6], off
	;; [unrolled: 1-line block ×32, first 2 shown]
	v_mov_b32_e32 v111, s5
	v_add_co_u32_e32 v75, vcc, s4, v75
	v_addc_co_u32_e32 v76, vcc, v111, v76, vcc
	global_load_dword v111, v[67:68], off
	global_load_dword v112, v[69:70], off
	;; [unrolled: 1-line block ×5, first 2 shown]
	s_cmpk_lg_i32 s9, 0x84
	s_waitcnt vmcnt(37)
	buffer_store_dword v78, off, s[0:3], 0
	s_waitcnt vmcnt(37)
	buffer_store_dword v79, off, s[0:3], 0 offset:4
	s_waitcnt vmcnt(37)
	buffer_store_dword v80, off, s[0:3], 0 offset:8
	;; [unrolled: 2-line block ×32, first 2 shown]
	s_movk_i32 s12, 0x84
	s_cselect_b64 s[10:11], -1, 0
	s_cmpk_eq_i32 s9, 0x84
	v_mov_b32_e32 v78, -1.0
	s_waitcnt vmcnt(37)
	buffer_store_dword v111, off, s[0:3], 0 offset:132
	s_waitcnt vmcnt(37)
	buffer_store_dword v112, off, s[0:3], 0 offset:136
	s_waitcnt vmcnt(37)
	buffer_store_dword v113, off, s[0:3], 0 offset:140
	s_waitcnt vmcnt(37)
	buffer_store_dword v114, off, s[0:3], 0 offset:144
	s_waitcnt vmcnt(37)
	buffer_store_dword v115, off, s[0:3], 0 offset:148
	s_cbranch_scc1 .LBB37_3
; %bb.2:
	v_mov_b32_e32 v78, 0
	v_lshl_add_u32 v78, v0, 2, v78
	buffer_load_dword v79, v78, s[0:3], 0 offen
	s_waitcnt vmcnt(0)
	v_div_scale_f32 v80, s[4:5], v79, v79, 1.0
	v_div_scale_f32 v81, vcc, 1.0, v79, 1.0
	v_rcp_f32_e32 v82, v80
	v_fma_f32 v83, -v80, v82, 1.0
	v_fmac_f32_e32 v82, v83, v82
	v_mul_f32_e32 v83, v81, v82
	v_fma_f32 v84, -v80, v83, v81
	v_fmac_f32_e32 v83, v84, v82
	v_fma_f32 v80, -v80, v83, v81
	v_div_fmas_f32 v80, v80, v82, v83
	v_div_fixup_f32 v79, v80, v79, 1.0
	buffer_store_dword v79, v78, s[0:3], 0 offen
	v_xor_b32_e32 v78, 0x80000000, v79
.LBB37_3:
	ds_write_b32 v77, v78
	s_cmpk_eq_i32 s8, 0x79
	v_add_u32_e32 v78, 0xa0, v77
	v_mov_b32_e32 v79, v77
	s_mov_b64 s[4:5], -1
	s_cbranch_scc1 .LBB37_367
; %bb.4:
	buffer_load_dword v80, off, s[0:3], 0 offset:144
	s_movk_i32 s30, 0x44
	s_movk_i32 s31, 0x48
	;; [unrolled: 1-line block ×18, first 2 shown]
	v_cmp_eq_u32_e64 s[4:5], 37, v0
	s_waitcnt vmcnt(0)
	ds_write_b32 v78, v80
	s_waitcnt lgkmcnt(0)
	; wave barrier
	s_and_saveexec_b64 s[6:7], s[4:5]
	s_cbranch_execz .LBB37_10
; %bb.5:
	s_and_b64 vcc, exec, s[10:11]
	s_cbranch_vccz .LBB37_7
; %bb.6:
	buffer_load_dword v80, v79, s[0:3], 0 offen
	ds_read_b32 v81, v78
	s_waitcnt vmcnt(0) lgkmcnt(0)
	v_mul_f32_e32 v80, v80, v81
	s_cbranch_execz .LBB37_8
	s_branch .LBB37_9
.LBB37_7:
                                        ; implicit-def: $vgpr80
.LBB37_8:
	ds_read_b32 v80, v78
.LBB37_9:
	v_mov_b32_e32 v81, 0
	ds_read_b32 v81, v81 offset:144
	s_waitcnt lgkmcnt(0)
	v_mul_f32_e32 v80, v80, v81
	buffer_store_dword v80, off, s[0:3], 0 offset:144
.LBB37_10:
	s_or_b64 exec, exec, s[6:7]
	buffer_load_dword v80, off, s[0:3], 0 offset:140
	s_or_b32 s14, 0, 4
	s_or_b32 s15, 0, 8
	;; [unrolled: 1-line block ×3, first 2 shown]
	s_mov_b32 s17, 16
	s_mov_b32 s18, 20
	;; [unrolled: 1-line block ×15, first 2 shown]
	v_cmp_lt_u32_e64 s[6:7], 35, v0
	s_waitcnt vmcnt(0)
	ds_write_b32 v78, v80
	s_waitcnt lgkmcnt(0)
	; wave barrier
	s_and_saveexec_b64 s[8:9], s[6:7]
	s_cbranch_execz .LBB37_16
; %bb.11:
	s_andn2_b64 vcc, exec, s[10:11]
	s_cbranch_vccnz .LBB37_13
; %bb.12:
	buffer_load_dword v80, v79, s[0:3], 0 offen
	ds_read_b32 v81, v78
	s_waitcnt vmcnt(0) lgkmcnt(0)
	v_mul_f32_e32 v80, v80, v81
	s_cbranch_execz .LBB37_14
	s_branch .LBB37_15
.LBB37_13:
                                        ; implicit-def: $vgpr80
.LBB37_14:
	ds_read_b32 v80, v78
.LBB37_15:
	buffer_load_dword v83, off, s[0:3], 0 offset:144
	v_mov_b32_e32 v81, 0
	ds_read2_b32 v[81:82], v81 offset0:35 offset1:76
	s_waitcnt vmcnt(0) lgkmcnt(0)
	v_fma_f32 v82, v83, v82, v80
	v_cndmask_b32_e64 v80, v80, v82, s[4:5]
	v_mul_f32_e32 v80, v80, v81
	buffer_store_dword v80, off, s[0:3], 0 offset:140
.LBB37_16:
	s_or_b64 exec, exec, s[8:9]
	buffer_load_dword v80, off, s[0:3], 0 offset:136
	v_cmp_lt_u32_e64 s[4:5], 34, v0
	s_waitcnt vmcnt(0)
	ds_write_b32 v78, v80
	s_waitcnt lgkmcnt(0)
	; wave barrier
	s_and_saveexec_b64 s[8:9], s[4:5]
	s_cbranch_execz .LBB37_26
; %bb.17:
	s_andn2_b64 vcc, exec, s[10:11]
	s_cbranch_vccnz .LBB37_19
; %bb.18:
	buffer_load_dword v80, v79, s[0:3], 0 offen
	ds_read_b32 v81, v78
	s_waitcnt vmcnt(0) lgkmcnt(0)
	v_mul_f32_e32 v80, v80, v81
	s_cbranch_execz .LBB37_20
	s_branch .LBB37_21
.LBB37_19:
                                        ; implicit-def: $vgpr80
.LBB37_20:
	ds_read_b32 v80, v78
.LBB37_21:
	s_and_saveexec_b64 s[12:13], s[6:7]
	s_cbranch_execz .LBB37_25
; %bb.22:
	v_subrev_u32_e32 v81, 35, v0
	s_movk_i32 s50, 0x12c
	s_mov_b64 s[6:7], 0
.LBB37_23:                              ; =>This Inner Loop Header: Depth=1
	v_mov_b32_e32 v82, s49
	buffer_load_dword v82, v82, s[0:3], 0 offen
	v_mov_b32_e32 v83, s50
	ds_read_b32 v83, v83
	v_add_u32_e32 v81, -1, v81
	s_add_i32 s50, s50, 4
	s_add_i32 s49, s49, 4
	v_cmp_eq_u32_e32 vcc, 0, v81
	s_or_b64 s[6:7], vcc, s[6:7]
	s_waitcnt vmcnt(0) lgkmcnt(0)
	v_fmac_f32_e32 v80, v82, v83
	s_andn2_b64 exec, exec, s[6:7]
	s_cbranch_execnz .LBB37_23
; %bb.24:
	s_or_b64 exec, exec, s[6:7]
.LBB37_25:
	s_or_b64 exec, exec, s[12:13]
	v_mov_b32_e32 v81, 0
	ds_read_b32 v81, v81 offset:136
	s_waitcnt lgkmcnt(0)
	v_mul_f32_e32 v80, v80, v81
	buffer_store_dword v80, off, s[0:3], 0 offset:136
.LBB37_26:
	s_or_b64 exec, exec, s[8:9]
	buffer_load_dword v80, off, s[0:3], 0 offset:132
	v_cmp_lt_u32_e64 s[6:7], 33, v0
	s_waitcnt vmcnt(0)
	ds_write_b32 v78, v80
	s_waitcnt lgkmcnt(0)
	; wave barrier
	s_and_saveexec_b64 s[8:9], s[6:7]
	s_cbranch_execz .LBB37_36
; %bb.27:
	s_andn2_b64 vcc, exec, s[10:11]
	s_cbranch_vccnz .LBB37_29
; %bb.28:
	buffer_load_dword v80, v79, s[0:3], 0 offen
	ds_read_b32 v81, v78
	s_waitcnt vmcnt(0) lgkmcnt(0)
	v_mul_f32_e32 v80, v80, v81
	s_cbranch_execz .LBB37_30
	s_branch .LBB37_31
.LBB37_29:
                                        ; implicit-def: $vgpr80
.LBB37_30:
	ds_read_b32 v80, v78
.LBB37_31:
	s_and_saveexec_b64 s[12:13], s[4:5]
	s_cbranch_execz .LBB37_35
; %bb.32:
	v_subrev_u32_e32 v81, 34, v0
	s_movk_i32 s49, 0x128
	s_mov_b64 s[4:5], 0
.LBB37_33:                              ; =>This Inner Loop Header: Depth=1
	v_mov_b32_e32 v82, s48
	buffer_load_dword v82, v82, s[0:3], 0 offen
	v_mov_b32_e32 v83, s49
	ds_read_b32 v83, v83
	v_add_u32_e32 v81, -1, v81
	s_add_i32 s49, s49, 4
	s_add_i32 s48, s48, 4
	v_cmp_eq_u32_e32 vcc, 0, v81
	s_or_b64 s[4:5], vcc, s[4:5]
	s_waitcnt vmcnt(0) lgkmcnt(0)
	v_fmac_f32_e32 v80, v82, v83
	s_andn2_b64 exec, exec, s[4:5]
	s_cbranch_execnz .LBB37_33
; %bb.34:
	s_or_b64 exec, exec, s[4:5]
.LBB37_35:
	s_or_b64 exec, exec, s[12:13]
	v_mov_b32_e32 v81, 0
	ds_read_b32 v81, v81 offset:132
	s_waitcnt lgkmcnt(0)
	v_mul_f32_e32 v80, v80, v81
	buffer_store_dword v80, off, s[0:3], 0 offset:132
.LBB37_36:
	;; [unrolled: 54-line block ×8, first 2 shown]
	s_or_b64 exec, exec, s[8:9]
	buffer_load_dword v80, off, s[0:3], 0 offset:104
	v_cmp_lt_u32_e64 s[4:5], 26, v0
	s_waitcnt vmcnt(0)
	ds_write_b32 v78, v80
	s_waitcnt lgkmcnt(0)
	; wave barrier
	s_and_saveexec_b64 s[8:9], s[4:5]
	s_cbranch_execz .LBB37_106
; %bb.97:
	s_andn2_b64 vcc, exec, s[10:11]
	s_cbranch_vccnz .LBB37_99
; %bb.98:
	buffer_load_dword v80, v79, s[0:3], 0 offen
	ds_read_b32 v81, v78
	s_waitcnt vmcnt(0) lgkmcnt(0)
	v_mul_f32_e32 v80, v80, v81
	s_cbranch_execz .LBB37_100
	s_branch .LBB37_101
.LBB37_99:
                                        ; implicit-def: $vgpr80
.LBB37_100:
	ds_read_b32 v80, v78
.LBB37_101:
	s_and_saveexec_b64 s[12:13], s[6:7]
	s_cbranch_execz .LBB37_105
; %bb.102:
	v_subrev_u32_e32 v81, 27, v0
	s_movk_i32 s42, 0x10c
	s_mov_b64 s[6:7], 0
.LBB37_103:                             ; =>This Inner Loop Header: Depth=1
	v_mov_b32_e32 v82, s41
	buffer_load_dword v82, v82, s[0:3], 0 offen
	v_mov_b32_e32 v83, s42
	ds_read_b32 v83, v83
	v_add_u32_e32 v81, -1, v81
	s_add_i32 s42, s42, 4
	s_add_i32 s41, s41, 4
	v_cmp_eq_u32_e32 vcc, 0, v81
	s_or_b64 s[6:7], vcc, s[6:7]
	s_waitcnt vmcnt(0) lgkmcnt(0)
	v_fmac_f32_e32 v80, v82, v83
	s_andn2_b64 exec, exec, s[6:7]
	s_cbranch_execnz .LBB37_103
; %bb.104:
	s_or_b64 exec, exec, s[6:7]
.LBB37_105:
	s_or_b64 exec, exec, s[12:13]
	v_mov_b32_e32 v81, 0
	ds_read_b32 v81, v81 offset:104
	s_waitcnt lgkmcnt(0)
	v_mul_f32_e32 v80, v80, v81
	buffer_store_dword v80, off, s[0:3], 0 offset:104
.LBB37_106:
	s_or_b64 exec, exec, s[8:9]
	buffer_load_dword v80, off, s[0:3], 0 offset:100
	v_cmp_lt_u32_e64 s[6:7], 25, v0
	s_waitcnt vmcnt(0)
	ds_write_b32 v78, v80
	s_waitcnt lgkmcnt(0)
	; wave barrier
	s_and_saveexec_b64 s[8:9], s[6:7]
	s_cbranch_execz .LBB37_116
; %bb.107:
	s_andn2_b64 vcc, exec, s[10:11]
	s_cbranch_vccnz .LBB37_109
; %bb.108:
	buffer_load_dword v80, v79, s[0:3], 0 offen
	ds_read_b32 v81, v78
	s_waitcnt vmcnt(0) lgkmcnt(0)
	v_mul_f32_e32 v80, v80, v81
	s_cbranch_execz .LBB37_110
	s_branch .LBB37_111
.LBB37_109:
                                        ; implicit-def: $vgpr80
.LBB37_110:
	ds_read_b32 v80, v78
.LBB37_111:
	s_and_saveexec_b64 s[12:13], s[4:5]
	s_cbranch_execz .LBB37_115
; %bb.112:
	v_subrev_u32_e32 v81, 26, v0
	s_movk_i32 s41, 0x108
	s_mov_b64 s[4:5], 0
.LBB37_113:                             ; =>This Inner Loop Header: Depth=1
	v_mov_b32_e32 v82, s40
	buffer_load_dword v82, v82, s[0:3], 0 offen
	v_mov_b32_e32 v83, s41
	ds_read_b32 v83, v83
	v_add_u32_e32 v81, -1, v81
	s_add_i32 s41, s41, 4
	s_add_i32 s40, s40, 4
	v_cmp_eq_u32_e32 vcc, 0, v81
	s_or_b64 s[4:5], vcc, s[4:5]
	s_waitcnt vmcnt(0) lgkmcnt(0)
	v_fmac_f32_e32 v80, v82, v83
	s_andn2_b64 exec, exec, s[4:5]
	s_cbranch_execnz .LBB37_113
; %bb.114:
	s_or_b64 exec, exec, s[4:5]
.LBB37_115:
	s_or_b64 exec, exec, s[12:13]
	v_mov_b32_e32 v81, 0
	ds_read_b32 v81, v81 offset:100
	s_waitcnt lgkmcnt(0)
	v_mul_f32_e32 v80, v80, v81
	buffer_store_dword v80, off, s[0:3], 0 offset:100
.LBB37_116:
	;; [unrolled: 54-line block ×11, first 2 shown]
	s_or_b64 exec, exec, s[8:9]
	buffer_load_dword v80, off, s[0:3], 0 offset:60
	v_cmp_lt_u32_e64 s[6:7], 15, v0
	s_waitcnt vmcnt(0)
	ds_write_b32 v78, v80
	s_waitcnt lgkmcnt(0)
	; wave barrier
	s_and_saveexec_b64 s[8:9], s[6:7]
	s_cbranch_execz .LBB37_216
; %bb.207:
	s_andn2_b64 vcc, exec, s[10:11]
	s_cbranch_vccnz .LBB37_209
; %bb.208:
	buffer_load_dword v80, v79, s[0:3], 0 offen
	ds_read_b32 v81, v78
	s_waitcnt vmcnt(0) lgkmcnt(0)
	v_mul_f32_e32 v80, v80, v81
	s_cbranch_execz .LBB37_210
	s_branch .LBB37_211
.LBB37_209:
                                        ; implicit-def: $vgpr80
.LBB37_210:
	ds_read_b32 v80, v78
.LBB37_211:
	s_and_saveexec_b64 s[12:13], s[4:5]
	s_cbranch_execz .LBB37_215
; %bb.212:
	v_add_u32_e32 v81, -16, v0
	s_movk_i32 s30, 0xe0
	s_mov_b64 s[4:5], 0
.LBB37_213:                             ; =>This Inner Loop Header: Depth=1
	v_mov_b32_e32 v82, s29
	buffer_load_dword v82, v82, s[0:3], 0 offen
	v_mov_b32_e32 v83, s30
	ds_read_b32 v83, v83
	v_add_u32_e32 v81, -1, v81
	s_add_i32 s30, s30, 4
	s_add_i32 s29, s29, 4
	v_cmp_eq_u32_e32 vcc, 0, v81
	s_or_b64 s[4:5], vcc, s[4:5]
	s_waitcnt vmcnt(0) lgkmcnt(0)
	v_fmac_f32_e32 v80, v82, v83
	s_andn2_b64 exec, exec, s[4:5]
	s_cbranch_execnz .LBB37_213
; %bb.214:
	s_or_b64 exec, exec, s[4:5]
.LBB37_215:
	s_or_b64 exec, exec, s[12:13]
	v_mov_b32_e32 v81, 0
	ds_read_b32 v81, v81 offset:60
	s_waitcnt lgkmcnt(0)
	v_mul_f32_e32 v80, v80, v81
	buffer_store_dword v80, off, s[0:3], 0 offset:60
.LBB37_216:
	s_or_b64 exec, exec, s[8:9]
	buffer_load_dword v80, off, s[0:3], 0 offset:56
	v_cmp_lt_u32_e64 s[4:5], 14, v0
	s_waitcnt vmcnt(0)
	ds_write_b32 v78, v80
	s_waitcnt lgkmcnt(0)
	; wave barrier
	s_and_saveexec_b64 s[8:9], s[4:5]
	s_cbranch_execz .LBB37_226
; %bb.217:
	s_andn2_b64 vcc, exec, s[10:11]
	s_cbranch_vccnz .LBB37_219
; %bb.218:
	buffer_load_dword v80, v79, s[0:3], 0 offen
	ds_read_b32 v81, v78
	s_waitcnt vmcnt(0) lgkmcnt(0)
	v_mul_f32_e32 v80, v80, v81
	s_cbranch_execz .LBB37_220
	s_branch .LBB37_221
.LBB37_219:
                                        ; implicit-def: $vgpr80
.LBB37_220:
	ds_read_b32 v80, v78
.LBB37_221:
	s_and_saveexec_b64 s[12:13], s[6:7]
	s_cbranch_execz .LBB37_225
; %bb.222:
	v_add_u32_e32 v81, -15, v0
	s_movk_i32 s29, 0xdc
	s_mov_b64 s[6:7], 0
.LBB37_223:                             ; =>This Inner Loop Header: Depth=1
	v_mov_b32_e32 v82, s28
	buffer_load_dword v82, v82, s[0:3], 0 offen
	v_mov_b32_e32 v83, s29
	ds_read_b32 v83, v83
	v_add_u32_e32 v81, -1, v81
	s_add_i32 s29, s29, 4
	s_add_i32 s28, s28, 4
	v_cmp_eq_u32_e32 vcc, 0, v81
	s_or_b64 s[6:7], vcc, s[6:7]
	s_waitcnt vmcnt(0) lgkmcnt(0)
	v_fmac_f32_e32 v80, v82, v83
	s_andn2_b64 exec, exec, s[6:7]
	s_cbranch_execnz .LBB37_223
; %bb.224:
	s_or_b64 exec, exec, s[6:7]
.LBB37_225:
	s_or_b64 exec, exec, s[12:13]
	v_mov_b32_e32 v81, 0
	ds_read_b32 v81, v81 offset:56
	s_waitcnt lgkmcnt(0)
	v_mul_f32_e32 v80, v80, v81
	buffer_store_dword v80, off, s[0:3], 0 offset:56
.LBB37_226:
	;; [unrolled: 54-line block ×15, first 2 shown]
	s_or_b64 exec, exec, s[8:9]
	buffer_load_dword v80, off, s[0:3], 0
	v_cmp_ne_u32_e32 vcc, 0, v0
	s_waitcnt vmcnt(0)
	ds_write_b32 v78, v80
	s_waitcnt lgkmcnt(0)
	; wave barrier
	s_and_saveexec_b64 s[4:5], vcc
	s_cbranch_execz .LBB37_366
; %bb.357:
	s_andn2_b64 vcc, exec, s[10:11]
	s_cbranch_vccnz .LBB37_359
; %bb.358:
	buffer_load_dword v80, v79, s[0:3], 0 offen
	ds_read_b32 v81, v78
	s_waitcnt vmcnt(0) lgkmcnt(0)
	v_mul_f32_e32 v80, v80, v81
	s_cbranch_execz .LBB37_360
	s_branch .LBB37_361
.LBB37_359:
                                        ; implicit-def: $vgpr80
.LBB37_360:
	ds_read_b32 v80, v78
.LBB37_361:
	s_and_saveexec_b64 s[8:9], s[6:7]
	s_cbranch_execz .LBB37_365
; %bb.362:
	v_add_u32_e32 v81, -1, v0
	s_movk_i32 s12, 0xa4
	s_mov_b64 s[6:7], 0
.LBB37_363:                             ; =>This Inner Loop Header: Depth=1
	v_mov_b32_e32 v82, s14
	buffer_load_dword v82, v82, s[0:3], 0 offen
	v_mov_b32_e32 v83, s12
	ds_read_b32 v83, v83
	v_add_u32_e32 v81, -1, v81
	s_add_i32 s12, s12, 4
	s_add_i32 s14, s14, 4
	v_cmp_eq_u32_e32 vcc, 0, v81
	s_or_b64 s[6:7], vcc, s[6:7]
	s_waitcnt vmcnt(0) lgkmcnt(0)
	v_fmac_f32_e32 v80, v82, v83
	s_andn2_b64 exec, exec, s[6:7]
	s_cbranch_execnz .LBB37_363
; %bb.364:
	s_or_b64 exec, exec, s[6:7]
.LBB37_365:
	s_or_b64 exec, exec, s[8:9]
	v_mov_b32_e32 v81, 0
	ds_read_b32 v81, v81
	s_waitcnt lgkmcnt(0)
	v_mul_f32_e32 v80, v80, v81
	buffer_store_dword v80, off, s[0:3], 0
.LBB37_366:
	s_or_b64 exec, exec, s[4:5]
	s_mov_b64 s[4:5], 0
.LBB37_367:
	s_and_b64 vcc, exec, s[4:5]
	s_cbranch_vccz .LBB37_729
; %bb.368:
	buffer_load_dword v80, off, s[0:3], 0 offset:4
	v_cmp_eq_u32_e64 s[6:7], 0, v0
	s_waitcnt vmcnt(0)
	ds_write_b32 v78, v80
	s_waitcnt lgkmcnt(0)
	; wave barrier
	s_and_saveexec_b64 s[4:5], s[6:7]
	s_cbranch_execz .LBB37_374
; %bb.369:
	s_and_b64 vcc, exec, s[10:11]
	s_cbranch_vccz .LBB37_371
; %bb.370:
	buffer_load_dword v80, v79, s[0:3], 0 offen
	ds_read_b32 v81, v78
	s_waitcnt vmcnt(0) lgkmcnt(0)
	v_mul_f32_e32 v80, v80, v81
	s_cbranch_execz .LBB37_372
	s_branch .LBB37_373
.LBB37_371:
                                        ; implicit-def: $vgpr80
.LBB37_372:
	ds_read_b32 v80, v78
.LBB37_373:
	v_mov_b32_e32 v81, 0
	ds_read_b32 v81, v81 offset:4
	s_waitcnt lgkmcnt(0)
	v_mul_f32_e32 v80, v80, v81
	buffer_store_dword v80, off, s[0:3], 0 offset:4
.LBB37_374:
	s_or_b64 exec, exec, s[4:5]
	buffer_load_dword v80, off, s[0:3], 0 offset:8
	v_cndmask_b32_e64 v81, 0, 1, s[10:11]
	v_cmp_gt_u32_e32 vcc, 2, v0
	v_cmp_ne_u32_e64 s[4:5], 1, v81
	s_waitcnt vmcnt(0)
	ds_write_b32 v78, v80
	s_waitcnt lgkmcnt(0)
	; wave barrier
	s_and_saveexec_b64 s[8:9], vcc
	s_cbranch_execz .LBB37_380
; %bb.375:
	s_and_b64 vcc, exec, s[4:5]
	s_cbranch_vccnz .LBB37_377
; %bb.376:
	buffer_load_dword v80, v79, s[0:3], 0 offen
	ds_read_b32 v81, v78
	s_waitcnt vmcnt(0) lgkmcnt(0)
	v_mul_f32_e32 v80, v80, v81
	s_cbranch_execz .LBB37_378
	s_branch .LBB37_379
.LBB37_377:
                                        ; implicit-def: $vgpr80
.LBB37_378:
	ds_read_b32 v80, v78
.LBB37_379:
	buffer_load_dword v83, off, s[0:3], 0 offset:4
	v_mov_b32_e32 v81, 0
	ds_read2_b32 v[81:82], v81 offset0:2 offset1:41
	s_waitcnt vmcnt(0) lgkmcnt(0)
	v_fma_f32 v82, v83, v82, v80
	v_cndmask_b32_e64 v80, v80, v82, s[6:7]
	v_mul_f32_e32 v80, v80, v81
	buffer_store_dword v80, off, s[0:3], 0 offset:8
.LBB37_380:
	s_or_b64 exec, exec, s[8:9]
	buffer_load_dword v80, off, s[0:3], 0 offset:12
	v_cmp_gt_u32_e32 vcc, 3, v0
	s_waitcnt vmcnt(0)
	ds_write_b32 v78, v80
	s_waitcnt lgkmcnt(0)
	; wave barrier
	s_and_saveexec_b64 s[8:9], vcc
	s_cbranch_execz .LBB37_388
; %bb.381:
	s_and_b64 vcc, exec, s[4:5]
	s_cbranch_vccnz .LBB37_383
; %bb.382:
	buffer_load_dword v80, v79, s[0:3], 0 offen
	ds_read_b32 v81, v78
	s_waitcnt vmcnt(0) lgkmcnt(0)
	v_mul_f32_e32 v80, v80, v81
	s_cbranch_execz .LBB37_384
	s_branch .LBB37_385
.LBB37_383:
                                        ; implicit-def: $vgpr80
.LBB37_384:
	ds_read_b32 v80, v78
.LBB37_385:
	v_cmp_ne_u32_e32 vcc, 2, v0
	s_and_saveexec_b64 s[10:11], vcc
	s_cbranch_execz .LBB37_387
; %bb.386:
	buffer_load_dword v81, v79, s[0:3], 0 offen offset:4
	buffer_load_dword v82, off, s[0:3], 0 offset:8
	v_mov_b32_e32 v83, 0
	ds_read_b32 v84, v78 offset:4
	ds_read_b32 v83, v83 offset:168
	s_waitcnt vmcnt(1) lgkmcnt(1)
	v_fmac_f32_e32 v80, v81, v84
	s_waitcnt vmcnt(0) lgkmcnt(0)
	v_fma_f32 v81, v82, v83, v80
	v_cndmask_b32_e64 v80, v80, v81, s[6:7]
.LBB37_387:
	s_or_b64 exec, exec, s[10:11]
	v_mov_b32_e32 v81, 0
	ds_read_b32 v81, v81 offset:12
	s_waitcnt lgkmcnt(0)
	v_mul_f32_e32 v80, v80, v81
	buffer_store_dword v80, off, s[0:3], 0 offset:12
.LBB37_388:
	s_or_b64 exec, exec, s[8:9]
	buffer_load_dword v80, off, s[0:3], 0 offset:16
	v_cmp_gt_u32_e32 vcc, 4, v0
	s_waitcnt vmcnt(0)
	ds_write_b32 v78, v80
	s_waitcnt lgkmcnt(0)
	; wave barrier
	s_and_saveexec_b64 s[6:7], vcc
	s_cbranch_execz .LBB37_398
; %bb.389:
	s_and_b64 vcc, exec, s[4:5]
	s_cbranch_vccnz .LBB37_391
; %bb.390:
	buffer_load_dword v80, v79, s[0:3], 0 offen
	ds_read_b32 v81, v78
	s_waitcnt vmcnt(0) lgkmcnt(0)
	v_mul_f32_e32 v80, v80, v81
	s_cbranch_execz .LBB37_392
	s_branch .LBB37_393
.LBB37_391:
                                        ; implicit-def: $vgpr80
.LBB37_392:
	ds_read_b32 v80, v78
.LBB37_393:
	v_cmp_ne_u32_e32 vcc, 3, v0
	s_and_saveexec_b64 s[8:9], vcc
	s_cbranch_execz .LBB37_397
; %bb.394:
	s_mov_b32 s10, 0
	v_add_u32_e32 v81, 0xa4, v77
	v_add3_u32 v82, v77, s10, 4
	s_mov_b64 s[10:11], 0
	v_mov_b32_e32 v83, v0
.LBB37_395:                             ; =>This Inner Loop Header: Depth=1
	buffer_load_dword v84, v82, s[0:3], 0 offen
	ds_read_b32 v85, v81
	v_add_u32_e32 v83, 1, v83
	v_cmp_lt_u32_e32 vcc, 2, v83
	v_add_u32_e32 v81, 4, v81
	v_add_u32_e32 v82, 4, v82
	s_or_b64 s[10:11], vcc, s[10:11]
	s_waitcnt vmcnt(0) lgkmcnt(0)
	v_fmac_f32_e32 v80, v84, v85
	s_andn2_b64 exec, exec, s[10:11]
	s_cbranch_execnz .LBB37_395
; %bb.396:
	s_or_b64 exec, exec, s[10:11]
.LBB37_397:
	s_or_b64 exec, exec, s[8:9]
	v_mov_b32_e32 v81, 0
	ds_read_b32 v81, v81 offset:16
	s_waitcnt lgkmcnt(0)
	v_mul_f32_e32 v80, v80, v81
	buffer_store_dword v80, off, s[0:3], 0 offset:16
.LBB37_398:
	s_or_b64 exec, exec, s[6:7]
	buffer_load_dword v80, off, s[0:3], 0 offset:20
	v_cmp_gt_u32_e32 vcc, 5, v0
	s_waitcnt vmcnt(0)
	ds_write_b32 v78, v80
	s_waitcnt lgkmcnt(0)
	; wave barrier
	s_and_saveexec_b64 s[6:7], vcc
	s_cbranch_execz .LBB37_408
; %bb.399:
	s_and_b64 vcc, exec, s[4:5]
	s_cbranch_vccnz .LBB37_401
; %bb.400:
	buffer_load_dword v80, v79, s[0:3], 0 offen
	ds_read_b32 v81, v78
	s_waitcnt vmcnt(0) lgkmcnt(0)
	v_mul_f32_e32 v80, v80, v81
	s_cbranch_execz .LBB37_402
	s_branch .LBB37_403
.LBB37_401:
                                        ; implicit-def: $vgpr80
.LBB37_402:
	ds_read_b32 v80, v78
.LBB37_403:
	v_cmp_ne_u32_e32 vcc, 4, v0
	s_and_saveexec_b64 s[8:9], vcc
	s_cbranch_execz .LBB37_407
; %bb.404:
	s_mov_b32 s10, 0
	v_add_u32_e32 v81, 0xa4, v77
	v_add3_u32 v82, v77, s10, 4
	s_mov_b64 s[10:11], 0
	v_mov_b32_e32 v83, v0
.LBB37_405:                             ; =>This Inner Loop Header: Depth=1
	buffer_load_dword v84, v82, s[0:3], 0 offen
	ds_read_b32 v85, v81
	v_add_u32_e32 v83, 1, v83
	v_cmp_lt_u32_e32 vcc, 3, v83
	v_add_u32_e32 v81, 4, v81
	v_add_u32_e32 v82, 4, v82
	s_or_b64 s[10:11], vcc, s[10:11]
	s_waitcnt vmcnt(0) lgkmcnt(0)
	v_fmac_f32_e32 v80, v84, v85
	s_andn2_b64 exec, exec, s[10:11]
	s_cbranch_execnz .LBB37_405
; %bb.406:
	s_or_b64 exec, exec, s[10:11]
.LBB37_407:
	s_or_b64 exec, exec, s[8:9]
	v_mov_b32_e32 v81, 0
	ds_read_b32 v81, v81 offset:20
	s_waitcnt lgkmcnt(0)
	v_mul_f32_e32 v80, v80, v81
	buffer_store_dword v80, off, s[0:3], 0 offset:20
.LBB37_408:
	;; [unrolled: 55-line block ×32, first 2 shown]
	s_or_b64 exec, exec, s[6:7]
	buffer_load_dword v80, off, s[0:3], 0 offset:144
	v_cmp_gt_u32_e64 s[6:7], 36, v0
	s_waitcnt vmcnt(0)
	ds_write_b32 v78, v80
	s_waitcnt lgkmcnt(0)
	; wave barrier
	s_and_saveexec_b64 s[8:9], s[6:7]
	s_cbranch_execz .LBB37_718
; %bb.709:
	s_and_b64 vcc, exec, s[4:5]
	s_cbranch_vccnz .LBB37_711
; %bb.710:
	buffer_load_dword v80, v79, s[0:3], 0 offen
	ds_read_b32 v81, v78
	s_waitcnt vmcnt(0) lgkmcnt(0)
	v_mul_f32_e32 v80, v80, v81
	s_cbranch_execz .LBB37_712
	s_branch .LBB37_713
.LBB37_711:
                                        ; implicit-def: $vgpr80
.LBB37_712:
	ds_read_b32 v80, v78
.LBB37_713:
	v_cmp_ne_u32_e32 vcc, 35, v0
	s_and_saveexec_b64 s[10:11], vcc
	s_cbranch_execz .LBB37_717
; %bb.714:
	s_mov_b32 s12, 0
	v_add_u32_e32 v81, 0xa4, v77
	v_add3_u32 v82, v77, s12, 4
	s_mov_b64 s[12:13], 0
	v_mov_b32_e32 v83, v0
.LBB37_715:                             ; =>This Inner Loop Header: Depth=1
	buffer_load_dword v84, v82, s[0:3], 0 offen
	ds_read_b32 v85, v81
	v_add_u32_e32 v83, 1, v83
	v_cmp_lt_u32_e32 vcc, 34, v83
	v_add_u32_e32 v81, 4, v81
	v_add_u32_e32 v82, 4, v82
	s_or_b64 s[12:13], vcc, s[12:13]
	s_waitcnt vmcnt(0) lgkmcnt(0)
	v_fmac_f32_e32 v80, v84, v85
	s_andn2_b64 exec, exec, s[12:13]
	s_cbranch_execnz .LBB37_715
; %bb.716:
	s_or_b64 exec, exec, s[12:13]
.LBB37_717:
	s_or_b64 exec, exec, s[10:11]
	v_mov_b32_e32 v81, 0
	ds_read_b32 v81, v81 offset:144
	s_waitcnt lgkmcnt(0)
	v_mul_f32_e32 v80, v80, v81
	buffer_store_dword v80, off, s[0:3], 0 offset:144
.LBB37_718:
	s_or_b64 exec, exec, s[8:9]
	buffer_load_dword v80, off, s[0:3], 0 offset:148
	v_cmp_ne_u32_e32 vcc, 37, v0
	s_waitcnt vmcnt(0)
	ds_write_b32 v78, v80
	s_waitcnt lgkmcnt(0)
	; wave barrier
	s_and_saveexec_b64 s[8:9], vcc
	s_cbranch_execz .LBB37_728
; %bb.719:
	s_and_b64 vcc, exec, s[4:5]
	s_cbranch_vccnz .LBB37_721
; %bb.720:
	buffer_load_dword v79, v79, s[0:3], 0 offen
	ds_read_b32 v80, v78
	s_waitcnt vmcnt(0) lgkmcnt(0)
	v_mul_f32_e32 v79, v79, v80
	s_cbranch_execz .LBB37_722
	s_branch .LBB37_723
.LBB37_721:
                                        ; implicit-def: $vgpr79
.LBB37_722:
	ds_read_b32 v79, v78
.LBB37_723:
	s_and_saveexec_b64 s[4:5], s[6:7]
	s_cbranch_execz .LBB37_727
; %bb.724:
	s_mov_b32 s6, 0
	v_add_u32_e32 v78, 0xa4, v77
	v_add3_u32 v77, v77, s6, 4
	s_mov_b64 s[6:7], 0
.LBB37_725:                             ; =>This Inner Loop Header: Depth=1
	buffer_load_dword v80, v77, s[0:3], 0 offen
	ds_read_b32 v81, v78
	v_add_u32_e32 v0, 1, v0
	v_cmp_lt_u32_e32 vcc, 35, v0
	v_add_u32_e32 v78, 4, v78
	v_add_u32_e32 v77, 4, v77
	s_or_b64 s[6:7], vcc, s[6:7]
	s_waitcnt vmcnt(0) lgkmcnt(0)
	v_fmac_f32_e32 v79, v80, v81
	s_andn2_b64 exec, exec, s[6:7]
	s_cbranch_execnz .LBB37_725
; %bb.726:
	s_or_b64 exec, exec, s[6:7]
.LBB37_727:
	s_or_b64 exec, exec, s[4:5]
	v_mov_b32_e32 v0, 0
	ds_read_b32 v0, v0 offset:148
	s_waitcnt lgkmcnt(0)
	v_mul_f32_e32 v0, v79, v0
	buffer_store_dword v0, off, s[0:3], 0 offset:148
.LBB37_728:
	s_or_b64 exec, exec, s[8:9]
.LBB37_729:
	buffer_load_dword v0, off, s[0:3], 0
	buffer_load_dword v77, off, s[0:3], 0 offset:4
	buffer_load_dword v78, off, s[0:3], 0 offset:8
	;; [unrolled: 1-line block ×37, first 2 shown]
	s_waitcnt vmcnt(37)
	global_store_dword v[1:2], v0, off
	s_waitcnt vmcnt(37)
	global_store_dword v[3:4], v77, off
	;; [unrolled: 2-line block ×38, first 2 shown]
.LBB37_730:
	s_endpgm
	.section	.rodata,"a",@progbits
	.p2align	6, 0x0
	.amdhsa_kernel _ZN9rocsolver6v33100L18trti2_kernel_smallILi38EfPfEEv13rocblas_fill_17rocblas_diagonal_T1_iil
		.amdhsa_group_segment_fixed_size 312
		.amdhsa_private_segment_fixed_size 160
		.amdhsa_kernarg_size 32
		.amdhsa_user_sgpr_count 6
		.amdhsa_user_sgpr_private_segment_buffer 1
		.amdhsa_user_sgpr_dispatch_ptr 0
		.amdhsa_user_sgpr_queue_ptr 0
		.amdhsa_user_sgpr_kernarg_segment_ptr 1
		.amdhsa_user_sgpr_dispatch_id 0
		.amdhsa_user_sgpr_flat_scratch_init 0
		.amdhsa_user_sgpr_private_segment_size 0
		.amdhsa_uses_dynamic_stack 0
		.amdhsa_system_sgpr_private_segment_wavefront_offset 1
		.amdhsa_system_sgpr_workgroup_id_x 1
		.amdhsa_system_sgpr_workgroup_id_y 0
		.amdhsa_system_sgpr_workgroup_id_z 0
		.amdhsa_system_sgpr_workgroup_info 0
		.amdhsa_system_vgpr_workitem_id 0
		.amdhsa_next_free_vgpr 116
		.amdhsa_next_free_sgpr 51
		.amdhsa_reserve_vcc 1
		.amdhsa_reserve_flat_scratch 0
		.amdhsa_float_round_mode_32 0
		.amdhsa_float_round_mode_16_64 0
		.amdhsa_float_denorm_mode_32 3
		.amdhsa_float_denorm_mode_16_64 3
		.amdhsa_dx10_clamp 1
		.amdhsa_ieee_mode 1
		.amdhsa_fp16_overflow 0
		.amdhsa_exception_fp_ieee_invalid_op 0
		.amdhsa_exception_fp_denorm_src 0
		.amdhsa_exception_fp_ieee_div_zero 0
		.amdhsa_exception_fp_ieee_overflow 0
		.amdhsa_exception_fp_ieee_underflow 0
		.amdhsa_exception_fp_ieee_inexact 0
		.amdhsa_exception_int_div_zero 0
	.end_amdhsa_kernel
	.section	.text._ZN9rocsolver6v33100L18trti2_kernel_smallILi38EfPfEEv13rocblas_fill_17rocblas_diagonal_T1_iil,"axG",@progbits,_ZN9rocsolver6v33100L18trti2_kernel_smallILi38EfPfEEv13rocblas_fill_17rocblas_diagonal_T1_iil,comdat
.Lfunc_end37:
	.size	_ZN9rocsolver6v33100L18trti2_kernel_smallILi38EfPfEEv13rocblas_fill_17rocblas_diagonal_T1_iil, .Lfunc_end37-_ZN9rocsolver6v33100L18trti2_kernel_smallILi38EfPfEEv13rocblas_fill_17rocblas_diagonal_T1_iil
                                        ; -- End function
	.set _ZN9rocsolver6v33100L18trti2_kernel_smallILi38EfPfEEv13rocblas_fill_17rocblas_diagonal_T1_iil.num_vgpr, 116
	.set _ZN9rocsolver6v33100L18trti2_kernel_smallILi38EfPfEEv13rocblas_fill_17rocblas_diagonal_T1_iil.num_agpr, 0
	.set _ZN9rocsolver6v33100L18trti2_kernel_smallILi38EfPfEEv13rocblas_fill_17rocblas_diagonal_T1_iil.numbered_sgpr, 51
	.set _ZN9rocsolver6v33100L18trti2_kernel_smallILi38EfPfEEv13rocblas_fill_17rocblas_diagonal_T1_iil.num_named_barrier, 0
	.set _ZN9rocsolver6v33100L18trti2_kernel_smallILi38EfPfEEv13rocblas_fill_17rocblas_diagonal_T1_iil.private_seg_size, 160
	.set _ZN9rocsolver6v33100L18trti2_kernel_smallILi38EfPfEEv13rocblas_fill_17rocblas_diagonal_T1_iil.uses_vcc, 1
	.set _ZN9rocsolver6v33100L18trti2_kernel_smallILi38EfPfEEv13rocblas_fill_17rocblas_diagonal_T1_iil.uses_flat_scratch, 0
	.set _ZN9rocsolver6v33100L18trti2_kernel_smallILi38EfPfEEv13rocblas_fill_17rocblas_diagonal_T1_iil.has_dyn_sized_stack, 0
	.set _ZN9rocsolver6v33100L18trti2_kernel_smallILi38EfPfEEv13rocblas_fill_17rocblas_diagonal_T1_iil.has_recursion, 0
	.set _ZN9rocsolver6v33100L18trti2_kernel_smallILi38EfPfEEv13rocblas_fill_17rocblas_diagonal_T1_iil.has_indirect_call, 0
	.section	.AMDGPU.csdata,"",@progbits
; Kernel info:
; codeLenInByte = 18344
; TotalNumSgprs: 55
; NumVgprs: 116
; ScratchSize: 160
; MemoryBound: 0
; FloatMode: 240
; IeeeMode: 1
; LDSByteSize: 312 bytes/workgroup (compile time only)
; SGPRBlocks: 6
; VGPRBlocks: 28
; NumSGPRsForWavesPerEU: 55
; NumVGPRsForWavesPerEU: 116
; Occupancy: 2
; WaveLimiterHint : 0
; COMPUTE_PGM_RSRC2:SCRATCH_EN: 1
; COMPUTE_PGM_RSRC2:USER_SGPR: 6
; COMPUTE_PGM_RSRC2:TRAP_HANDLER: 0
; COMPUTE_PGM_RSRC2:TGID_X_EN: 1
; COMPUTE_PGM_RSRC2:TGID_Y_EN: 0
; COMPUTE_PGM_RSRC2:TGID_Z_EN: 0
; COMPUTE_PGM_RSRC2:TIDIG_COMP_CNT: 0
	.section	.text._ZN9rocsolver6v33100L18trti2_kernel_smallILi39EfPfEEv13rocblas_fill_17rocblas_diagonal_T1_iil,"axG",@progbits,_ZN9rocsolver6v33100L18trti2_kernel_smallILi39EfPfEEv13rocblas_fill_17rocblas_diagonal_T1_iil,comdat
	.globl	_ZN9rocsolver6v33100L18trti2_kernel_smallILi39EfPfEEv13rocblas_fill_17rocblas_diagonal_T1_iil ; -- Begin function _ZN9rocsolver6v33100L18trti2_kernel_smallILi39EfPfEEv13rocblas_fill_17rocblas_diagonal_T1_iil
	.p2align	8
	.type	_ZN9rocsolver6v33100L18trti2_kernel_smallILi39EfPfEEv13rocblas_fill_17rocblas_diagonal_T1_iil,@function
_ZN9rocsolver6v33100L18trti2_kernel_smallILi39EfPfEEv13rocblas_fill_17rocblas_diagonal_T1_iil: ; @_ZN9rocsolver6v33100L18trti2_kernel_smallILi39EfPfEEv13rocblas_fill_17rocblas_diagonal_T1_iil
; %bb.0:
	s_add_u32 s0, s0, s7
	s_addc_u32 s1, s1, 0
	v_cmp_gt_u32_e32 vcc, 39, v0
	s_and_saveexec_b64 s[8:9], vcc
	s_cbranch_execz .LBB38_750
; %bb.1:
	s_load_dwordx8 s[8:15], s[4:5], 0x0
	s_ashr_i32 s7, s6, 31
	v_lshlrev_b32_e32 v79, 2, v0
	s_waitcnt lgkmcnt(0)
	s_ashr_i32 s5, s12, 31
	s_mov_b32 s4, s12
	s_mul_hi_u32 s12, s14, s6
	s_mul_i32 s7, s14, s7
	s_add_i32 s7, s12, s7
	s_mul_i32 s12, s15, s6
	s_add_i32 s7, s7, s12
	s_mul_i32 s6, s14, s6
	s_lshl_b64 s[6:7], s[6:7], 2
	s_add_u32 s6, s10, s6
	s_addc_u32 s7, s11, s7
	s_lshl_b64 s[4:5], s[4:5], 2
	s_add_u32 s4, s6, s4
	s_addc_u32 s5, s7, s5
	v_mov_b32_e32 v2, s5
	v_add_co_u32_e32 v1, vcc, s4, v79
	s_ashr_i32 s7, s13, 31
	s_mov_b32 s6, s13
	v_addc_co_u32_e32 v2, vcc, 0, v2, vcc
	s_lshl_b64 s[6:7], s[6:7], 2
	v_add_co_u32_e32 v3, vcc, s6, v1
	s_add_i32 s6, s13, s13
	v_add_u32_e32 v7, s6, v0
	v_ashrrev_i32_e32 v8, 31, v7
	v_mov_b32_e32 v4, s7
	v_lshlrev_b64 v[5:6], 2, v[7:8]
	v_addc_co_u32_e32 v4, vcc, v2, v4, vcc
	v_add_u32_e32 v9, s13, v7
	v_mov_b32_e32 v8, s5
	v_add_co_u32_e32 v5, vcc, s4, v5
	v_ashrrev_i32_e32 v10, 31, v9
	v_addc_co_u32_e32 v6, vcc, v8, v6, vcc
	v_lshlrev_b64 v[7:8], 2, v[9:10]
	v_add_u32_e32 v11, s13, v9
	v_mov_b32_e32 v10, s5
	v_add_co_u32_e32 v7, vcc, s4, v7
	v_ashrrev_i32_e32 v12, 31, v11
	v_addc_co_u32_e32 v8, vcc, v10, v8, vcc
	v_lshlrev_b64 v[9:10], 2, v[11:12]
	;; [unrolled: 6-line block ×35, first 2 shown]
	v_mov_b32_e32 v78, s5
	v_add_co_u32_e32 v75, vcc, s4, v75
	v_add_u32_e32 v77, s13, v77
	v_addc_co_u32_e32 v76, vcc, v78, v76, vcc
	v_ashrrev_i32_e32 v78, 31, v77
	v_lshlrev_b64 v[77:78], 2, v[77:78]
	global_load_dword v80, v79, s[4:5]
	global_load_dword v81, v[3:4], off
	global_load_dword v82, v[5:6], off
	;; [unrolled: 1-line block ×32, first 2 shown]
	v_mov_b32_e32 v113, s5
	v_add_co_u32_e32 v77, vcc, s4, v77
	v_addc_co_u32_e32 v78, vcc, v113, v78, vcc
	global_load_dword v113, v[67:68], off
	global_load_dword v114, v[69:70], off
	;; [unrolled: 1-line block ×6, first 2 shown]
	s_cmpk_lg_i32 s9, 0x84
	s_waitcnt vmcnt(38)
	buffer_store_dword v80, off, s[0:3], 0
	s_waitcnt vmcnt(38)
	buffer_store_dword v81, off, s[0:3], 0 offset:4
	s_waitcnt vmcnt(38)
	buffer_store_dword v82, off, s[0:3], 0 offset:8
	;; [unrolled: 2-line block ×32, first 2 shown]
	s_movk_i32 s12, 0x84
	s_cselect_b64 s[10:11], -1, 0
	s_cmpk_eq_i32 s9, 0x84
	v_mov_b32_e32 v80, -1.0
	s_waitcnt vmcnt(38)
	buffer_store_dword v113, off, s[0:3], 0 offset:132
	s_waitcnt vmcnt(38)
	buffer_store_dword v114, off, s[0:3], 0 offset:136
	;; [unrolled: 2-line block ×6, first 2 shown]
	s_cbranch_scc1 .LBB38_3
; %bb.2:
	v_mov_b32_e32 v80, 0
	v_lshl_add_u32 v80, v0, 2, v80
	buffer_load_dword v81, v80, s[0:3], 0 offen
	s_waitcnt vmcnt(0)
	v_div_scale_f32 v82, s[4:5], v81, v81, 1.0
	v_div_scale_f32 v83, vcc, 1.0, v81, 1.0
	v_rcp_f32_e32 v84, v82
	v_fma_f32 v85, -v82, v84, 1.0
	v_fmac_f32_e32 v84, v85, v84
	v_mul_f32_e32 v85, v83, v84
	v_fma_f32 v86, -v82, v85, v83
	v_fmac_f32_e32 v85, v86, v84
	v_fma_f32 v82, -v82, v85, v83
	v_div_fmas_f32 v82, v82, v84, v85
	v_div_fixup_f32 v81, v82, v81, 1.0
	buffer_store_dword v81, v80, s[0:3], 0 offen
	v_xor_b32_e32 v80, 0x80000000, v81
.LBB38_3:
	ds_write_b32 v79, v80
	s_cmpk_eq_i32 s8, 0x79
	v_add_u32_e32 v80, 0xa0, v79
	v_mov_b32_e32 v81, v79
	s_mov_b64 s[4:5], -1
	s_cbranch_scc1 .LBB38_377
; %bb.4:
	buffer_load_dword v82, off, s[0:3], 0 offset:148
	s_movk_i32 s30, 0x44
	s_movk_i32 s31, 0x48
	;; [unrolled: 1-line block ×19, first 2 shown]
	v_cmp_eq_u32_e64 s[4:5], 38, v0
	s_waitcnt vmcnt(0)
	ds_write_b32 v80, v82
	s_waitcnt lgkmcnt(0)
	; wave barrier
	s_and_saveexec_b64 s[6:7], s[4:5]
	s_cbranch_execz .LBB38_10
; %bb.5:
	s_and_b64 vcc, exec, s[10:11]
	s_cbranch_vccz .LBB38_7
; %bb.6:
	buffer_load_dword v82, v81, s[0:3], 0 offen
	ds_read_b32 v83, v80
	s_waitcnt vmcnt(0) lgkmcnt(0)
	v_mul_f32_e32 v82, v82, v83
	s_cbranch_execz .LBB38_8
	s_branch .LBB38_9
.LBB38_7:
                                        ; implicit-def: $vgpr82
.LBB38_8:
	ds_read_b32 v82, v80
.LBB38_9:
	v_mov_b32_e32 v83, 0
	ds_read_b32 v83, v83 offset:148
	s_waitcnt lgkmcnt(0)
	v_mul_f32_e32 v82, v82, v83
	buffer_store_dword v82, off, s[0:3], 0 offset:148
.LBB38_10:
	s_or_b64 exec, exec, s[6:7]
	buffer_load_dword v82, off, s[0:3], 0 offset:144
	s_or_b32 s14, 0, 4
	s_or_b32 s15, 0, 8
	;; [unrolled: 1-line block ×3, first 2 shown]
	s_mov_b32 s17, 16
	s_mov_b32 s18, 20
	;; [unrolled: 1-line block ×15, first 2 shown]
	v_cmp_lt_u32_e64 s[6:7], 36, v0
	s_waitcnt vmcnt(0)
	ds_write_b32 v80, v82
	s_waitcnt lgkmcnt(0)
	; wave barrier
	s_and_saveexec_b64 s[8:9], s[6:7]
	s_cbranch_execz .LBB38_16
; %bb.11:
	s_andn2_b64 vcc, exec, s[10:11]
	s_cbranch_vccnz .LBB38_13
; %bb.12:
	buffer_load_dword v82, v81, s[0:3], 0 offen
	ds_read_b32 v83, v80
	s_waitcnt vmcnt(0) lgkmcnt(0)
	v_mul_f32_e32 v82, v82, v83
	s_cbranch_execz .LBB38_14
	s_branch .LBB38_15
.LBB38_13:
                                        ; implicit-def: $vgpr82
.LBB38_14:
	ds_read_b32 v82, v80
.LBB38_15:
	buffer_load_dword v85, off, s[0:3], 0 offset:148
	v_mov_b32_e32 v83, 0
	ds_read2_b32 v[83:84], v83 offset0:36 offset1:77
	s_waitcnt vmcnt(0) lgkmcnt(0)
	v_fma_f32 v84, v85, v84, v82
	v_cndmask_b32_e64 v82, v82, v84, s[4:5]
	v_mul_f32_e32 v82, v82, v83
	buffer_store_dword v82, off, s[0:3], 0 offset:144
.LBB38_16:
	s_or_b64 exec, exec, s[8:9]
	buffer_load_dword v82, off, s[0:3], 0 offset:140
	v_cmp_lt_u32_e64 s[4:5], 35, v0
	s_waitcnt vmcnt(0)
	ds_write_b32 v80, v82
	s_waitcnt lgkmcnt(0)
	; wave barrier
	s_and_saveexec_b64 s[8:9], s[4:5]
	s_cbranch_execz .LBB38_26
; %bb.17:
	s_andn2_b64 vcc, exec, s[10:11]
	s_cbranch_vccnz .LBB38_19
; %bb.18:
	buffer_load_dword v82, v81, s[0:3], 0 offen
	ds_read_b32 v83, v80
	s_waitcnt vmcnt(0) lgkmcnt(0)
	v_mul_f32_e32 v82, v82, v83
	s_cbranch_execz .LBB38_20
	s_branch .LBB38_21
.LBB38_19:
                                        ; implicit-def: $vgpr82
.LBB38_20:
	ds_read_b32 v82, v80
.LBB38_21:
	s_and_saveexec_b64 s[12:13], s[6:7]
	s_cbranch_execz .LBB38_25
; %bb.22:
	v_subrev_u32_e32 v83, 36, v0
	s_movk_i32 s51, 0x130
	s_mov_b64 s[6:7], 0
.LBB38_23:                              ; =>This Inner Loop Header: Depth=1
	v_mov_b32_e32 v84, s50
	buffer_load_dword v84, v84, s[0:3], 0 offen
	v_mov_b32_e32 v85, s51
	ds_read_b32 v85, v85
	v_add_u32_e32 v83, -1, v83
	s_add_i32 s51, s51, 4
	s_add_i32 s50, s50, 4
	v_cmp_eq_u32_e32 vcc, 0, v83
	s_or_b64 s[6:7], vcc, s[6:7]
	s_waitcnt vmcnt(0) lgkmcnt(0)
	v_fmac_f32_e32 v82, v84, v85
	s_andn2_b64 exec, exec, s[6:7]
	s_cbranch_execnz .LBB38_23
; %bb.24:
	s_or_b64 exec, exec, s[6:7]
.LBB38_25:
	s_or_b64 exec, exec, s[12:13]
	v_mov_b32_e32 v83, 0
	ds_read_b32 v83, v83 offset:140
	s_waitcnt lgkmcnt(0)
	v_mul_f32_e32 v82, v82, v83
	buffer_store_dword v82, off, s[0:3], 0 offset:140
.LBB38_26:
	s_or_b64 exec, exec, s[8:9]
	buffer_load_dword v82, off, s[0:3], 0 offset:136
	v_cmp_lt_u32_e64 s[6:7], 34, v0
	s_waitcnt vmcnt(0)
	ds_write_b32 v80, v82
	s_waitcnt lgkmcnt(0)
	; wave barrier
	s_and_saveexec_b64 s[8:9], s[6:7]
	s_cbranch_execz .LBB38_36
; %bb.27:
	s_andn2_b64 vcc, exec, s[10:11]
	s_cbranch_vccnz .LBB38_29
; %bb.28:
	buffer_load_dword v82, v81, s[0:3], 0 offen
	ds_read_b32 v83, v80
	s_waitcnt vmcnt(0) lgkmcnt(0)
	v_mul_f32_e32 v82, v82, v83
	s_cbranch_execz .LBB38_30
	s_branch .LBB38_31
.LBB38_29:
                                        ; implicit-def: $vgpr82
.LBB38_30:
	ds_read_b32 v82, v80
.LBB38_31:
	s_and_saveexec_b64 s[12:13], s[4:5]
	s_cbranch_execz .LBB38_35
; %bb.32:
	v_subrev_u32_e32 v83, 35, v0
	s_movk_i32 s50, 0x12c
	s_mov_b64 s[4:5], 0
.LBB38_33:                              ; =>This Inner Loop Header: Depth=1
	v_mov_b32_e32 v84, s49
	buffer_load_dword v84, v84, s[0:3], 0 offen
	v_mov_b32_e32 v85, s50
	ds_read_b32 v85, v85
	v_add_u32_e32 v83, -1, v83
	s_add_i32 s50, s50, 4
	s_add_i32 s49, s49, 4
	v_cmp_eq_u32_e32 vcc, 0, v83
	s_or_b64 s[4:5], vcc, s[4:5]
	s_waitcnt vmcnt(0) lgkmcnt(0)
	v_fmac_f32_e32 v82, v84, v85
	s_andn2_b64 exec, exec, s[4:5]
	s_cbranch_execnz .LBB38_33
; %bb.34:
	s_or_b64 exec, exec, s[4:5]
.LBB38_35:
	s_or_b64 exec, exec, s[12:13]
	v_mov_b32_e32 v83, 0
	ds_read_b32 v83, v83 offset:136
	s_waitcnt lgkmcnt(0)
	v_mul_f32_e32 v82, v82, v83
	buffer_store_dword v82, off, s[0:3], 0 offset:136
.LBB38_36:
	;; [unrolled: 54-line block ×8, first 2 shown]
	s_or_b64 exec, exec, s[8:9]
	buffer_load_dword v82, off, s[0:3], 0 offset:108
	v_cmp_lt_u32_e64 s[4:5], 27, v0
	s_waitcnt vmcnt(0)
	ds_write_b32 v80, v82
	s_waitcnt lgkmcnt(0)
	; wave barrier
	s_and_saveexec_b64 s[8:9], s[4:5]
	s_cbranch_execz .LBB38_106
; %bb.97:
	s_andn2_b64 vcc, exec, s[10:11]
	s_cbranch_vccnz .LBB38_99
; %bb.98:
	buffer_load_dword v82, v81, s[0:3], 0 offen
	ds_read_b32 v83, v80
	s_waitcnt vmcnt(0) lgkmcnt(0)
	v_mul_f32_e32 v82, v82, v83
	s_cbranch_execz .LBB38_100
	s_branch .LBB38_101
.LBB38_99:
                                        ; implicit-def: $vgpr82
.LBB38_100:
	ds_read_b32 v82, v80
.LBB38_101:
	s_and_saveexec_b64 s[12:13], s[6:7]
	s_cbranch_execz .LBB38_105
; %bb.102:
	v_subrev_u32_e32 v83, 28, v0
	s_movk_i32 s43, 0x110
	s_mov_b64 s[6:7], 0
.LBB38_103:                             ; =>This Inner Loop Header: Depth=1
	v_mov_b32_e32 v84, s42
	buffer_load_dword v84, v84, s[0:3], 0 offen
	v_mov_b32_e32 v85, s43
	ds_read_b32 v85, v85
	v_add_u32_e32 v83, -1, v83
	s_add_i32 s43, s43, 4
	s_add_i32 s42, s42, 4
	v_cmp_eq_u32_e32 vcc, 0, v83
	s_or_b64 s[6:7], vcc, s[6:7]
	s_waitcnt vmcnt(0) lgkmcnt(0)
	v_fmac_f32_e32 v82, v84, v85
	s_andn2_b64 exec, exec, s[6:7]
	s_cbranch_execnz .LBB38_103
; %bb.104:
	s_or_b64 exec, exec, s[6:7]
.LBB38_105:
	s_or_b64 exec, exec, s[12:13]
	v_mov_b32_e32 v83, 0
	ds_read_b32 v83, v83 offset:108
	s_waitcnt lgkmcnt(0)
	v_mul_f32_e32 v82, v82, v83
	buffer_store_dword v82, off, s[0:3], 0 offset:108
.LBB38_106:
	s_or_b64 exec, exec, s[8:9]
	buffer_load_dword v82, off, s[0:3], 0 offset:104
	v_cmp_lt_u32_e64 s[6:7], 26, v0
	s_waitcnt vmcnt(0)
	ds_write_b32 v80, v82
	s_waitcnt lgkmcnt(0)
	; wave barrier
	s_and_saveexec_b64 s[8:9], s[6:7]
	s_cbranch_execz .LBB38_116
; %bb.107:
	s_andn2_b64 vcc, exec, s[10:11]
	s_cbranch_vccnz .LBB38_109
; %bb.108:
	buffer_load_dword v82, v81, s[0:3], 0 offen
	ds_read_b32 v83, v80
	s_waitcnt vmcnt(0) lgkmcnt(0)
	v_mul_f32_e32 v82, v82, v83
	s_cbranch_execz .LBB38_110
	s_branch .LBB38_111
.LBB38_109:
                                        ; implicit-def: $vgpr82
.LBB38_110:
	ds_read_b32 v82, v80
.LBB38_111:
	s_and_saveexec_b64 s[12:13], s[4:5]
	s_cbranch_execz .LBB38_115
; %bb.112:
	v_subrev_u32_e32 v83, 27, v0
	s_movk_i32 s42, 0x10c
	s_mov_b64 s[4:5], 0
.LBB38_113:                             ; =>This Inner Loop Header: Depth=1
	v_mov_b32_e32 v84, s41
	buffer_load_dword v84, v84, s[0:3], 0 offen
	v_mov_b32_e32 v85, s42
	ds_read_b32 v85, v85
	v_add_u32_e32 v83, -1, v83
	s_add_i32 s42, s42, 4
	s_add_i32 s41, s41, 4
	v_cmp_eq_u32_e32 vcc, 0, v83
	s_or_b64 s[4:5], vcc, s[4:5]
	s_waitcnt vmcnt(0) lgkmcnt(0)
	v_fmac_f32_e32 v82, v84, v85
	s_andn2_b64 exec, exec, s[4:5]
	s_cbranch_execnz .LBB38_113
; %bb.114:
	s_or_b64 exec, exec, s[4:5]
.LBB38_115:
	s_or_b64 exec, exec, s[12:13]
	v_mov_b32_e32 v83, 0
	ds_read_b32 v83, v83 offset:104
	s_waitcnt lgkmcnt(0)
	v_mul_f32_e32 v82, v82, v83
	buffer_store_dword v82, off, s[0:3], 0 offset:104
.LBB38_116:
	s_or_b64 exec, exec, s[8:9]
	buffer_load_dword v82, off, s[0:3], 0 offset:100
	v_cmp_lt_u32_e64 s[4:5], 25, v0
	s_waitcnt vmcnt(0)
	ds_write_b32 v80, v82
	s_waitcnt lgkmcnt(0)
	; wave barrier
	s_and_saveexec_b64 s[8:9], s[4:5]
	s_cbranch_execz .LBB38_126
; %bb.117:
	s_andn2_b64 vcc, exec, s[10:11]
	s_cbranch_vccnz .LBB38_119
; %bb.118:
	buffer_load_dword v82, v81, s[0:3], 0 offen
	ds_read_b32 v83, v80
	s_waitcnt vmcnt(0) lgkmcnt(0)
	v_mul_f32_e32 v82, v82, v83
	s_cbranch_execz .LBB38_120
	s_branch .LBB38_121
.LBB38_119:
                                        ; implicit-def: $vgpr82
.LBB38_120:
	ds_read_b32 v82, v80
.LBB38_121:
	s_and_saveexec_b64 s[12:13], s[6:7]
	s_cbranch_execz .LBB38_125
; %bb.122:
	v_subrev_u32_e32 v83, 26, v0
	s_movk_i32 s41, 0x108
	s_mov_b64 s[6:7], 0
.LBB38_123:                             ; =>This Inner Loop Header: Depth=1
	v_mov_b32_e32 v84, s40
	buffer_load_dword v84, v84, s[0:3], 0 offen
	v_mov_b32_e32 v85, s41
	ds_read_b32 v85, v85
	v_add_u32_e32 v83, -1, v83
	s_add_i32 s41, s41, 4
	s_add_i32 s40, s40, 4
	v_cmp_eq_u32_e32 vcc, 0, v83
	s_or_b64 s[6:7], vcc, s[6:7]
	s_waitcnt vmcnt(0) lgkmcnt(0)
	v_fmac_f32_e32 v82, v84, v85
	s_andn2_b64 exec, exec, s[6:7]
	s_cbranch_execnz .LBB38_123
; %bb.124:
	s_or_b64 exec, exec, s[6:7]
.LBB38_125:
	s_or_b64 exec, exec, s[12:13]
	v_mov_b32_e32 v83, 0
	ds_read_b32 v83, v83 offset:100
	s_waitcnt lgkmcnt(0)
	v_mul_f32_e32 v82, v82, v83
	buffer_store_dword v82, off, s[0:3], 0 offset:100
.LBB38_126:
	s_or_b64 exec, exec, s[8:9]
	buffer_load_dword v82, off, s[0:3], 0 offset:96
	v_cmp_lt_u32_e64 s[6:7], 24, v0
	s_waitcnt vmcnt(0)
	ds_write_b32 v80, v82
	s_waitcnt lgkmcnt(0)
	; wave barrier
	s_and_saveexec_b64 s[8:9], s[6:7]
	s_cbranch_execz .LBB38_136
; %bb.127:
	s_andn2_b64 vcc, exec, s[10:11]
	s_cbranch_vccnz .LBB38_129
; %bb.128:
	buffer_load_dword v82, v81, s[0:3], 0 offen
	ds_read_b32 v83, v80
	s_waitcnt vmcnt(0) lgkmcnt(0)
	v_mul_f32_e32 v82, v82, v83
	s_cbranch_execz .LBB38_130
	s_branch .LBB38_131
.LBB38_129:
                                        ; implicit-def: $vgpr82
.LBB38_130:
	ds_read_b32 v82, v80
.LBB38_131:
	s_and_saveexec_b64 s[12:13], s[4:5]
	s_cbranch_execz .LBB38_135
; %bb.132:
	v_subrev_u32_e32 v83, 25, v0
	s_movk_i32 s40, 0x104
	s_mov_b64 s[4:5], 0
.LBB38_133:                             ; =>This Inner Loop Header: Depth=1
	v_mov_b32_e32 v84, s39
	buffer_load_dword v84, v84, s[0:3], 0 offen
	v_mov_b32_e32 v85, s40
	ds_read_b32 v85, v85
	v_add_u32_e32 v83, -1, v83
	s_add_i32 s40, s40, 4
	s_add_i32 s39, s39, 4
	v_cmp_eq_u32_e32 vcc, 0, v83
	s_or_b64 s[4:5], vcc, s[4:5]
	s_waitcnt vmcnt(0) lgkmcnt(0)
	v_fmac_f32_e32 v82, v84, v85
	s_andn2_b64 exec, exec, s[4:5]
	s_cbranch_execnz .LBB38_133
; %bb.134:
	s_or_b64 exec, exec, s[4:5]
.LBB38_135:
	s_or_b64 exec, exec, s[12:13]
	v_mov_b32_e32 v83, 0
	ds_read_b32 v83, v83 offset:96
	s_waitcnt lgkmcnt(0)
	v_mul_f32_e32 v82, v82, v83
	buffer_store_dword v82, off, s[0:3], 0 offset:96
.LBB38_136:
	s_or_b64 exec, exec, s[8:9]
	buffer_load_dword v82, off, s[0:3], 0 offset:92
	v_cmp_lt_u32_e64 s[4:5], 23, v0
	s_waitcnt vmcnt(0)
	ds_write_b32 v80, v82
	s_waitcnt lgkmcnt(0)
	; wave barrier
	s_and_saveexec_b64 s[8:9], s[4:5]
	s_cbranch_execz .LBB38_146
; %bb.137:
	s_andn2_b64 vcc, exec, s[10:11]
	s_cbranch_vccnz .LBB38_139
; %bb.138:
	buffer_load_dword v82, v81, s[0:3], 0 offen
	ds_read_b32 v83, v80
	s_waitcnt vmcnt(0) lgkmcnt(0)
	v_mul_f32_e32 v82, v82, v83
	s_cbranch_execz .LBB38_140
	s_branch .LBB38_141
.LBB38_139:
                                        ; implicit-def: $vgpr82
.LBB38_140:
	ds_read_b32 v82, v80
.LBB38_141:
	s_and_saveexec_b64 s[12:13], s[6:7]
	s_cbranch_execz .LBB38_145
; %bb.142:
	v_subrev_u32_e32 v83, 24, v0
	s_movk_i32 s39, 0x100
	s_mov_b64 s[6:7], 0
.LBB38_143:                             ; =>This Inner Loop Header: Depth=1
	v_mov_b32_e32 v84, s38
	buffer_load_dword v84, v84, s[0:3], 0 offen
	v_mov_b32_e32 v85, s39
	ds_read_b32 v85, v85
	v_add_u32_e32 v83, -1, v83
	s_add_i32 s39, s39, 4
	s_add_i32 s38, s38, 4
	v_cmp_eq_u32_e32 vcc, 0, v83
	s_or_b64 s[6:7], vcc, s[6:7]
	s_waitcnt vmcnt(0) lgkmcnt(0)
	v_fmac_f32_e32 v82, v84, v85
	s_andn2_b64 exec, exec, s[6:7]
	s_cbranch_execnz .LBB38_143
; %bb.144:
	s_or_b64 exec, exec, s[6:7]
.LBB38_145:
	s_or_b64 exec, exec, s[12:13]
	v_mov_b32_e32 v83, 0
	ds_read_b32 v83, v83 offset:92
	s_waitcnt lgkmcnt(0)
	v_mul_f32_e32 v82, v82, v83
	buffer_store_dword v82, off, s[0:3], 0 offset:92
.LBB38_146:
	s_or_b64 exec, exec, s[8:9]
	buffer_load_dword v82, off, s[0:3], 0 offset:88
	v_cmp_lt_u32_e64 s[6:7], 22, v0
	s_waitcnt vmcnt(0)
	ds_write_b32 v80, v82
	s_waitcnt lgkmcnt(0)
	; wave barrier
	s_and_saveexec_b64 s[8:9], s[6:7]
	s_cbranch_execz .LBB38_156
; %bb.147:
	s_andn2_b64 vcc, exec, s[10:11]
	s_cbranch_vccnz .LBB38_149
; %bb.148:
	buffer_load_dword v82, v81, s[0:3], 0 offen
	ds_read_b32 v83, v80
	s_waitcnt vmcnt(0) lgkmcnt(0)
	v_mul_f32_e32 v82, v82, v83
	s_cbranch_execz .LBB38_150
	s_branch .LBB38_151
.LBB38_149:
                                        ; implicit-def: $vgpr82
.LBB38_150:
	ds_read_b32 v82, v80
.LBB38_151:
	s_and_saveexec_b64 s[12:13], s[4:5]
	s_cbranch_execz .LBB38_155
; %bb.152:
	v_subrev_u32_e32 v83, 23, v0
	s_movk_i32 s38, 0xfc
	s_mov_b64 s[4:5], 0
.LBB38_153:                             ; =>This Inner Loop Header: Depth=1
	v_mov_b32_e32 v84, s37
	buffer_load_dword v84, v84, s[0:3], 0 offen
	v_mov_b32_e32 v85, s38
	ds_read_b32 v85, v85
	v_add_u32_e32 v83, -1, v83
	s_add_i32 s38, s38, 4
	s_add_i32 s37, s37, 4
	v_cmp_eq_u32_e32 vcc, 0, v83
	s_or_b64 s[4:5], vcc, s[4:5]
	s_waitcnt vmcnt(0) lgkmcnt(0)
	v_fmac_f32_e32 v82, v84, v85
	s_andn2_b64 exec, exec, s[4:5]
	s_cbranch_execnz .LBB38_153
; %bb.154:
	s_or_b64 exec, exec, s[4:5]
.LBB38_155:
	s_or_b64 exec, exec, s[12:13]
	v_mov_b32_e32 v83, 0
	ds_read_b32 v83, v83 offset:88
	s_waitcnt lgkmcnt(0)
	v_mul_f32_e32 v82, v82, v83
	buffer_store_dword v82, off, s[0:3], 0 offset:88
.LBB38_156:
	s_or_b64 exec, exec, s[8:9]
	buffer_load_dword v82, off, s[0:3], 0 offset:84
	v_cmp_lt_u32_e64 s[4:5], 21, v0
	s_waitcnt vmcnt(0)
	ds_write_b32 v80, v82
	s_waitcnt lgkmcnt(0)
	; wave barrier
	s_and_saveexec_b64 s[8:9], s[4:5]
	s_cbranch_execz .LBB38_166
; %bb.157:
	s_andn2_b64 vcc, exec, s[10:11]
	s_cbranch_vccnz .LBB38_159
; %bb.158:
	buffer_load_dword v82, v81, s[0:3], 0 offen
	ds_read_b32 v83, v80
	s_waitcnt vmcnt(0) lgkmcnt(0)
	v_mul_f32_e32 v82, v82, v83
	s_cbranch_execz .LBB38_160
	s_branch .LBB38_161
.LBB38_159:
                                        ; implicit-def: $vgpr82
.LBB38_160:
	ds_read_b32 v82, v80
.LBB38_161:
	s_and_saveexec_b64 s[12:13], s[6:7]
	s_cbranch_execz .LBB38_165
; %bb.162:
	v_subrev_u32_e32 v83, 22, v0
	s_movk_i32 s37, 0xf8
	s_mov_b64 s[6:7], 0
.LBB38_163:                             ; =>This Inner Loop Header: Depth=1
	v_mov_b32_e32 v84, s36
	buffer_load_dword v84, v84, s[0:3], 0 offen
	v_mov_b32_e32 v85, s37
	ds_read_b32 v85, v85
	v_add_u32_e32 v83, -1, v83
	s_add_i32 s37, s37, 4
	s_add_i32 s36, s36, 4
	v_cmp_eq_u32_e32 vcc, 0, v83
	s_or_b64 s[6:7], vcc, s[6:7]
	s_waitcnt vmcnt(0) lgkmcnt(0)
	v_fmac_f32_e32 v82, v84, v85
	s_andn2_b64 exec, exec, s[6:7]
	s_cbranch_execnz .LBB38_163
; %bb.164:
	s_or_b64 exec, exec, s[6:7]
.LBB38_165:
	s_or_b64 exec, exec, s[12:13]
	v_mov_b32_e32 v83, 0
	ds_read_b32 v83, v83 offset:84
	s_waitcnt lgkmcnt(0)
	v_mul_f32_e32 v82, v82, v83
	buffer_store_dword v82, off, s[0:3], 0 offset:84
.LBB38_166:
	s_or_b64 exec, exec, s[8:9]
	buffer_load_dword v82, off, s[0:3], 0 offset:80
	v_cmp_lt_u32_e64 s[6:7], 20, v0
	s_waitcnt vmcnt(0)
	ds_write_b32 v80, v82
	s_waitcnt lgkmcnt(0)
	; wave barrier
	s_and_saveexec_b64 s[8:9], s[6:7]
	s_cbranch_execz .LBB38_176
; %bb.167:
	s_andn2_b64 vcc, exec, s[10:11]
	s_cbranch_vccnz .LBB38_169
; %bb.168:
	buffer_load_dword v82, v81, s[0:3], 0 offen
	ds_read_b32 v83, v80
	s_waitcnt vmcnt(0) lgkmcnt(0)
	v_mul_f32_e32 v82, v82, v83
	s_cbranch_execz .LBB38_170
	s_branch .LBB38_171
.LBB38_169:
                                        ; implicit-def: $vgpr82
.LBB38_170:
	ds_read_b32 v82, v80
.LBB38_171:
	s_and_saveexec_b64 s[12:13], s[4:5]
	s_cbranch_execz .LBB38_175
; %bb.172:
	v_subrev_u32_e32 v83, 21, v0
	s_movk_i32 s36, 0xf4
	s_mov_b64 s[4:5], 0
.LBB38_173:                             ; =>This Inner Loop Header: Depth=1
	v_mov_b32_e32 v84, s35
	buffer_load_dword v84, v84, s[0:3], 0 offen
	v_mov_b32_e32 v85, s36
	ds_read_b32 v85, v85
	v_add_u32_e32 v83, -1, v83
	s_add_i32 s36, s36, 4
	s_add_i32 s35, s35, 4
	v_cmp_eq_u32_e32 vcc, 0, v83
	s_or_b64 s[4:5], vcc, s[4:5]
	s_waitcnt vmcnt(0) lgkmcnt(0)
	v_fmac_f32_e32 v82, v84, v85
	s_andn2_b64 exec, exec, s[4:5]
	s_cbranch_execnz .LBB38_173
; %bb.174:
	s_or_b64 exec, exec, s[4:5]
.LBB38_175:
	s_or_b64 exec, exec, s[12:13]
	v_mov_b32_e32 v83, 0
	ds_read_b32 v83, v83 offset:80
	s_waitcnt lgkmcnt(0)
	v_mul_f32_e32 v82, v82, v83
	buffer_store_dword v82, off, s[0:3], 0 offset:80
.LBB38_176:
	s_or_b64 exec, exec, s[8:9]
	buffer_load_dword v82, off, s[0:3], 0 offset:76
	v_cmp_lt_u32_e64 s[4:5], 19, v0
	s_waitcnt vmcnt(0)
	ds_write_b32 v80, v82
	s_waitcnt lgkmcnt(0)
	; wave barrier
	s_and_saveexec_b64 s[8:9], s[4:5]
	s_cbranch_execz .LBB38_186
; %bb.177:
	s_andn2_b64 vcc, exec, s[10:11]
	s_cbranch_vccnz .LBB38_179
; %bb.178:
	buffer_load_dword v82, v81, s[0:3], 0 offen
	ds_read_b32 v83, v80
	s_waitcnt vmcnt(0) lgkmcnt(0)
	v_mul_f32_e32 v82, v82, v83
	s_cbranch_execz .LBB38_180
	s_branch .LBB38_181
.LBB38_179:
                                        ; implicit-def: $vgpr82
.LBB38_180:
	ds_read_b32 v82, v80
.LBB38_181:
	s_and_saveexec_b64 s[12:13], s[6:7]
	s_cbranch_execz .LBB38_185
; %bb.182:
	v_subrev_u32_e32 v83, 20, v0
	s_movk_i32 s35, 0xf0
	s_mov_b64 s[6:7], 0
.LBB38_183:                             ; =>This Inner Loop Header: Depth=1
	v_mov_b32_e32 v84, s34
	buffer_load_dword v84, v84, s[0:3], 0 offen
	v_mov_b32_e32 v85, s35
	ds_read_b32 v85, v85
	v_add_u32_e32 v83, -1, v83
	s_add_i32 s35, s35, 4
	s_add_i32 s34, s34, 4
	v_cmp_eq_u32_e32 vcc, 0, v83
	s_or_b64 s[6:7], vcc, s[6:7]
	s_waitcnt vmcnt(0) lgkmcnt(0)
	v_fmac_f32_e32 v82, v84, v85
	s_andn2_b64 exec, exec, s[6:7]
	s_cbranch_execnz .LBB38_183
; %bb.184:
	s_or_b64 exec, exec, s[6:7]
.LBB38_185:
	s_or_b64 exec, exec, s[12:13]
	v_mov_b32_e32 v83, 0
	ds_read_b32 v83, v83 offset:76
	s_waitcnt lgkmcnt(0)
	v_mul_f32_e32 v82, v82, v83
	buffer_store_dword v82, off, s[0:3], 0 offset:76
.LBB38_186:
	s_or_b64 exec, exec, s[8:9]
	buffer_load_dword v82, off, s[0:3], 0 offset:72
	v_cmp_lt_u32_e64 s[6:7], 18, v0
	s_waitcnt vmcnt(0)
	ds_write_b32 v80, v82
	s_waitcnt lgkmcnt(0)
	; wave barrier
	s_and_saveexec_b64 s[8:9], s[6:7]
	s_cbranch_execz .LBB38_196
; %bb.187:
	s_andn2_b64 vcc, exec, s[10:11]
	s_cbranch_vccnz .LBB38_189
; %bb.188:
	buffer_load_dword v82, v81, s[0:3], 0 offen
	ds_read_b32 v83, v80
	s_waitcnt vmcnt(0) lgkmcnt(0)
	v_mul_f32_e32 v82, v82, v83
	s_cbranch_execz .LBB38_190
	s_branch .LBB38_191
.LBB38_189:
                                        ; implicit-def: $vgpr82
.LBB38_190:
	ds_read_b32 v82, v80
.LBB38_191:
	s_and_saveexec_b64 s[12:13], s[4:5]
	s_cbranch_execz .LBB38_195
; %bb.192:
	v_subrev_u32_e32 v83, 19, v0
	s_movk_i32 s34, 0xec
	s_mov_b64 s[4:5], 0
.LBB38_193:                             ; =>This Inner Loop Header: Depth=1
	v_mov_b32_e32 v84, s33
	buffer_load_dword v84, v84, s[0:3], 0 offen
	v_mov_b32_e32 v85, s34
	ds_read_b32 v85, v85
	v_add_u32_e32 v83, -1, v83
	s_add_i32 s34, s34, 4
	s_add_i32 s33, s33, 4
	v_cmp_eq_u32_e32 vcc, 0, v83
	s_or_b64 s[4:5], vcc, s[4:5]
	s_waitcnt vmcnt(0) lgkmcnt(0)
	v_fmac_f32_e32 v82, v84, v85
	s_andn2_b64 exec, exec, s[4:5]
	s_cbranch_execnz .LBB38_193
; %bb.194:
	s_or_b64 exec, exec, s[4:5]
.LBB38_195:
	s_or_b64 exec, exec, s[12:13]
	v_mov_b32_e32 v83, 0
	ds_read_b32 v83, v83 offset:72
	s_waitcnt lgkmcnt(0)
	v_mul_f32_e32 v82, v82, v83
	buffer_store_dword v82, off, s[0:3], 0 offset:72
.LBB38_196:
	s_or_b64 exec, exec, s[8:9]
	buffer_load_dword v82, off, s[0:3], 0 offset:68
	v_cmp_lt_u32_e64 s[4:5], 17, v0
	s_waitcnt vmcnt(0)
	ds_write_b32 v80, v82
	s_waitcnt lgkmcnt(0)
	; wave barrier
	s_and_saveexec_b64 s[8:9], s[4:5]
	s_cbranch_execz .LBB38_206
; %bb.197:
	s_andn2_b64 vcc, exec, s[10:11]
	s_cbranch_vccnz .LBB38_199
; %bb.198:
	buffer_load_dword v82, v81, s[0:3], 0 offen
	ds_read_b32 v83, v80
	s_waitcnt vmcnt(0) lgkmcnt(0)
	v_mul_f32_e32 v82, v82, v83
	s_cbranch_execz .LBB38_200
	s_branch .LBB38_201
.LBB38_199:
                                        ; implicit-def: $vgpr82
.LBB38_200:
	ds_read_b32 v82, v80
.LBB38_201:
	s_and_saveexec_b64 s[12:13], s[6:7]
	s_cbranch_execz .LBB38_205
; %bb.202:
	v_subrev_u32_e32 v83, 18, v0
	s_movk_i32 s33, 0xe8
	s_mov_b64 s[6:7], 0
.LBB38_203:                             ; =>This Inner Loop Header: Depth=1
	v_mov_b32_e32 v84, s31
	buffer_load_dword v84, v84, s[0:3], 0 offen
	v_mov_b32_e32 v85, s33
	ds_read_b32 v85, v85
	v_add_u32_e32 v83, -1, v83
	s_add_i32 s33, s33, 4
	s_add_i32 s31, s31, 4
	v_cmp_eq_u32_e32 vcc, 0, v83
	s_or_b64 s[6:7], vcc, s[6:7]
	s_waitcnt vmcnt(0) lgkmcnt(0)
	v_fmac_f32_e32 v82, v84, v85
	s_andn2_b64 exec, exec, s[6:7]
	s_cbranch_execnz .LBB38_203
; %bb.204:
	s_or_b64 exec, exec, s[6:7]
.LBB38_205:
	s_or_b64 exec, exec, s[12:13]
	v_mov_b32_e32 v83, 0
	ds_read_b32 v83, v83 offset:68
	s_waitcnt lgkmcnt(0)
	v_mul_f32_e32 v82, v82, v83
	buffer_store_dword v82, off, s[0:3], 0 offset:68
.LBB38_206:
	s_or_b64 exec, exec, s[8:9]
	buffer_load_dword v82, off, s[0:3], 0 offset:64
	v_cmp_lt_u32_e64 s[6:7], 16, v0
	s_waitcnt vmcnt(0)
	ds_write_b32 v80, v82
	s_waitcnt lgkmcnt(0)
	; wave barrier
	s_and_saveexec_b64 s[8:9], s[6:7]
	s_cbranch_execz .LBB38_216
; %bb.207:
	s_andn2_b64 vcc, exec, s[10:11]
	s_cbranch_vccnz .LBB38_209
; %bb.208:
	buffer_load_dword v82, v81, s[0:3], 0 offen
	ds_read_b32 v83, v80
	s_waitcnt vmcnt(0) lgkmcnt(0)
	v_mul_f32_e32 v82, v82, v83
	s_cbranch_execz .LBB38_210
	s_branch .LBB38_211
.LBB38_209:
                                        ; implicit-def: $vgpr82
.LBB38_210:
	ds_read_b32 v82, v80
.LBB38_211:
	s_and_saveexec_b64 s[12:13], s[4:5]
	s_cbranch_execz .LBB38_215
; %bb.212:
	v_subrev_u32_e32 v83, 17, v0
	s_movk_i32 s31, 0xe4
	s_mov_b64 s[4:5], 0
.LBB38_213:                             ; =>This Inner Loop Header: Depth=1
	v_mov_b32_e32 v84, s30
	buffer_load_dword v84, v84, s[0:3], 0 offen
	v_mov_b32_e32 v85, s31
	ds_read_b32 v85, v85
	v_add_u32_e32 v83, -1, v83
	s_add_i32 s31, s31, 4
	s_add_i32 s30, s30, 4
	v_cmp_eq_u32_e32 vcc, 0, v83
	s_or_b64 s[4:5], vcc, s[4:5]
	s_waitcnt vmcnt(0) lgkmcnt(0)
	v_fmac_f32_e32 v82, v84, v85
	s_andn2_b64 exec, exec, s[4:5]
	s_cbranch_execnz .LBB38_213
; %bb.214:
	s_or_b64 exec, exec, s[4:5]
.LBB38_215:
	s_or_b64 exec, exec, s[12:13]
	v_mov_b32_e32 v83, 0
	ds_read_b32 v83, v83 offset:64
	s_waitcnt lgkmcnt(0)
	v_mul_f32_e32 v82, v82, v83
	buffer_store_dword v82, off, s[0:3], 0 offset:64
.LBB38_216:
	s_or_b64 exec, exec, s[8:9]
	buffer_load_dword v82, off, s[0:3], 0 offset:60
	v_cmp_lt_u32_e64 s[4:5], 15, v0
	s_waitcnt vmcnt(0)
	ds_write_b32 v80, v82
	s_waitcnt lgkmcnt(0)
	; wave barrier
	s_and_saveexec_b64 s[8:9], s[4:5]
	s_cbranch_execz .LBB38_226
; %bb.217:
	s_andn2_b64 vcc, exec, s[10:11]
	s_cbranch_vccnz .LBB38_219
; %bb.218:
	buffer_load_dword v82, v81, s[0:3], 0 offen
	ds_read_b32 v83, v80
	s_waitcnt vmcnt(0) lgkmcnt(0)
	v_mul_f32_e32 v82, v82, v83
	s_cbranch_execz .LBB38_220
	s_branch .LBB38_221
.LBB38_219:
                                        ; implicit-def: $vgpr82
.LBB38_220:
	ds_read_b32 v82, v80
.LBB38_221:
	s_and_saveexec_b64 s[12:13], s[6:7]
	s_cbranch_execz .LBB38_225
; %bb.222:
	v_add_u32_e32 v83, -16, v0
	s_movk_i32 s30, 0xe0
	s_mov_b64 s[6:7], 0
.LBB38_223:                             ; =>This Inner Loop Header: Depth=1
	v_mov_b32_e32 v84, s29
	buffer_load_dword v84, v84, s[0:3], 0 offen
	v_mov_b32_e32 v85, s30
	ds_read_b32 v85, v85
	v_add_u32_e32 v83, -1, v83
	s_add_i32 s30, s30, 4
	s_add_i32 s29, s29, 4
	v_cmp_eq_u32_e32 vcc, 0, v83
	s_or_b64 s[6:7], vcc, s[6:7]
	s_waitcnt vmcnt(0) lgkmcnt(0)
	v_fmac_f32_e32 v82, v84, v85
	s_andn2_b64 exec, exec, s[6:7]
	s_cbranch_execnz .LBB38_223
; %bb.224:
	s_or_b64 exec, exec, s[6:7]
.LBB38_225:
	s_or_b64 exec, exec, s[12:13]
	v_mov_b32_e32 v83, 0
	ds_read_b32 v83, v83 offset:60
	s_waitcnt lgkmcnt(0)
	v_mul_f32_e32 v82, v82, v83
	buffer_store_dword v82, off, s[0:3], 0 offset:60
.LBB38_226:
	s_or_b64 exec, exec, s[8:9]
	buffer_load_dword v82, off, s[0:3], 0 offset:56
	v_cmp_lt_u32_e64 s[6:7], 14, v0
	s_waitcnt vmcnt(0)
	ds_write_b32 v80, v82
	s_waitcnt lgkmcnt(0)
	; wave barrier
	s_and_saveexec_b64 s[8:9], s[6:7]
	s_cbranch_execz .LBB38_236
; %bb.227:
	s_andn2_b64 vcc, exec, s[10:11]
	s_cbranch_vccnz .LBB38_229
; %bb.228:
	buffer_load_dword v82, v81, s[0:3], 0 offen
	ds_read_b32 v83, v80
	s_waitcnt vmcnt(0) lgkmcnt(0)
	v_mul_f32_e32 v82, v82, v83
	s_cbranch_execz .LBB38_230
	s_branch .LBB38_231
.LBB38_229:
                                        ; implicit-def: $vgpr82
.LBB38_230:
	ds_read_b32 v82, v80
.LBB38_231:
	s_and_saveexec_b64 s[12:13], s[4:5]
	s_cbranch_execz .LBB38_235
; %bb.232:
	v_add_u32_e32 v83, -15, v0
	s_movk_i32 s29, 0xdc
	s_mov_b64 s[4:5], 0
.LBB38_233:                             ; =>This Inner Loop Header: Depth=1
	v_mov_b32_e32 v84, s28
	buffer_load_dword v84, v84, s[0:3], 0 offen
	v_mov_b32_e32 v85, s29
	ds_read_b32 v85, v85
	v_add_u32_e32 v83, -1, v83
	s_add_i32 s29, s29, 4
	s_add_i32 s28, s28, 4
	v_cmp_eq_u32_e32 vcc, 0, v83
	s_or_b64 s[4:5], vcc, s[4:5]
	s_waitcnt vmcnt(0) lgkmcnt(0)
	v_fmac_f32_e32 v82, v84, v85
	s_andn2_b64 exec, exec, s[4:5]
	s_cbranch_execnz .LBB38_233
; %bb.234:
	s_or_b64 exec, exec, s[4:5]
.LBB38_235:
	s_or_b64 exec, exec, s[12:13]
	v_mov_b32_e32 v83, 0
	ds_read_b32 v83, v83 offset:56
	s_waitcnt lgkmcnt(0)
	v_mul_f32_e32 v82, v82, v83
	buffer_store_dword v82, off, s[0:3], 0 offset:56
.LBB38_236:
	;; [unrolled: 54-line block ×15, first 2 shown]
	s_or_b64 exec, exec, s[8:9]
	buffer_load_dword v82, off, s[0:3], 0
	v_cmp_ne_u32_e32 vcc, 0, v0
	s_waitcnt vmcnt(0)
	ds_write_b32 v80, v82
	s_waitcnt lgkmcnt(0)
	; wave barrier
	s_and_saveexec_b64 s[6:7], vcc
	s_cbranch_execz .LBB38_376
; %bb.367:
	s_andn2_b64 vcc, exec, s[10:11]
	s_cbranch_vccnz .LBB38_369
; %bb.368:
	buffer_load_dword v82, v81, s[0:3], 0 offen
	ds_read_b32 v83, v80
	s_waitcnt vmcnt(0) lgkmcnt(0)
	v_mul_f32_e32 v82, v82, v83
	s_cbranch_execz .LBB38_370
	s_branch .LBB38_371
.LBB38_369:
                                        ; implicit-def: $vgpr82
.LBB38_370:
	ds_read_b32 v82, v80
.LBB38_371:
	s_and_saveexec_b64 s[8:9], s[4:5]
	s_cbranch_execz .LBB38_375
; %bb.372:
	v_add_u32_e32 v83, -1, v0
	s_movk_i32 s12, 0xa4
	s_mov_b64 s[4:5], 0
.LBB38_373:                             ; =>This Inner Loop Header: Depth=1
	v_mov_b32_e32 v84, s14
	buffer_load_dword v84, v84, s[0:3], 0 offen
	v_mov_b32_e32 v85, s12
	ds_read_b32 v85, v85
	v_add_u32_e32 v83, -1, v83
	s_add_i32 s12, s12, 4
	s_add_i32 s14, s14, 4
	v_cmp_eq_u32_e32 vcc, 0, v83
	s_or_b64 s[4:5], vcc, s[4:5]
	s_waitcnt vmcnt(0) lgkmcnt(0)
	v_fmac_f32_e32 v82, v84, v85
	s_andn2_b64 exec, exec, s[4:5]
	s_cbranch_execnz .LBB38_373
; %bb.374:
	s_or_b64 exec, exec, s[4:5]
.LBB38_375:
	s_or_b64 exec, exec, s[8:9]
	v_mov_b32_e32 v83, 0
	ds_read_b32 v83, v83
	s_waitcnt lgkmcnt(0)
	v_mul_f32_e32 v82, v82, v83
	buffer_store_dword v82, off, s[0:3], 0
.LBB38_376:
	s_or_b64 exec, exec, s[6:7]
	s_mov_b64 s[4:5], 0
.LBB38_377:
	s_and_b64 vcc, exec, s[4:5]
	s_cbranch_vccz .LBB38_749
; %bb.378:
	buffer_load_dword v82, off, s[0:3], 0 offset:4
	v_cmp_eq_u32_e64 s[6:7], 0, v0
	s_waitcnt vmcnt(0)
	ds_write_b32 v80, v82
	s_waitcnt lgkmcnt(0)
	; wave barrier
	s_and_saveexec_b64 s[4:5], s[6:7]
	s_cbranch_execz .LBB38_384
; %bb.379:
	s_and_b64 vcc, exec, s[10:11]
	s_cbranch_vccz .LBB38_381
; %bb.380:
	buffer_load_dword v82, v81, s[0:3], 0 offen
	ds_read_b32 v83, v80
	s_waitcnt vmcnt(0) lgkmcnt(0)
	v_mul_f32_e32 v82, v82, v83
	s_cbranch_execz .LBB38_382
	s_branch .LBB38_383
.LBB38_381:
                                        ; implicit-def: $vgpr82
.LBB38_382:
	ds_read_b32 v82, v80
.LBB38_383:
	v_mov_b32_e32 v83, 0
	ds_read_b32 v83, v83 offset:4
	s_waitcnt lgkmcnt(0)
	v_mul_f32_e32 v82, v82, v83
	buffer_store_dword v82, off, s[0:3], 0 offset:4
.LBB38_384:
	s_or_b64 exec, exec, s[4:5]
	buffer_load_dword v82, off, s[0:3], 0 offset:8
	v_cndmask_b32_e64 v83, 0, 1, s[10:11]
	v_cmp_gt_u32_e32 vcc, 2, v0
	v_cmp_ne_u32_e64 s[4:5], 1, v83
	s_waitcnt vmcnt(0)
	ds_write_b32 v80, v82
	s_waitcnt lgkmcnt(0)
	; wave barrier
	s_and_saveexec_b64 s[8:9], vcc
	s_cbranch_execz .LBB38_390
; %bb.385:
	s_and_b64 vcc, exec, s[4:5]
	s_cbranch_vccnz .LBB38_387
; %bb.386:
	buffer_load_dword v82, v81, s[0:3], 0 offen
	ds_read_b32 v83, v80
	s_waitcnt vmcnt(0) lgkmcnt(0)
	v_mul_f32_e32 v82, v82, v83
	s_cbranch_execz .LBB38_388
	s_branch .LBB38_389
.LBB38_387:
                                        ; implicit-def: $vgpr82
.LBB38_388:
	ds_read_b32 v82, v80
.LBB38_389:
	buffer_load_dword v85, off, s[0:3], 0 offset:4
	v_mov_b32_e32 v83, 0
	ds_read2_b32 v[83:84], v83 offset0:2 offset1:41
	s_waitcnt vmcnt(0) lgkmcnt(0)
	v_fma_f32 v84, v85, v84, v82
	v_cndmask_b32_e64 v82, v82, v84, s[6:7]
	v_mul_f32_e32 v82, v82, v83
	buffer_store_dword v82, off, s[0:3], 0 offset:8
.LBB38_390:
	s_or_b64 exec, exec, s[8:9]
	buffer_load_dword v82, off, s[0:3], 0 offset:12
	v_cmp_gt_u32_e32 vcc, 3, v0
	s_waitcnt vmcnt(0)
	ds_write_b32 v80, v82
	s_waitcnt lgkmcnt(0)
	; wave barrier
	s_and_saveexec_b64 s[8:9], vcc
	s_cbranch_execz .LBB38_398
; %bb.391:
	s_and_b64 vcc, exec, s[4:5]
	s_cbranch_vccnz .LBB38_393
; %bb.392:
	buffer_load_dword v82, v81, s[0:3], 0 offen
	ds_read_b32 v83, v80
	s_waitcnt vmcnt(0) lgkmcnt(0)
	v_mul_f32_e32 v82, v82, v83
	s_cbranch_execz .LBB38_394
	s_branch .LBB38_395
.LBB38_393:
                                        ; implicit-def: $vgpr82
.LBB38_394:
	ds_read_b32 v82, v80
.LBB38_395:
	v_cmp_ne_u32_e32 vcc, 2, v0
	s_and_saveexec_b64 s[10:11], vcc
	s_cbranch_execz .LBB38_397
; %bb.396:
	buffer_load_dword v83, v81, s[0:3], 0 offen offset:4
	buffer_load_dword v84, off, s[0:3], 0 offset:8
	v_mov_b32_e32 v85, 0
	ds_read_b32 v86, v80 offset:4
	ds_read_b32 v85, v85 offset:168
	s_waitcnt vmcnt(1) lgkmcnt(1)
	v_fmac_f32_e32 v82, v83, v86
	s_waitcnt vmcnt(0) lgkmcnt(0)
	v_fma_f32 v83, v84, v85, v82
	v_cndmask_b32_e64 v82, v82, v83, s[6:7]
.LBB38_397:
	s_or_b64 exec, exec, s[10:11]
	v_mov_b32_e32 v83, 0
	ds_read_b32 v83, v83 offset:12
	s_waitcnt lgkmcnt(0)
	v_mul_f32_e32 v82, v82, v83
	buffer_store_dword v82, off, s[0:3], 0 offset:12
.LBB38_398:
	s_or_b64 exec, exec, s[8:9]
	buffer_load_dword v82, off, s[0:3], 0 offset:16
	v_cmp_gt_u32_e32 vcc, 4, v0
	s_waitcnt vmcnt(0)
	ds_write_b32 v80, v82
	s_waitcnt lgkmcnt(0)
	; wave barrier
	s_and_saveexec_b64 s[6:7], vcc
	s_cbranch_execz .LBB38_408
; %bb.399:
	s_and_b64 vcc, exec, s[4:5]
	s_cbranch_vccnz .LBB38_401
; %bb.400:
	buffer_load_dword v82, v81, s[0:3], 0 offen
	ds_read_b32 v83, v80
	s_waitcnt vmcnt(0) lgkmcnt(0)
	v_mul_f32_e32 v82, v82, v83
	s_cbranch_execz .LBB38_402
	s_branch .LBB38_403
.LBB38_401:
                                        ; implicit-def: $vgpr82
.LBB38_402:
	ds_read_b32 v82, v80
.LBB38_403:
	v_cmp_ne_u32_e32 vcc, 3, v0
	s_and_saveexec_b64 s[8:9], vcc
	s_cbranch_execz .LBB38_407
; %bb.404:
	s_mov_b32 s10, 0
	v_add_u32_e32 v83, 0xa4, v79
	v_add3_u32 v84, v79, s10, 4
	s_mov_b64 s[10:11], 0
	v_mov_b32_e32 v85, v0
.LBB38_405:                             ; =>This Inner Loop Header: Depth=1
	buffer_load_dword v86, v84, s[0:3], 0 offen
	ds_read_b32 v87, v83
	v_add_u32_e32 v85, 1, v85
	v_cmp_lt_u32_e32 vcc, 2, v85
	v_add_u32_e32 v83, 4, v83
	v_add_u32_e32 v84, 4, v84
	s_or_b64 s[10:11], vcc, s[10:11]
	s_waitcnt vmcnt(0) lgkmcnt(0)
	v_fmac_f32_e32 v82, v86, v87
	s_andn2_b64 exec, exec, s[10:11]
	s_cbranch_execnz .LBB38_405
; %bb.406:
	s_or_b64 exec, exec, s[10:11]
.LBB38_407:
	s_or_b64 exec, exec, s[8:9]
	v_mov_b32_e32 v83, 0
	ds_read_b32 v83, v83 offset:16
	s_waitcnt lgkmcnt(0)
	v_mul_f32_e32 v82, v82, v83
	buffer_store_dword v82, off, s[0:3], 0 offset:16
.LBB38_408:
	s_or_b64 exec, exec, s[6:7]
	buffer_load_dword v82, off, s[0:3], 0 offset:20
	v_cmp_gt_u32_e32 vcc, 5, v0
	s_waitcnt vmcnt(0)
	ds_write_b32 v80, v82
	s_waitcnt lgkmcnt(0)
	; wave barrier
	s_and_saveexec_b64 s[6:7], vcc
	s_cbranch_execz .LBB38_418
; %bb.409:
	s_and_b64 vcc, exec, s[4:5]
	s_cbranch_vccnz .LBB38_411
; %bb.410:
	buffer_load_dword v82, v81, s[0:3], 0 offen
	ds_read_b32 v83, v80
	s_waitcnt vmcnt(0) lgkmcnt(0)
	v_mul_f32_e32 v82, v82, v83
	s_cbranch_execz .LBB38_412
	s_branch .LBB38_413
.LBB38_411:
                                        ; implicit-def: $vgpr82
.LBB38_412:
	ds_read_b32 v82, v80
.LBB38_413:
	v_cmp_ne_u32_e32 vcc, 4, v0
	s_and_saveexec_b64 s[8:9], vcc
	s_cbranch_execz .LBB38_417
; %bb.414:
	s_mov_b32 s10, 0
	v_add_u32_e32 v83, 0xa4, v79
	v_add3_u32 v84, v79, s10, 4
	s_mov_b64 s[10:11], 0
	v_mov_b32_e32 v85, v0
.LBB38_415:                             ; =>This Inner Loop Header: Depth=1
	buffer_load_dword v86, v84, s[0:3], 0 offen
	ds_read_b32 v87, v83
	v_add_u32_e32 v85, 1, v85
	v_cmp_lt_u32_e32 vcc, 3, v85
	v_add_u32_e32 v83, 4, v83
	v_add_u32_e32 v84, 4, v84
	s_or_b64 s[10:11], vcc, s[10:11]
	s_waitcnt vmcnt(0) lgkmcnt(0)
	v_fmac_f32_e32 v82, v86, v87
	s_andn2_b64 exec, exec, s[10:11]
	s_cbranch_execnz .LBB38_415
; %bb.416:
	s_or_b64 exec, exec, s[10:11]
.LBB38_417:
	s_or_b64 exec, exec, s[8:9]
	v_mov_b32_e32 v83, 0
	ds_read_b32 v83, v83 offset:20
	s_waitcnt lgkmcnt(0)
	v_mul_f32_e32 v82, v82, v83
	buffer_store_dword v82, off, s[0:3], 0 offset:20
.LBB38_418:
	s_or_b64 exec, exec, s[6:7]
	buffer_load_dword v82, off, s[0:3], 0 offset:24
	v_cmp_gt_u32_e32 vcc, 6, v0
	s_waitcnt vmcnt(0)
	ds_write_b32 v80, v82
	s_waitcnt lgkmcnt(0)
	; wave barrier
	s_and_saveexec_b64 s[6:7], vcc
	s_cbranch_execz .LBB38_428
; %bb.419:
	s_and_b64 vcc, exec, s[4:5]
	s_cbranch_vccnz .LBB38_421
; %bb.420:
	buffer_load_dword v82, v81, s[0:3], 0 offen
	ds_read_b32 v83, v80
	s_waitcnt vmcnt(0) lgkmcnt(0)
	v_mul_f32_e32 v82, v82, v83
	s_cbranch_execz .LBB38_422
	s_branch .LBB38_423
.LBB38_421:
                                        ; implicit-def: $vgpr82
.LBB38_422:
	ds_read_b32 v82, v80
.LBB38_423:
	v_cmp_ne_u32_e32 vcc, 5, v0
	s_and_saveexec_b64 s[8:9], vcc
	s_cbranch_execz .LBB38_427
; %bb.424:
	s_mov_b32 s10, 0
	v_add_u32_e32 v83, 0xa4, v79
	v_add3_u32 v84, v79, s10, 4
	s_mov_b64 s[10:11], 0
	v_mov_b32_e32 v85, v0
.LBB38_425:                             ; =>This Inner Loop Header: Depth=1
	buffer_load_dword v86, v84, s[0:3], 0 offen
	ds_read_b32 v87, v83
	v_add_u32_e32 v85, 1, v85
	v_cmp_lt_u32_e32 vcc, 4, v85
	v_add_u32_e32 v83, 4, v83
	v_add_u32_e32 v84, 4, v84
	s_or_b64 s[10:11], vcc, s[10:11]
	s_waitcnt vmcnt(0) lgkmcnt(0)
	v_fmac_f32_e32 v82, v86, v87
	s_andn2_b64 exec, exec, s[10:11]
	s_cbranch_execnz .LBB38_425
; %bb.426:
	s_or_b64 exec, exec, s[10:11]
.LBB38_427:
	s_or_b64 exec, exec, s[8:9]
	v_mov_b32_e32 v83, 0
	ds_read_b32 v83, v83 offset:24
	s_waitcnt lgkmcnt(0)
	v_mul_f32_e32 v82, v82, v83
	buffer_store_dword v82, off, s[0:3], 0 offset:24
.LBB38_428:
	s_or_b64 exec, exec, s[6:7]
	buffer_load_dword v82, off, s[0:3], 0 offset:28
	v_cmp_gt_u32_e32 vcc, 7, v0
	s_waitcnt vmcnt(0)
	ds_write_b32 v80, v82
	s_waitcnt lgkmcnt(0)
	; wave barrier
	s_and_saveexec_b64 s[6:7], vcc
	s_cbranch_execz .LBB38_438
; %bb.429:
	s_and_b64 vcc, exec, s[4:5]
	s_cbranch_vccnz .LBB38_431
; %bb.430:
	buffer_load_dword v82, v81, s[0:3], 0 offen
	ds_read_b32 v83, v80
	s_waitcnt vmcnt(0) lgkmcnt(0)
	v_mul_f32_e32 v82, v82, v83
	s_cbranch_execz .LBB38_432
	s_branch .LBB38_433
.LBB38_431:
                                        ; implicit-def: $vgpr82
.LBB38_432:
	ds_read_b32 v82, v80
.LBB38_433:
	v_cmp_ne_u32_e32 vcc, 6, v0
	s_and_saveexec_b64 s[8:9], vcc
	s_cbranch_execz .LBB38_437
; %bb.434:
	s_mov_b32 s10, 0
	v_add_u32_e32 v83, 0xa4, v79
	v_add3_u32 v84, v79, s10, 4
	s_mov_b64 s[10:11], 0
	v_mov_b32_e32 v85, v0
.LBB38_435:                             ; =>This Inner Loop Header: Depth=1
	buffer_load_dword v86, v84, s[0:3], 0 offen
	ds_read_b32 v87, v83
	v_add_u32_e32 v85, 1, v85
	v_cmp_lt_u32_e32 vcc, 5, v85
	v_add_u32_e32 v83, 4, v83
	v_add_u32_e32 v84, 4, v84
	s_or_b64 s[10:11], vcc, s[10:11]
	s_waitcnt vmcnt(0) lgkmcnt(0)
	v_fmac_f32_e32 v82, v86, v87
	s_andn2_b64 exec, exec, s[10:11]
	s_cbranch_execnz .LBB38_435
; %bb.436:
	s_or_b64 exec, exec, s[10:11]
.LBB38_437:
	s_or_b64 exec, exec, s[8:9]
	v_mov_b32_e32 v83, 0
	ds_read_b32 v83, v83 offset:28
	s_waitcnt lgkmcnt(0)
	v_mul_f32_e32 v82, v82, v83
	buffer_store_dword v82, off, s[0:3], 0 offset:28
.LBB38_438:
	s_or_b64 exec, exec, s[6:7]
	buffer_load_dword v82, off, s[0:3], 0 offset:32
	v_cmp_gt_u32_e32 vcc, 8, v0
	s_waitcnt vmcnt(0)
	ds_write_b32 v80, v82
	s_waitcnt lgkmcnt(0)
	; wave barrier
	s_and_saveexec_b64 s[6:7], vcc
	s_cbranch_execz .LBB38_448
; %bb.439:
	s_and_b64 vcc, exec, s[4:5]
	s_cbranch_vccnz .LBB38_441
; %bb.440:
	buffer_load_dword v82, v81, s[0:3], 0 offen
	ds_read_b32 v83, v80
	s_waitcnt vmcnt(0) lgkmcnt(0)
	v_mul_f32_e32 v82, v82, v83
	s_cbranch_execz .LBB38_442
	s_branch .LBB38_443
.LBB38_441:
                                        ; implicit-def: $vgpr82
.LBB38_442:
	ds_read_b32 v82, v80
.LBB38_443:
	v_cmp_ne_u32_e32 vcc, 7, v0
	s_and_saveexec_b64 s[8:9], vcc
	s_cbranch_execz .LBB38_447
; %bb.444:
	s_mov_b32 s10, 0
	v_add_u32_e32 v83, 0xa4, v79
	v_add3_u32 v84, v79, s10, 4
	s_mov_b64 s[10:11], 0
	v_mov_b32_e32 v85, v0
.LBB38_445:                             ; =>This Inner Loop Header: Depth=1
	buffer_load_dword v86, v84, s[0:3], 0 offen
	ds_read_b32 v87, v83
	v_add_u32_e32 v85, 1, v85
	v_cmp_lt_u32_e32 vcc, 6, v85
	v_add_u32_e32 v83, 4, v83
	v_add_u32_e32 v84, 4, v84
	s_or_b64 s[10:11], vcc, s[10:11]
	s_waitcnt vmcnt(0) lgkmcnt(0)
	v_fmac_f32_e32 v82, v86, v87
	s_andn2_b64 exec, exec, s[10:11]
	s_cbranch_execnz .LBB38_445
; %bb.446:
	s_or_b64 exec, exec, s[10:11]
.LBB38_447:
	s_or_b64 exec, exec, s[8:9]
	v_mov_b32_e32 v83, 0
	ds_read_b32 v83, v83 offset:32
	s_waitcnt lgkmcnt(0)
	v_mul_f32_e32 v82, v82, v83
	buffer_store_dword v82, off, s[0:3], 0 offset:32
.LBB38_448:
	s_or_b64 exec, exec, s[6:7]
	buffer_load_dword v82, off, s[0:3], 0 offset:36
	v_cmp_gt_u32_e32 vcc, 9, v0
	s_waitcnt vmcnt(0)
	ds_write_b32 v80, v82
	s_waitcnt lgkmcnt(0)
	; wave barrier
	s_and_saveexec_b64 s[6:7], vcc
	s_cbranch_execz .LBB38_458
; %bb.449:
	s_and_b64 vcc, exec, s[4:5]
	s_cbranch_vccnz .LBB38_451
; %bb.450:
	buffer_load_dword v82, v81, s[0:3], 0 offen
	ds_read_b32 v83, v80
	s_waitcnt vmcnt(0) lgkmcnt(0)
	v_mul_f32_e32 v82, v82, v83
	s_cbranch_execz .LBB38_452
	s_branch .LBB38_453
.LBB38_451:
                                        ; implicit-def: $vgpr82
.LBB38_452:
	ds_read_b32 v82, v80
.LBB38_453:
	v_cmp_ne_u32_e32 vcc, 8, v0
	s_and_saveexec_b64 s[8:9], vcc
	s_cbranch_execz .LBB38_457
; %bb.454:
	s_mov_b32 s10, 0
	v_add_u32_e32 v83, 0xa4, v79
	v_add3_u32 v84, v79, s10, 4
	s_mov_b64 s[10:11], 0
	v_mov_b32_e32 v85, v0
.LBB38_455:                             ; =>This Inner Loop Header: Depth=1
	buffer_load_dword v86, v84, s[0:3], 0 offen
	ds_read_b32 v87, v83
	v_add_u32_e32 v85, 1, v85
	v_cmp_lt_u32_e32 vcc, 7, v85
	v_add_u32_e32 v83, 4, v83
	v_add_u32_e32 v84, 4, v84
	s_or_b64 s[10:11], vcc, s[10:11]
	s_waitcnt vmcnt(0) lgkmcnt(0)
	v_fmac_f32_e32 v82, v86, v87
	s_andn2_b64 exec, exec, s[10:11]
	s_cbranch_execnz .LBB38_455
; %bb.456:
	s_or_b64 exec, exec, s[10:11]
.LBB38_457:
	s_or_b64 exec, exec, s[8:9]
	v_mov_b32_e32 v83, 0
	ds_read_b32 v83, v83 offset:36
	s_waitcnt lgkmcnt(0)
	v_mul_f32_e32 v82, v82, v83
	buffer_store_dword v82, off, s[0:3], 0 offset:36
.LBB38_458:
	s_or_b64 exec, exec, s[6:7]
	buffer_load_dword v82, off, s[0:3], 0 offset:40
	v_cmp_gt_u32_e32 vcc, 10, v0
	s_waitcnt vmcnt(0)
	ds_write_b32 v80, v82
	s_waitcnt lgkmcnt(0)
	; wave barrier
	s_and_saveexec_b64 s[6:7], vcc
	s_cbranch_execz .LBB38_468
; %bb.459:
	s_and_b64 vcc, exec, s[4:5]
	s_cbranch_vccnz .LBB38_461
; %bb.460:
	buffer_load_dword v82, v81, s[0:3], 0 offen
	ds_read_b32 v83, v80
	s_waitcnt vmcnt(0) lgkmcnt(0)
	v_mul_f32_e32 v82, v82, v83
	s_cbranch_execz .LBB38_462
	s_branch .LBB38_463
.LBB38_461:
                                        ; implicit-def: $vgpr82
.LBB38_462:
	ds_read_b32 v82, v80
.LBB38_463:
	v_cmp_ne_u32_e32 vcc, 9, v0
	s_and_saveexec_b64 s[8:9], vcc
	s_cbranch_execz .LBB38_467
; %bb.464:
	s_mov_b32 s10, 0
	v_add_u32_e32 v83, 0xa4, v79
	v_add3_u32 v84, v79, s10, 4
	s_mov_b64 s[10:11], 0
	v_mov_b32_e32 v85, v0
.LBB38_465:                             ; =>This Inner Loop Header: Depth=1
	buffer_load_dword v86, v84, s[0:3], 0 offen
	ds_read_b32 v87, v83
	v_add_u32_e32 v85, 1, v85
	v_cmp_lt_u32_e32 vcc, 8, v85
	v_add_u32_e32 v83, 4, v83
	v_add_u32_e32 v84, 4, v84
	s_or_b64 s[10:11], vcc, s[10:11]
	s_waitcnt vmcnt(0) lgkmcnt(0)
	v_fmac_f32_e32 v82, v86, v87
	s_andn2_b64 exec, exec, s[10:11]
	s_cbranch_execnz .LBB38_465
; %bb.466:
	s_or_b64 exec, exec, s[10:11]
.LBB38_467:
	s_or_b64 exec, exec, s[8:9]
	v_mov_b32_e32 v83, 0
	ds_read_b32 v83, v83 offset:40
	s_waitcnt lgkmcnt(0)
	v_mul_f32_e32 v82, v82, v83
	buffer_store_dword v82, off, s[0:3], 0 offset:40
.LBB38_468:
	s_or_b64 exec, exec, s[6:7]
	buffer_load_dword v82, off, s[0:3], 0 offset:44
	v_cmp_gt_u32_e32 vcc, 11, v0
	s_waitcnt vmcnt(0)
	ds_write_b32 v80, v82
	s_waitcnt lgkmcnt(0)
	; wave barrier
	s_and_saveexec_b64 s[6:7], vcc
	s_cbranch_execz .LBB38_478
; %bb.469:
	s_and_b64 vcc, exec, s[4:5]
	s_cbranch_vccnz .LBB38_471
; %bb.470:
	buffer_load_dword v82, v81, s[0:3], 0 offen
	ds_read_b32 v83, v80
	s_waitcnt vmcnt(0) lgkmcnt(0)
	v_mul_f32_e32 v82, v82, v83
	s_cbranch_execz .LBB38_472
	s_branch .LBB38_473
.LBB38_471:
                                        ; implicit-def: $vgpr82
.LBB38_472:
	ds_read_b32 v82, v80
.LBB38_473:
	v_cmp_ne_u32_e32 vcc, 10, v0
	s_and_saveexec_b64 s[8:9], vcc
	s_cbranch_execz .LBB38_477
; %bb.474:
	s_mov_b32 s10, 0
	v_add_u32_e32 v83, 0xa4, v79
	v_add3_u32 v84, v79, s10, 4
	s_mov_b64 s[10:11], 0
	v_mov_b32_e32 v85, v0
.LBB38_475:                             ; =>This Inner Loop Header: Depth=1
	buffer_load_dword v86, v84, s[0:3], 0 offen
	ds_read_b32 v87, v83
	v_add_u32_e32 v85, 1, v85
	v_cmp_lt_u32_e32 vcc, 9, v85
	v_add_u32_e32 v83, 4, v83
	v_add_u32_e32 v84, 4, v84
	s_or_b64 s[10:11], vcc, s[10:11]
	s_waitcnt vmcnt(0) lgkmcnt(0)
	v_fmac_f32_e32 v82, v86, v87
	s_andn2_b64 exec, exec, s[10:11]
	s_cbranch_execnz .LBB38_475
; %bb.476:
	s_or_b64 exec, exec, s[10:11]
.LBB38_477:
	s_or_b64 exec, exec, s[8:9]
	v_mov_b32_e32 v83, 0
	ds_read_b32 v83, v83 offset:44
	s_waitcnt lgkmcnt(0)
	v_mul_f32_e32 v82, v82, v83
	buffer_store_dword v82, off, s[0:3], 0 offset:44
.LBB38_478:
	s_or_b64 exec, exec, s[6:7]
	buffer_load_dword v82, off, s[0:3], 0 offset:48
	v_cmp_gt_u32_e32 vcc, 12, v0
	s_waitcnt vmcnt(0)
	ds_write_b32 v80, v82
	s_waitcnt lgkmcnt(0)
	; wave barrier
	s_and_saveexec_b64 s[6:7], vcc
	s_cbranch_execz .LBB38_488
; %bb.479:
	s_and_b64 vcc, exec, s[4:5]
	s_cbranch_vccnz .LBB38_481
; %bb.480:
	buffer_load_dword v82, v81, s[0:3], 0 offen
	ds_read_b32 v83, v80
	s_waitcnt vmcnt(0) lgkmcnt(0)
	v_mul_f32_e32 v82, v82, v83
	s_cbranch_execz .LBB38_482
	s_branch .LBB38_483
.LBB38_481:
                                        ; implicit-def: $vgpr82
.LBB38_482:
	ds_read_b32 v82, v80
.LBB38_483:
	v_cmp_ne_u32_e32 vcc, 11, v0
	s_and_saveexec_b64 s[8:9], vcc
	s_cbranch_execz .LBB38_487
; %bb.484:
	s_mov_b32 s10, 0
	v_add_u32_e32 v83, 0xa4, v79
	v_add3_u32 v84, v79, s10, 4
	s_mov_b64 s[10:11], 0
	v_mov_b32_e32 v85, v0
.LBB38_485:                             ; =>This Inner Loop Header: Depth=1
	buffer_load_dword v86, v84, s[0:3], 0 offen
	ds_read_b32 v87, v83
	v_add_u32_e32 v85, 1, v85
	v_cmp_lt_u32_e32 vcc, 10, v85
	v_add_u32_e32 v83, 4, v83
	v_add_u32_e32 v84, 4, v84
	s_or_b64 s[10:11], vcc, s[10:11]
	s_waitcnt vmcnt(0) lgkmcnt(0)
	v_fmac_f32_e32 v82, v86, v87
	s_andn2_b64 exec, exec, s[10:11]
	s_cbranch_execnz .LBB38_485
; %bb.486:
	s_or_b64 exec, exec, s[10:11]
.LBB38_487:
	s_or_b64 exec, exec, s[8:9]
	v_mov_b32_e32 v83, 0
	ds_read_b32 v83, v83 offset:48
	s_waitcnt lgkmcnt(0)
	v_mul_f32_e32 v82, v82, v83
	buffer_store_dword v82, off, s[0:3], 0 offset:48
.LBB38_488:
	s_or_b64 exec, exec, s[6:7]
	buffer_load_dword v82, off, s[0:3], 0 offset:52
	v_cmp_gt_u32_e32 vcc, 13, v0
	s_waitcnt vmcnt(0)
	ds_write_b32 v80, v82
	s_waitcnt lgkmcnt(0)
	; wave barrier
	s_and_saveexec_b64 s[6:7], vcc
	s_cbranch_execz .LBB38_498
; %bb.489:
	s_and_b64 vcc, exec, s[4:5]
	s_cbranch_vccnz .LBB38_491
; %bb.490:
	buffer_load_dword v82, v81, s[0:3], 0 offen
	ds_read_b32 v83, v80
	s_waitcnt vmcnt(0) lgkmcnt(0)
	v_mul_f32_e32 v82, v82, v83
	s_cbranch_execz .LBB38_492
	s_branch .LBB38_493
.LBB38_491:
                                        ; implicit-def: $vgpr82
.LBB38_492:
	ds_read_b32 v82, v80
.LBB38_493:
	v_cmp_ne_u32_e32 vcc, 12, v0
	s_and_saveexec_b64 s[8:9], vcc
	s_cbranch_execz .LBB38_497
; %bb.494:
	s_mov_b32 s10, 0
	v_add_u32_e32 v83, 0xa4, v79
	v_add3_u32 v84, v79, s10, 4
	s_mov_b64 s[10:11], 0
	v_mov_b32_e32 v85, v0
.LBB38_495:                             ; =>This Inner Loop Header: Depth=1
	buffer_load_dword v86, v84, s[0:3], 0 offen
	ds_read_b32 v87, v83
	v_add_u32_e32 v85, 1, v85
	v_cmp_lt_u32_e32 vcc, 11, v85
	v_add_u32_e32 v83, 4, v83
	v_add_u32_e32 v84, 4, v84
	s_or_b64 s[10:11], vcc, s[10:11]
	s_waitcnt vmcnt(0) lgkmcnt(0)
	v_fmac_f32_e32 v82, v86, v87
	s_andn2_b64 exec, exec, s[10:11]
	s_cbranch_execnz .LBB38_495
; %bb.496:
	s_or_b64 exec, exec, s[10:11]
.LBB38_497:
	s_or_b64 exec, exec, s[8:9]
	v_mov_b32_e32 v83, 0
	ds_read_b32 v83, v83 offset:52
	s_waitcnt lgkmcnt(0)
	v_mul_f32_e32 v82, v82, v83
	buffer_store_dword v82, off, s[0:3], 0 offset:52
.LBB38_498:
	s_or_b64 exec, exec, s[6:7]
	buffer_load_dword v82, off, s[0:3], 0 offset:56
	v_cmp_gt_u32_e32 vcc, 14, v0
	s_waitcnt vmcnt(0)
	ds_write_b32 v80, v82
	s_waitcnt lgkmcnt(0)
	; wave barrier
	s_and_saveexec_b64 s[6:7], vcc
	s_cbranch_execz .LBB38_508
; %bb.499:
	s_and_b64 vcc, exec, s[4:5]
	s_cbranch_vccnz .LBB38_501
; %bb.500:
	buffer_load_dword v82, v81, s[0:3], 0 offen
	ds_read_b32 v83, v80
	s_waitcnt vmcnt(0) lgkmcnt(0)
	v_mul_f32_e32 v82, v82, v83
	s_cbranch_execz .LBB38_502
	s_branch .LBB38_503
.LBB38_501:
                                        ; implicit-def: $vgpr82
.LBB38_502:
	ds_read_b32 v82, v80
.LBB38_503:
	v_cmp_ne_u32_e32 vcc, 13, v0
	s_and_saveexec_b64 s[8:9], vcc
	s_cbranch_execz .LBB38_507
; %bb.504:
	s_mov_b32 s10, 0
	v_add_u32_e32 v83, 0xa4, v79
	v_add3_u32 v84, v79, s10, 4
	s_mov_b64 s[10:11], 0
	v_mov_b32_e32 v85, v0
.LBB38_505:                             ; =>This Inner Loop Header: Depth=1
	buffer_load_dword v86, v84, s[0:3], 0 offen
	ds_read_b32 v87, v83
	v_add_u32_e32 v85, 1, v85
	v_cmp_lt_u32_e32 vcc, 12, v85
	v_add_u32_e32 v83, 4, v83
	v_add_u32_e32 v84, 4, v84
	s_or_b64 s[10:11], vcc, s[10:11]
	s_waitcnt vmcnt(0) lgkmcnt(0)
	v_fmac_f32_e32 v82, v86, v87
	s_andn2_b64 exec, exec, s[10:11]
	s_cbranch_execnz .LBB38_505
; %bb.506:
	s_or_b64 exec, exec, s[10:11]
.LBB38_507:
	s_or_b64 exec, exec, s[8:9]
	v_mov_b32_e32 v83, 0
	ds_read_b32 v83, v83 offset:56
	s_waitcnt lgkmcnt(0)
	v_mul_f32_e32 v82, v82, v83
	buffer_store_dword v82, off, s[0:3], 0 offset:56
.LBB38_508:
	s_or_b64 exec, exec, s[6:7]
	buffer_load_dword v82, off, s[0:3], 0 offset:60
	v_cmp_gt_u32_e32 vcc, 15, v0
	s_waitcnt vmcnt(0)
	ds_write_b32 v80, v82
	s_waitcnt lgkmcnt(0)
	; wave barrier
	s_and_saveexec_b64 s[6:7], vcc
	s_cbranch_execz .LBB38_518
; %bb.509:
	s_and_b64 vcc, exec, s[4:5]
	s_cbranch_vccnz .LBB38_511
; %bb.510:
	buffer_load_dword v82, v81, s[0:3], 0 offen
	ds_read_b32 v83, v80
	s_waitcnt vmcnt(0) lgkmcnt(0)
	v_mul_f32_e32 v82, v82, v83
	s_cbranch_execz .LBB38_512
	s_branch .LBB38_513
.LBB38_511:
                                        ; implicit-def: $vgpr82
.LBB38_512:
	ds_read_b32 v82, v80
.LBB38_513:
	v_cmp_ne_u32_e32 vcc, 14, v0
	s_and_saveexec_b64 s[8:9], vcc
	s_cbranch_execz .LBB38_517
; %bb.514:
	s_mov_b32 s10, 0
	v_add_u32_e32 v83, 0xa4, v79
	v_add3_u32 v84, v79, s10, 4
	s_mov_b64 s[10:11], 0
	v_mov_b32_e32 v85, v0
.LBB38_515:                             ; =>This Inner Loop Header: Depth=1
	buffer_load_dword v86, v84, s[0:3], 0 offen
	ds_read_b32 v87, v83
	v_add_u32_e32 v85, 1, v85
	v_cmp_lt_u32_e32 vcc, 13, v85
	v_add_u32_e32 v83, 4, v83
	v_add_u32_e32 v84, 4, v84
	s_or_b64 s[10:11], vcc, s[10:11]
	s_waitcnt vmcnt(0) lgkmcnt(0)
	v_fmac_f32_e32 v82, v86, v87
	s_andn2_b64 exec, exec, s[10:11]
	s_cbranch_execnz .LBB38_515
; %bb.516:
	s_or_b64 exec, exec, s[10:11]
.LBB38_517:
	s_or_b64 exec, exec, s[8:9]
	v_mov_b32_e32 v83, 0
	ds_read_b32 v83, v83 offset:60
	s_waitcnt lgkmcnt(0)
	v_mul_f32_e32 v82, v82, v83
	buffer_store_dword v82, off, s[0:3], 0 offset:60
.LBB38_518:
	s_or_b64 exec, exec, s[6:7]
	buffer_load_dword v82, off, s[0:3], 0 offset:64
	v_cmp_gt_u32_e32 vcc, 16, v0
	s_waitcnt vmcnt(0)
	ds_write_b32 v80, v82
	s_waitcnt lgkmcnt(0)
	; wave barrier
	s_and_saveexec_b64 s[6:7], vcc
	s_cbranch_execz .LBB38_528
; %bb.519:
	s_and_b64 vcc, exec, s[4:5]
	s_cbranch_vccnz .LBB38_521
; %bb.520:
	buffer_load_dword v82, v81, s[0:3], 0 offen
	ds_read_b32 v83, v80
	s_waitcnt vmcnt(0) lgkmcnt(0)
	v_mul_f32_e32 v82, v82, v83
	s_cbranch_execz .LBB38_522
	s_branch .LBB38_523
.LBB38_521:
                                        ; implicit-def: $vgpr82
.LBB38_522:
	ds_read_b32 v82, v80
.LBB38_523:
	v_cmp_ne_u32_e32 vcc, 15, v0
	s_and_saveexec_b64 s[8:9], vcc
	s_cbranch_execz .LBB38_527
; %bb.524:
	s_mov_b32 s10, 0
	v_add_u32_e32 v83, 0xa4, v79
	v_add3_u32 v84, v79, s10, 4
	s_mov_b64 s[10:11], 0
	v_mov_b32_e32 v85, v0
.LBB38_525:                             ; =>This Inner Loop Header: Depth=1
	buffer_load_dword v86, v84, s[0:3], 0 offen
	ds_read_b32 v87, v83
	v_add_u32_e32 v85, 1, v85
	v_cmp_lt_u32_e32 vcc, 14, v85
	v_add_u32_e32 v83, 4, v83
	v_add_u32_e32 v84, 4, v84
	s_or_b64 s[10:11], vcc, s[10:11]
	s_waitcnt vmcnt(0) lgkmcnt(0)
	v_fmac_f32_e32 v82, v86, v87
	s_andn2_b64 exec, exec, s[10:11]
	s_cbranch_execnz .LBB38_525
; %bb.526:
	s_or_b64 exec, exec, s[10:11]
.LBB38_527:
	s_or_b64 exec, exec, s[8:9]
	v_mov_b32_e32 v83, 0
	ds_read_b32 v83, v83 offset:64
	s_waitcnt lgkmcnt(0)
	v_mul_f32_e32 v82, v82, v83
	buffer_store_dword v82, off, s[0:3], 0 offset:64
.LBB38_528:
	s_or_b64 exec, exec, s[6:7]
	buffer_load_dword v82, off, s[0:3], 0 offset:68
	v_cmp_gt_u32_e32 vcc, 17, v0
	s_waitcnt vmcnt(0)
	ds_write_b32 v80, v82
	s_waitcnt lgkmcnt(0)
	; wave barrier
	s_and_saveexec_b64 s[6:7], vcc
	s_cbranch_execz .LBB38_538
; %bb.529:
	s_and_b64 vcc, exec, s[4:5]
	s_cbranch_vccnz .LBB38_531
; %bb.530:
	buffer_load_dword v82, v81, s[0:3], 0 offen
	ds_read_b32 v83, v80
	s_waitcnt vmcnt(0) lgkmcnt(0)
	v_mul_f32_e32 v82, v82, v83
	s_cbranch_execz .LBB38_532
	s_branch .LBB38_533
.LBB38_531:
                                        ; implicit-def: $vgpr82
.LBB38_532:
	ds_read_b32 v82, v80
.LBB38_533:
	v_cmp_ne_u32_e32 vcc, 16, v0
	s_and_saveexec_b64 s[8:9], vcc
	s_cbranch_execz .LBB38_537
; %bb.534:
	s_mov_b32 s10, 0
	v_add_u32_e32 v83, 0xa4, v79
	v_add3_u32 v84, v79, s10, 4
	s_mov_b64 s[10:11], 0
	v_mov_b32_e32 v85, v0
.LBB38_535:                             ; =>This Inner Loop Header: Depth=1
	buffer_load_dword v86, v84, s[0:3], 0 offen
	ds_read_b32 v87, v83
	v_add_u32_e32 v85, 1, v85
	v_cmp_lt_u32_e32 vcc, 15, v85
	v_add_u32_e32 v83, 4, v83
	v_add_u32_e32 v84, 4, v84
	s_or_b64 s[10:11], vcc, s[10:11]
	s_waitcnt vmcnt(0) lgkmcnt(0)
	v_fmac_f32_e32 v82, v86, v87
	s_andn2_b64 exec, exec, s[10:11]
	s_cbranch_execnz .LBB38_535
; %bb.536:
	s_or_b64 exec, exec, s[10:11]
.LBB38_537:
	s_or_b64 exec, exec, s[8:9]
	v_mov_b32_e32 v83, 0
	ds_read_b32 v83, v83 offset:68
	s_waitcnt lgkmcnt(0)
	v_mul_f32_e32 v82, v82, v83
	buffer_store_dword v82, off, s[0:3], 0 offset:68
.LBB38_538:
	s_or_b64 exec, exec, s[6:7]
	buffer_load_dword v82, off, s[0:3], 0 offset:72
	v_cmp_gt_u32_e32 vcc, 18, v0
	s_waitcnt vmcnt(0)
	ds_write_b32 v80, v82
	s_waitcnt lgkmcnt(0)
	; wave barrier
	s_and_saveexec_b64 s[6:7], vcc
	s_cbranch_execz .LBB38_548
; %bb.539:
	s_and_b64 vcc, exec, s[4:5]
	s_cbranch_vccnz .LBB38_541
; %bb.540:
	buffer_load_dword v82, v81, s[0:3], 0 offen
	ds_read_b32 v83, v80
	s_waitcnt vmcnt(0) lgkmcnt(0)
	v_mul_f32_e32 v82, v82, v83
	s_cbranch_execz .LBB38_542
	s_branch .LBB38_543
.LBB38_541:
                                        ; implicit-def: $vgpr82
.LBB38_542:
	ds_read_b32 v82, v80
.LBB38_543:
	v_cmp_ne_u32_e32 vcc, 17, v0
	s_and_saveexec_b64 s[8:9], vcc
	s_cbranch_execz .LBB38_547
; %bb.544:
	s_mov_b32 s10, 0
	v_add_u32_e32 v83, 0xa4, v79
	v_add3_u32 v84, v79, s10, 4
	s_mov_b64 s[10:11], 0
	v_mov_b32_e32 v85, v0
.LBB38_545:                             ; =>This Inner Loop Header: Depth=1
	buffer_load_dword v86, v84, s[0:3], 0 offen
	ds_read_b32 v87, v83
	v_add_u32_e32 v85, 1, v85
	v_cmp_lt_u32_e32 vcc, 16, v85
	v_add_u32_e32 v83, 4, v83
	v_add_u32_e32 v84, 4, v84
	s_or_b64 s[10:11], vcc, s[10:11]
	s_waitcnt vmcnt(0) lgkmcnt(0)
	v_fmac_f32_e32 v82, v86, v87
	s_andn2_b64 exec, exec, s[10:11]
	s_cbranch_execnz .LBB38_545
; %bb.546:
	s_or_b64 exec, exec, s[10:11]
.LBB38_547:
	s_or_b64 exec, exec, s[8:9]
	v_mov_b32_e32 v83, 0
	ds_read_b32 v83, v83 offset:72
	s_waitcnt lgkmcnt(0)
	v_mul_f32_e32 v82, v82, v83
	buffer_store_dword v82, off, s[0:3], 0 offset:72
.LBB38_548:
	s_or_b64 exec, exec, s[6:7]
	buffer_load_dword v82, off, s[0:3], 0 offset:76
	v_cmp_gt_u32_e32 vcc, 19, v0
	s_waitcnt vmcnt(0)
	ds_write_b32 v80, v82
	s_waitcnt lgkmcnt(0)
	; wave barrier
	s_and_saveexec_b64 s[6:7], vcc
	s_cbranch_execz .LBB38_558
; %bb.549:
	s_and_b64 vcc, exec, s[4:5]
	s_cbranch_vccnz .LBB38_551
; %bb.550:
	buffer_load_dword v82, v81, s[0:3], 0 offen
	ds_read_b32 v83, v80
	s_waitcnt vmcnt(0) lgkmcnt(0)
	v_mul_f32_e32 v82, v82, v83
	s_cbranch_execz .LBB38_552
	s_branch .LBB38_553
.LBB38_551:
                                        ; implicit-def: $vgpr82
.LBB38_552:
	ds_read_b32 v82, v80
.LBB38_553:
	v_cmp_ne_u32_e32 vcc, 18, v0
	s_and_saveexec_b64 s[8:9], vcc
	s_cbranch_execz .LBB38_557
; %bb.554:
	s_mov_b32 s10, 0
	v_add_u32_e32 v83, 0xa4, v79
	v_add3_u32 v84, v79, s10, 4
	s_mov_b64 s[10:11], 0
	v_mov_b32_e32 v85, v0
.LBB38_555:                             ; =>This Inner Loop Header: Depth=1
	buffer_load_dword v86, v84, s[0:3], 0 offen
	ds_read_b32 v87, v83
	v_add_u32_e32 v85, 1, v85
	v_cmp_lt_u32_e32 vcc, 17, v85
	v_add_u32_e32 v83, 4, v83
	v_add_u32_e32 v84, 4, v84
	s_or_b64 s[10:11], vcc, s[10:11]
	s_waitcnt vmcnt(0) lgkmcnt(0)
	v_fmac_f32_e32 v82, v86, v87
	s_andn2_b64 exec, exec, s[10:11]
	s_cbranch_execnz .LBB38_555
; %bb.556:
	s_or_b64 exec, exec, s[10:11]
.LBB38_557:
	s_or_b64 exec, exec, s[8:9]
	v_mov_b32_e32 v83, 0
	ds_read_b32 v83, v83 offset:76
	s_waitcnt lgkmcnt(0)
	v_mul_f32_e32 v82, v82, v83
	buffer_store_dword v82, off, s[0:3], 0 offset:76
.LBB38_558:
	s_or_b64 exec, exec, s[6:7]
	buffer_load_dword v82, off, s[0:3], 0 offset:80
	v_cmp_gt_u32_e32 vcc, 20, v0
	s_waitcnt vmcnt(0)
	ds_write_b32 v80, v82
	s_waitcnt lgkmcnt(0)
	; wave barrier
	s_and_saveexec_b64 s[6:7], vcc
	s_cbranch_execz .LBB38_568
; %bb.559:
	s_and_b64 vcc, exec, s[4:5]
	s_cbranch_vccnz .LBB38_561
; %bb.560:
	buffer_load_dword v82, v81, s[0:3], 0 offen
	ds_read_b32 v83, v80
	s_waitcnt vmcnt(0) lgkmcnt(0)
	v_mul_f32_e32 v82, v82, v83
	s_cbranch_execz .LBB38_562
	s_branch .LBB38_563
.LBB38_561:
                                        ; implicit-def: $vgpr82
.LBB38_562:
	ds_read_b32 v82, v80
.LBB38_563:
	v_cmp_ne_u32_e32 vcc, 19, v0
	s_and_saveexec_b64 s[8:9], vcc
	s_cbranch_execz .LBB38_567
; %bb.564:
	s_mov_b32 s10, 0
	v_add_u32_e32 v83, 0xa4, v79
	v_add3_u32 v84, v79, s10, 4
	s_mov_b64 s[10:11], 0
	v_mov_b32_e32 v85, v0
.LBB38_565:                             ; =>This Inner Loop Header: Depth=1
	buffer_load_dword v86, v84, s[0:3], 0 offen
	ds_read_b32 v87, v83
	v_add_u32_e32 v85, 1, v85
	v_cmp_lt_u32_e32 vcc, 18, v85
	v_add_u32_e32 v83, 4, v83
	v_add_u32_e32 v84, 4, v84
	s_or_b64 s[10:11], vcc, s[10:11]
	s_waitcnt vmcnt(0) lgkmcnt(0)
	v_fmac_f32_e32 v82, v86, v87
	s_andn2_b64 exec, exec, s[10:11]
	s_cbranch_execnz .LBB38_565
; %bb.566:
	s_or_b64 exec, exec, s[10:11]
.LBB38_567:
	s_or_b64 exec, exec, s[8:9]
	v_mov_b32_e32 v83, 0
	ds_read_b32 v83, v83 offset:80
	s_waitcnt lgkmcnt(0)
	v_mul_f32_e32 v82, v82, v83
	buffer_store_dword v82, off, s[0:3], 0 offset:80
.LBB38_568:
	s_or_b64 exec, exec, s[6:7]
	buffer_load_dword v82, off, s[0:3], 0 offset:84
	v_cmp_gt_u32_e32 vcc, 21, v0
	s_waitcnt vmcnt(0)
	ds_write_b32 v80, v82
	s_waitcnt lgkmcnt(0)
	; wave barrier
	s_and_saveexec_b64 s[6:7], vcc
	s_cbranch_execz .LBB38_578
; %bb.569:
	s_and_b64 vcc, exec, s[4:5]
	s_cbranch_vccnz .LBB38_571
; %bb.570:
	buffer_load_dword v82, v81, s[0:3], 0 offen
	ds_read_b32 v83, v80
	s_waitcnt vmcnt(0) lgkmcnt(0)
	v_mul_f32_e32 v82, v82, v83
	s_cbranch_execz .LBB38_572
	s_branch .LBB38_573
.LBB38_571:
                                        ; implicit-def: $vgpr82
.LBB38_572:
	ds_read_b32 v82, v80
.LBB38_573:
	v_cmp_ne_u32_e32 vcc, 20, v0
	s_and_saveexec_b64 s[8:9], vcc
	s_cbranch_execz .LBB38_577
; %bb.574:
	s_mov_b32 s10, 0
	v_add_u32_e32 v83, 0xa4, v79
	v_add3_u32 v84, v79, s10, 4
	s_mov_b64 s[10:11], 0
	v_mov_b32_e32 v85, v0
.LBB38_575:                             ; =>This Inner Loop Header: Depth=1
	buffer_load_dword v86, v84, s[0:3], 0 offen
	ds_read_b32 v87, v83
	v_add_u32_e32 v85, 1, v85
	v_cmp_lt_u32_e32 vcc, 19, v85
	v_add_u32_e32 v83, 4, v83
	v_add_u32_e32 v84, 4, v84
	s_or_b64 s[10:11], vcc, s[10:11]
	s_waitcnt vmcnt(0) lgkmcnt(0)
	v_fmac_f32_e32 v82, v86, v87
	s_andn2_b64 exec, exec, s[10:11]
	s_cbranch_execnz .LBB38_575
; %bb.576:
	s_or_b64 exec, exec, s[10:11]
.LBB38_577:
	s_or_b64 exec, exec, s[8:9]
	v_mov_b32_e32 v83, 0
	ds_read_b32 v83, v83 offset:84
	s_waitcnt lgkmcnt(0)
	v_mul_f32_e32 v82, v82, v83
	buffer_store_dword v82, off, s[0:3], 0 offset:84
.LBB38_578:
	s_or_b64 exec, exec, s[6:7]
	buffer_load_dword v82, off, s[0:3], 0 offset:88
	v_cmp_gt_u32_e32 vcc, 22, v0
	s_waitcnt vmcnt(0)
	ds_write_b32 v80, v82
	s_waitcnt lgkmcnt(0)
	; wave barrier
	s_and_saveexec_b64 s[6:7], vcc
	s_cbranch_execz .LBB38_588
; %bb.579:
	s_and_b64 vcc, exec, s[4:5]
	s_cbranch_vccnz .LBB38_581
; %bb.580:
	buffer_load_dword v82, v81, s[0:3], 0 offen
	ds_read_b32 v83, v80
	s_waitcnt vmcnt(0) lgkmcnt(0)
	v_mul_f32_e32 v82, v82, v83
	s_cbranch_execz .LBB38_582
	s_branch .LBB38_583
.LBB38_581:
                                        ; implicit-def: $vgpr82
.LBB38_582:
	ds_read_b32 v82, v80
.LBB38_583:
	v_cmp_ne_u32_e32 vcc, 21, v0
	s_and_saveexec_b64 s[8:9], vcc
	s_cbranch_execz .LBB38_587
; %bb.584:
	s_mov_b32 s10, 0
	v_add_u32_e32 v83, 0xa4, v79
	v_add3_u32 v84, v79, s10, 4
	s_mov_b64 s[10:11], 0
	v_mov_b32_e32 v85, v0
.LBB38_585:                             ; =>This Inner Loop Header: Depth=1
	buffer_load_dword v86, v84, s[0:3], 0 offen
	ds_read_b32 v87, v83
	v_add_u32_e32 v85, 1, v85
	v_cmp_lt_u32_e32 vcc, 20, v85
	v_add_u32_e32 v83, 4, v83
	v_add_u32_e32 v84, 4, v84
	s_or_b64 s[10:11], vcc, s[10:11]
	s_waitcnt vmcnt(0) lgkmcnt(0)
	v_fmac_f32_e32 v82, v86, v87
	s_andn2_b64 exec, exec, s[10:11]
	s_cbranch_execnz .LBB38_585
; %bb.586:
	s_or_b64 exec, exec, s[10:11]
.LBB38_587:
	s_or_b64 exec, exec, s[8:9]
	v_mov_b32_e32 v83, 0
	ds_read_b32 v83, v83 offset:88
	s_waitcnt lgkmcnt(0)
	v_mul_f32_e32 v82, v82, v83
	buffer_store_dword v82, off, s[0:3], 0 offset:88
.LBB38_588:
	s_or_b64 exec, exec, s[6:7]
	buffer_load_dword v82, off, s[0:3], 0 offset:92
	v_cmp_gt_u32_e32 vcc, 23, v0
	s_waitcnt vmcnt(0)
	ds_write_b32 v80, v82
	s_waitcnt lgkmcnt(0)
	; wave barrier
	s_and_saveexec_b64 s[6:7], vcc
	s_cbranch_execz .LBB38_598
; %bb.589:
	s_and_b64 vcc, exec, s[4:5]
	s_cbranch_vccnz .LBB38_591
; %bb.590:
	buffer_load_dword v82, v81, s[0:3], 0 offen
	ds_read_b32 v83, v80
	s_waitcnt vmcnt(0) lgkmcnt(0)
	v_mul_f32_e32 v82, v82, v83
	s_cbranch_execz .LBB38_592
	s_branch .LBB38_593
.LBB38_591:
                                        ; implicit-def: $vgpr82
.LBB38_592:
	ds_read_b32 v82, v80
.LBB38_593:
	v_cmp_ne_u32_e32 vcc, 22, v0
	s_and_saveexec_b64 s[8:9], vcc
	s_cbranch_execz .LBB38_597
; %bb.594:
	s_mov_b32 s10, 0
	v_add_u32_e32 v83, 0xa4, v79
	v_add3_u32 v84, v79, s10, 4
	s_mov_b64 s[10:11], 0
	v_mov_b32_e32 v85, v0
.LBB38_595:                             ; =>This Inner Loop Header: Depth=1
	buffer_load_dword v86, v84, s[0:3], 0 offen
	ds_read_b32 v87, v83
	v_add_u32_e32 v85, 1, v85
	v_cmp_lt_u32_e32 vcc, 21, v85
	v_add_u32_e32 v83, 4, v83
	v_add_u32_e32 v84, 4, v84
	s_or_b64 s[10:11], vcc, s[10:11]
	s_waitcnt vmcnt(0) lgkmcnt(0)
	v_fmac_f32_e32 v82, v86, v87
	s_andn2_b64 exec, exec, s[10:11]
	s_cbranch_execnz .LBB38_595
; %bb.596:
	s_or_b64 exec, exec, s[10:11]
.LBB38_597:
	s_or_b64 exec, exec, s[8:9]
	v_mov_b32_e32 v83, 0
	ds_read_b32 v83, v83 offset:92
	s_waitcnt lgkmcnt(0)
	v_mul_f32_e32 v82, v82, v83
	buffer_store_dword v82, off, s[0:3], 0 offset:92
.LBB38_598:
	s_or_b64 exec, exec, s[6:7]
	buffer_load_dword v82, off, s[0:3], 0 offset:96
	v_cmp_gt_u32_e32 vcc, 24, v0
	s_waitcnt vmcnt(0)
	ds_write_b32 v80, v82
	s_waitcnt lgkmcnt(0)
	; wave barrier
	s_and_saveexec_b64 s[6:7], vcc
	s_cbranch_execz .LBB38_608
; %bb.599:
	s_and_b64 vcc, exec, s[4:5]
	s_cbranch_vccnz .LBB38_601
; %bb.600:
	buffer_load_dword v82, v81, s[0:3], 0 offen
	ds_read_b32 v83, v80
	s_waitcnt vmcnt(0) lgkmcnt(0)
	v_mul_f32_e32 v82, v82, v83
	s_cbranch_execz .LBB38_602
	s_branch .LBB38_603
.LBB38_601:
                                        ; implicit-def: $vgpr82
.LBB38_602:
	ds_read_b32 v82, v80
.LBB38_603:
	v_cmp_ne_u32_e32 vcc, 23, v0
	s_and_saveexec_b64 s[8:9], vcc
	s_cbranch_execz .LBB38_607
; %bb.604:
	s_mov_b32 s10, 0
	v_add_u32_e32 v83, 0xa4, v79
	v_add3_u32 v84, v79, s10, 4
	s_mov_b64 s[10:11], 0
	v_mov_b32_e32 v85, v0
.LBB38_605:                             ; =>This Inner Loop Header: Depth=1
	buffer_load_dword v86, v84, s[0:3], 0 offen
	ds_read_b32 v87, v83
	v_add_u32_e32 v85, 1, v85
	v_cmp_lt_u32_e32 vcc, 22, v85
	v_add_u32_e32 v83, 4, v83
	v_add_u32_e32 v84, 4, v84
	s_or_b64 s[10:11], vcc, s[10:11]
	s_waitcnt vmcnt(0) lgkmcnt(0)
	v_fmac_f32_e32 v82, v86, v87
	s_andn2_b64 exec, exec, s[10:11]
	s_cbranch_execnz .LBB38_605
; %bb.606:
	s_or_b64 exec, exec, s[10:11]
.LBB38_607:
	s_or_b64 exec, exec, s[8:9]
	v_mov_b32_e32 v83, 0
	ds_read_b32 v83, v83 offset:96
	s_waitcnt lgkmcnt(0)
	v_mul_f32_e32 v82, v82, v83
	buffer_store_dword v82, off, s[0:3], 0 offset:96
.LBB38_608:
	s_or_b64 exec, exec, s[6:7]
	buffer_load_dword v82, off, s[0:3], 0 offset:100
	v_cmp_gt_u32_e32 vcc, 25, v0
	s_waitcnt vmcnt(0)
	ds_write_b32 v80, v82
	s_waitcnt lgkmcnt(0)
	; wave barrier
	s_and_saveexec_b64 s[6:7], vcc
	s_cbranch_execz .LBB38_618
; %bb.609:
	s_and_b64 vcc, exec, s[4:5]
	s_cbranch_vccnz .LBB38_611
; %bb.610:
	buffer_load_dword v82, v81, s[0:3], 0 offen
	ds_read_b32 v83, v80
	s_waitcnt vmcnt(0) lgkmcnt(0)
	v_mul_f32_e32 v82, v82, v83
	s_cbranch_execz .LBB38_612
	s_branch .LBB38_613
.LBB38_611:
                                        ; implicit-def: $vgpr82
.LBB38_612:
	ds_read_b32 v82, v80
.LBB38_613:
	v_cmp_ne_u32_e32 vcc, 24, v0
	s_and_saveexec_b64 s[8:9], vcc
	s_cbranch_execz .LBB38_617
; %bb.614:
	s_mov_b32 s10, 0
	v_add_u32_e32 v83, 0xa4, v79
	v_add3_u32 v84, v79, s10, 4
	s_mov_b64 s[10:11], 0
	v_mov_b32_e32 v85, v0
.LBB38_615:                             ; =>This Inner Loop Header: Depth=1
	buffer_load_dword v86, v84, s[0:3], 0 offen
	ds_read_b32 v87, v83
	v_add_u32_e32 v85, 1, v85
	v_cmp_lt_u32_e32 vcc, 23, v85
	v_add_u32_e32 v83, 4, v83
	v_add_u32_e32 v84, 4, v84
	s_or_b64 s[10:11], vcc, s[10:11]
	s_waitcnt vmcnt(0) lgkmcnt(0)
	v_fmac_f32_e32 v82, v86, v87
	s_andn2_b64 exec, exec, s[10:11]
	s_cbranch_execnz .LBB38_615
; %bb.616:
	s_or_b64 exec, exec, s[10:11]
.LBB38_617:
	s_or_b64 exec, exec, s[8:9]
	v_mov_b32_e32 v83, 0
	ds_read_b32 v83, v83 offset:100
	s_waitcnt lgkmcnt(0)
	v_mul_f32_e32 v82, v82, v83
	buffer_store_dword v82, off, s[0:3], 0 offset:100
.LBB38_618:
	s_or_b64 exec, exec, s[6:7]
	buffer_load_dword v82, off, s[0:3], 0 offset:104
	v_cmp_gt_u32_e32 vcc, 26, v0
	s_waitcnt vmcnt(0)
	ds_write_b32 v80, v82
	s_waitcnt lgkmcnt(0)
	; wave barrier
	s_and_saveexec_b64 s[6:7], vcc
	s_cbranch_execz .LBB38_628
; %bb.619:
	s_and_b64 vcc, exec, s[4:5]
	s_cbranch_vccnz .LBB38_621
; %bb.620:
	buffer_load_dword v82, v81, s[0:3], 0 offen
	ds_read_b32 v83, v80
	s_waitcnt vmcnt(0) lgkmcnt(0)
	v_mul_f32_e32 v82, v82, v83
	s_cbranch_execz .LBB38_622
	s_branch .LBB38_623
.LBB38_621:
                                        ; implicit-def: $vgpr82
.LBB38_622:
	ds_read_b32 v82, v80
.LBB38_623:
	v_cmp_ne_u32_e32 vcc, 25, v0
	s_and_saveexec_b64 s[8:9], vcc
	s_cbranch_execz .LBB38_627
; %bb.624:
	s_mov_b32 s10, 0
	v_add_u32_e32 v83, 0xa4, v79
	v_add3_u32 v84, v79, s10, 4
	s_mov_b64 s[10:11], 0
	v_mov_b32_e32 v85, v0
.LBB38_625:                             ; =>This Inner Loop Header: Depth=1
	buffer_load_dword v86, v84, s[0:3], 0 offen
	ds_read_b32 v87, v83
	v_add_u32_e32 v85, 1, v85
	v_cmp_lt_u32_e32 vcc, 24, v85
	v_add_u32_e32 v83, 4, v83
	v_add_u32_e32 v84, 4, v84
	s_or_b64 s[10:11], vcc, s[10:11]
	s_waitcnt vmcnt(0) lgkmcnt(0)
	v_fmac_f32_e32 v82, v86, v87
	s_andn2_b64 exec, exec, s[10:11]
	s_cbranch_execnz .LBB38_625
; %bb.626:
	s_or_b64 exec, exec, s[10:11]
.LBB38_627:
	s_or_b64 exec, exec, s[8:9]
	v_mov_b32_e32 v83, 0
	ds_read_b32 v83, v83 offset:104
	s_waitcnt lgkmcnt(0)
	v_mul_f32_e32 v82, v82, v83
	buffer_store_dword v82, off, s[0:3], 0 offset:104
.LBB38_628:
	s_or_b64 exec, exec, s[6:7]
	buffer_load_dword v82, off, s[0:3], 0 offset:108
	v_cmp_gt_u32_e32 vcc, 27, v0
	s_waitcnt vmcnt(0)
	ds_write_b32 v80, v82
	s_waitcnt lgkmcnt(0)
	; wave barrier
	s_and_saveexec_b64 s[6:7], vcc
	s_cbranch_execz .LBB38_638
; %bb.629:
	s_and_b64 vcc, exec, s[4:5]
	s_cbranch_vccnz .LBB38_631
; %bb.630:
	buffer_load_dword v82, v81, s[0:3], 0 offen
	ds_read_b32 v83, v80
	s_waitcnt vmcnt(0) lgkmcnt(0)
	v_mul_f32_e32 v82, v82, v83
	s_cbranch_execz .LBB38_632
	s_branch .LBB38_633
.LBB38_631:
                                        ; implicit-def: $vgpr82
.LBB38_632:
	ds_read_b32 v82, v80
.LBB38_633:
	v_cmp_ne_u32_e32 vcc, 26, v0
	s_and_saveexec_b64 s[8:9], vcc
	s_cbranch_execz .LBB38_637
; %bb.634:
	s_mov_b32 s10, 0
	v_add_u32_e32 v83, 0xa4, v79
	v_add3_u32 v84, v79, s10, 4
	s_mov_b64 s[10:11], 0
	v_mov_b32_e32 v85, v0
.LBB38_635:                             ; =>This Inner Loop Header: Depth=1
	buffer_load_dword v86, v84, s[0:3], 0 offen
	ds_read_b32 v87, v83
	v_add_u32_e32 v85, 1, v85
	v_cmp_lt_u32_e32 vcc, 25, v85
	v_add_u32_e32 v83, 4, v83
	v_add_u32_e32 v84, 4, v84
	s_or_b64 s[10:11], vcc, s[10:11]
	s_waitcnt vmcnt(0) lgkmcnt(0)
	v_fmac_f32_e32 v82, v86, v87
	s_andn2_b64 exec, exec, s[10:11]
	s_cbranch_execnz .LBB38_635
; %bb.636:
	s_or_b64 exec, exec, s[10:11]
.LBB38_637:
	s_or_b64 exec, exec, s[8:9]
	v_mov_b32_e32 v83, 0
	ds_read_b32 v83, v83 offset:108
	s_waitcnt lgkmcnt(0)
	v_mul_f32_e32 v82, v82, v83
	buffer_store_dword v82, off, s[0:3], 0 offset:108
.LBB38_638:
	s_or_b64 exec, exec, s[6:7]
	buffer_load_dword v82, off, s[0:3], 0 offset:112
	v_cmp_gt_u32_e32 vcc, 28, v0
	s_waitcnt vmcnt(0)
	ds_write_b32 v80, v82
	s_waitcnt lgkmcnt(0)
	; wave barrier
	s_and_saveexec_b64 s[6:7], vcc
	s_cbranch_execz .LBB38_648
; %bb.639:
	s_and_b64 vcc, exec, s[4:5]
	s_cbranch_vccnz .LBB38_641
; %bb.640:
	buffer_load_dword v82, v81, s[0:3], 0 offen
	ds_read_b32 v83, v80
	s_waitcnt vmcnt(0) lgkmcnt(0)
	v_mul_f32_e32 v82, v82, v83
	s_cbranch_execz .LBB38_642
	s_branch .LBB38_643
.LBB38_641:
                                        ; implicit-def: $vgpr82
.LBB38_642:
	ds_read_b32 v82, v80
.LBB38_643:
	v_cmp_ne_u32_e32 vcc, 27, v0
	s_and_saveexec_b64 s[8:9], vcc
	s_cbranch_execz .LBB38_647
; %bb.644:
	s_mov_b32 s10, 0
	v_add_u32_e32 v83, 0xa4, v79
	v_add3_u32 v84, v79, s10, 4
	s_mov_b64 s[10:11], 0
	v_mov_b32_e32 v85, v0
.LBB38_645:                             ; =>This Inner Loop Header: Depth=1
	buffer_load_dword v86, v84, s[0:3], 0 offen
	ds_read_b32 v87, v83
	v_add_u32_e32 v85, 1, v85
	v_cmp_lt_u32_e32 vcc, 26, v85
	v_add_u32_e32 v83, 4, v83
	v_add_u32_e32 v84, 4, v84
	s_or_b64 s[10:11], vcc, s[10:11]
	s_waitcnt vmcnt(0) lgkmcnt(0)
	v_fmac_f32_e32 v82, v86, v87
	s_andn2_b64 exec, exec, s[10:11]
	s_cbranch_execnz .LBB38_645
; %bb.646:
	s_or_b64 exec, exec, s[10:11]
.LBB38_647:
	s_or_b64 exec, exec, s[8:9]
	v_mov_b32_e32 v83, 0
	ds_read_b32 v83, v83 offset:112
	s_waitcnt lgkmcnt(0)
	v_mul_f32_e32 v82, v82, v83
	buffer_store_dword v82, off, s[0:3], 0 offset:112
.LBB38_648:
	s_or_b64 exec, exec, s[6:7]
	buffer_load_dword v82, off, s[0:3], 0 offset:116
	v_cmp_gt_u32_e32 vcc, 29, v0
	s_waitcnt vmcnt(0)
	ds_write_b32 v80, v82
	s_waitcnt lgkmcnt(0)
	; wave barrier
	s_and_saveexec_b64 s[6:7], vcc
	s_cbranch_execz .LBB38_658
; %bb.649:
	s_and_b64 vcc, exec, s[4:5]
	s_cbranch_vccnz .LBB38_651
; %bb.650:
	buffer_load_dword v82, v81, s[0:3], 0 offen
	ds_read_b32 v83, v80
	s_waitcnt vmcnt(0) lgkmcnt(0)
	v_mul_f32_e32 v82, v82, v83
	s_cbranch_execz .LBB38_652
	s_branch .LBB38_653
.LBB38_651:
                                        ; implicit-def: $vgpr82
.LBB38_652:
	ds_read_b32 v82, v80
.LBB38_653:
	v_cmp_ne_u32_e32 vcc, 28, v0
	s_and_saveexec_b64 s[8:9], vcc
	s_cbranch_execz .LBB38_657
; %bb.654:
	s_mov_b32 s10, 0
	v_add_u32_e32 v83, 0xa4, v79
	v_add3_u32 v84, v79, s10, 4
	s_mov_b64 s[10:11], 0
	v_mov_b32_e32 v85, v0
.LBB38_655:                             ; =>This Inner Loop Header: Depth=1
	buffer_load_dword v86, v84, s[0:3], 0 offen
	ds_read_b32 v87, v83
	v_add_u32_e32 v85, 1, v85
	v_cmp_lt_u32_e32 vcc, 27, v85
	v_add_u32_e32 v83, 4, v83
	v_add_u32_e32 v84, 4, v84
	s_or_b64 s[10:11], vcc, s[10:11]
	s_waitcnt vmcnt(0) lgkmcnt(0)
	v_fmac_f32_e32 v82, v86, v87
	s_andn2_b64 exec, exec, s[10:11]
	s_cbranch_execnz .LBB38_655
; %bb.656:
	s_or_b64 exec, exec, s[10:11]
.LBB38_657:
	s_or_b64 exec, exec, s[8:9]
	v_mov_b32_e32 v83, 0
	ds_read_b32 v83, v83 offset:116
	s_waitcnt lgkmcnt(0)
	v_mul_f32_e32 v82, v82, v83
	buffer_store_dword v82, off, s[0:3], 0 offset:116
.LBB38_658:
	s_or_b64 exec, exec, s[6:7]
	buffer_load_dword v82, off, s[0:3], 0 offset:120
	v_cmp_gt_u32_e32 vcc, 30, v0
	s_waitcnt vmcnt(0)
	ds_write_b32 v80, v82
	s_waitcnt lgkmcnt(0)
	; wave barrier
	s_and_saveexec_b64 s[6:7], vcc
	s_cbranch_execz .LBB38_668
; %bb.659:
	s_and_b64 vcc, exec, s[4:5]
	s_cbranch_vccnz .LBB38_661
; %bb.660:
	buffer_load_dword v82, v81, s[0:3], 0 offen
	ds_read_b32 v83, v80
	s_waitcnt vmcnt(0) lgkmcnt(0)
	v_mul_f32_e32 v82, v82, v83
	s_cbranch_execz .LBB38_662
	s_branch .LBB38_663
.LBB38_661:
                                        ; implicit-def: $vgpr82
.LBB38_662:
	ds_read_b32 v82, v80
.LBB38_663:
	v_cmp_ne_u32_e32 vcc, 29, v0
	s_and_saveexec_b64 s[8:9], vcc
	s_cbranch_execz .LBB38_667
; %bb.664:
	s_mov_b32 s10, 0
	v_add_u32_e32 v83, 0xa4, v79
	v_add3_u32 v84, v79, s10, 4
	s_mov_b64 s[10:11], 0
	v_mov_b32_e32 v85, v0
.LBB38_665:                             ; =>This Inner Loop Header: Depth=1
	buffer_load_dword v86, v84, s[0:3], 0 offen
	ds_read_b32 v87, v83
	v_add_u32_e32 v85, 1, v85
	v_cmp_lt_u32_e32 vcc, 28, v85
	v_add_u32_e32 v83, 4, v83
	v_add_u32_e32 v84, 4, v84
	s_or_b64 s[10:11], vcc, s[10:11]
	s_waitcnt vmcnt(0) lgkmcnt(0)
	v_fmac_f32_e32 v82, v86, v87
	s_andn2_b64 exec, exec, s[10:11]
	s_cbranch_execnz .LBB38_665
; %bb.666:
	s_or_b64 exec, exec, s[10:11]
.LBB38_667:
	s_or_b64 exec, exec, s[8:9]
	v_mov_b32_e32 v83, 0
	ds_read_b32 v83, v83 offset:120
	s_waitcnt lgkmcnt(0)
	v_mul_f32_e32 v82, v82, v83
	buffer_store_dword v82, off, s[0:3], 0 offset:120
.LBB38_668:
	s_or_b64 exec, exec, s[6:7]
	buffer_load_dword v82, off, s[0:3], 0 offset:124
	v_cmp_gt_u32_e32 vcc, 31, v0
	s_waitcnt vmcnt(0)
	ds_write_b32 v80, v82
	s_waitcnt lgkmcnt(0)
	; wave barrier
	s_and_saveexec_b64 s[6:7], vcc
	s_cbranch_execz .LBB38_678
; %bb.669:
	s_and_b64 vcc, exec, s[4:5]
	s_cbranch_vccnz .LBB38_671
; %bb.670:
	buffer_load_dword v82, v81, s[0:3], 0 offen
	ds_read_b32 v83, v80
	s_waitcnt vmcnt(0) lgkmcnt(0)
	v_mul_f32_e32 v82, v82, v83
	s_cbranch_execz .LBB38_672
	s_branch .LBB38_673
.LBB38_671:
                                        ; implicit-def: $vgpr82
.LBB38_672:
	ds_read_b32 v82, v80
.LBB38_673:
	v_cmp_ne_u32_e32 vcc, 30, v0
	s_and_saveexec_b64 s[8:9], vcc
	s_cbranch_execz .LBB38_677
; %bb.674:
	s_mov_b32 s10, 0
	v_add_u32_e32 v83, 0xa4, v79
	v_add3_u32 v84, v79, s10, 4
	s_mov_b64 s[10:11], 0
	v_mov_b32_e32 v85, v0
.LBB38_675:                             ; =>This Inner Loop Header: Depth=1
	buffer_load_dword v86, v84, s[0:3], 0 offen
	ds_read_b32 v87, v83
	v_add_u32_e32 v85, 1, v85
	v_cmp_lt_u32_e32 vcc, 29, v85
	v_add_u32_e32 v83, 4, v83
	v_add_u32_e32 v84, 4, v84
	s_or_b64 s[10:11], vcc, s[10:11]
	s_waitcnt vmcnt(0) lgkmcnt(0)
	v_fmac_f32_e32 v82, v86, v87
	s_andn2_b64 exec, exec, s[10:11]
	s_cbranch_execnz .LBB38_675
; %bb.676:
	s_or_b64 exec, exec, s[10:11]
.LBB38_677:
	s_or_b64 exec, exec, s[8:9]
	v_mov_b32_e32 v83, 0
	ds_read_b32 v83, v83 offset:124
	s_waitcnt lgkmcnt(0)
	v_mul_f32_e32 v82, v82, v83
	buffer_store_dword v82, off, s[0:3], 0 offset:124
.LBB38_678:
	s_or_b64 exec, exec, s[6:7]
	buffer_load_dword v82, off, s[0:3], 0 offset:128
	v_cmp_gt_u32_e32 vcc, 32, v0
	s_waitcnt vmcnt(0)
	ds_write_b32 v80, v82
	s_waitcnt lgkmcnt(0)
	; wave barrier
	s_and_saveexec_b64 s[6:7], vcc
	s_cbranch_execz .LBB38_688
; %bb.679:
	s_and_b64 vcc, exec, s[4:5]
	s_cbranch_vccnz .LBB38_681
; %bb.680:
	buffer_load_dword v82, v81, s[0:3], 0 offen
	ds_read_b32 v83, v80
	s_waitcnt vmcnt(0) lgkmcnt(0)
	v_mul_f32_e32 v82, v82, v83
	s_cbranch_execz .LBB38_682
	s_branch .LBB38_683
.LBB38_681:
                                        ; implicit-def: $vgpr82
.LBB38_682:
	ds_read_b32 v82, v80
.LBB38_683:
	v_cmp_ne_u32_e32 vcc, 31, v0
	s_and_saveexec_b64 s[8:9], vcc
	s_cbranch_execz .LBB38_687
; %bb.684:
	s_mov_b32 s10, 0
	v_add_u32_e32 v83, 0xa4, v79
	v_add3_u32 v84, v79, s10, 4
	s_mov_b64 s[10:11], 0
	v_mov_b32_e32 v85, v0
.LBB38_685:                             ; =>This Inner Loop Header: Depth=1
	buffer_load_dword v86, v84, s[0:3], 0 offen
	ds_read_b32 v87, v83
	v_add_u32_e32 v85, 1, v85
	v_cmp_lt_u32_e32 vcc, 30, v85
	v_add_u32_e32 v83, 4, v83
	v_add_u32_e32 v84, 4, v84
	s_or_b64 s[10:11], vcc, s[10:11]
	s_waitcnt vmcnt(0) lgkmcnt(0)
	v_fmac_f32_e32 v82, v86, v87
	s_andn2_b64 exec, exec, s[10:11]
	s_cbranch_execnz .LBB38_685
; %bb.686:
	s_or_b64 exec, exec, s[10:11]
.LBB38_687:
	s_or_b64 exec, exec, s[8:9]
	v_mov_b32_e32 v83, 0
	ds_read_b32 v83, v83 offset:128
	s_waitcnt lgkmcnt(0)
	v_mul_f32_e32 v82, v82, v83
	buffer_store_dword v82, off, s[0:3], 0 offset:128
.LBB38_688:
	s_or_b64 exec, exec, s[6:7]
	buffer_load_dword v82, off, s[0:3], 0 offset:132
	v_cmp_gt_u32_e32 vcc, 33, v0
	s_waitcnt vmcnt(0)
	ds_write_b32 v80, v82
	s_waitcnt lgkmcnt(0)
	; wave barrier
	s_and_saveexec_b64 s[6:7], vcc
	s_cbranch_execz .LBB38_698
; %bb.689:
	s_and_b64 vcc, exec, s[4:5]
	s_cbranch_vccnz .LBB38_691
; %bb.690:
	buffer_load_dword v82, v81, s[0:3], 0 offen
	ds_read_b32 v83, v80
	s_waitcnt vmcnt(0) lgkmcnt(0)
	v_mul_f32_e32 v82, v82, v83
	s_cbranch_execz .LBB38_692
	s_branch .LBB38_693
.LBB38_691:
                                        ; implicit-def: $vgpr82
.LBB38_692:
	ds_read_b32 v82, v80
.LBB38_693:
	v_cmp_ne_u32_e32 vcc, 32, v0
	s_and_saveexec_b64 s[8:9], vcc
	s_cbranch_execz .LBB38_697
; %bb.694:
	s_mov_b32 s10, 0
	v_add_u32_e32 v83, 0xa4, v79
	v_add3_u32 v84, v79, s10, 4
	s_mov_b64 s[10:11], 0
	v_mov_b32_e32 v85, v0
.LBB38_695:                             ; =>This Inner Loop Header: Depth=1
	buffer_load_dword v86, v84, s[0:3], 0 offen
	ds_read_b32 v87, v83
	v_add_u32_e32 v85, 1, v85
	v_cmp_lt_u32_e32 vcc, 31, v85
	v_add_u32_e32 v83, 4, v83
	v_add_u32_e32 v84, 4, v84
	s_or_b64 s[10:11], vcc, s[10:11]
	s_waitcnt vmcnt(0) lgkmcnt(0)
	v_fmac_f32_e32 v82, v86, v87
	s_andn2_b64 exec, exec, s[10:11]
	s_cbranch_execnz .LBB38_695
; %bb.696:
	s_or_b64 exec, exec, s[10:11]
.LBB38_697:
	s_or_b64 exec, exec, s[8:9]
	v_mov_b32_e32 v83, 0
	ds_read_b32 v83, v83 offset:132
	s_waitcnt lgkmcnt(0)
	v_mul_f32_e32 v82, v82, v83
	buffer_store_dword v82, off, s[0:3], 0 offset:132
.LBB38_698:
	s_or_b64 exec, exec, s[6:7]
	buffer_load_dword v82, off, s[0:3], 0 offset:136
	v_cmp_gt_u32_e32 vcc, 34, v0
	s_waitcnt vmcnt(0)
	ds_write_b32 v80, v82
	s_waitcnt lgkmcnt(0)
	; wave barrier
	s_and_saveexec_b64 s[6:7], vcc
	s_cbranch_execz .LBB38_708
; %bb.699:
	s_and_b64 vcc, exec, s[4:5]
	s_cbranch_vccnz .LBB38_701
; %bb.700:
	buffer_load_dword v82, v81, s[0:3], 0 offen
	ds_read_b32 v83, v80
	s_waitcnt vmcnt(0) lgkmcnt(0)
	v_mul_f32_e32 v82, v82, v83
	s_cbranch_execz .LBB38_702
	s_branch .LBB38_703
.LBB38_701:
                                        ; implicit-def: $vgpr82
.LBB38_702:
	ds_read_b32 v82, v80
.LBB38_703:
	v_cmp_ne_u32_e32 vcc, 33, v0
	s_and_saveexec_b64 s[8:9], vcc
	s_cbranch_execz .LBB38_707
; %bb.704:
	s_mov_b32 s10, 0
	v_add_u32_e32 v83, 0xa4, v79
	v_add3_u32 v84, v79, s10, 4
	s_mov_b64 s[10:11], 0
	v_mov_b32_e32 v85, v0
.LBB38_705:                             ; =>This Inner Loop Header: Depth=1
	buffer_load_dword v86, v84, s[0:3], 0 offen
	ds_read_b32 v87, v83
	v_add_u32_e32 v85, 1, v85
	v_cmp_lt_u32_e32 vcc, 32, v85
	v_add_u32_e32 v83, 4, v83
	v_add_u32_e32 v84, 4, v84
	s_or_b64 s[10:11], vcc, s[10:11]
	s_waitcnt vmcnt(0) lgkmcnt(0)
	v_fmac_f32_e32 v82, v86, v87
	s_andn2_b64 exec, exec, s[10:11]
	s_cbranch_execnz .LBB38_705
; %bb.706:
	s_or_b64 exec, exec, s[10:11]
.LBB38_707:
	s_or_b64 exec, exec, s[8:9]
	v_mov_b32_e32 v83, 0
	ds_read_b32 v83, v83 offset:136
	s_waitcnt lgkmcnt(0)
	v_mul_f32_e32 v82, v82, v83
	buffer_store_dword v82, off, s[0:3], 0 offset:136
.LBB38_708:
	s_or_b64 exec, exec, s[6:7]
	buffer_load_dword v82, off, s[0:3], 0 offset:140
	v_cmp_gt_u32_e32 vcc, 35, v0
	s_waitcnt vmcnt(0)
	ds_write_b32 v80, v82
	s_waitcnt lgkmcnt(0)
	; wave barrier
	s_and_saveexec_b64 s[6:7], vcc
	s_cbranch_execz .LBB38_718
; %bb.709:
	s_and_b64 vcc, exec, s[4:5]
	s_cbranch_vccnz .LBB38_711
; %bb.710:
	buffer_load_dword v82, v81, s[0:3], 0 offen
	ds_read_b32 v83, v80
	s_waitcnt vmcnt(0) lgkmcnt(0)
	v_mul_f32_e32 v82, v82, v83
	s_cbranch_execz .LBB38_712
	s_branch .LBB38_713
.LBB38_711:
                                        ; implicit-def: $vgpr82
.LBB38_712:
	ds_read_b32 v82, v80
.LBB38_713:
	v_cmp_ne_u32_e32 vcc, 34, v0
	s_and_saveexec_b64 s[8:9], vcc
	s_cbranch_execz .LBB38_717
; %bb.714:
	s_mov_b32 s10, 0
	v_add_u32_e32 v83, 0xa4, v79
	v_add3_u32 v84, v79, s10, 4
	s_mov_b64 s[10:11], 0
	v_mov_b32_e32 v85, v0
.LBB38_715:                             ; =>This Inner Loop Header: Depth=1
	buffer_load_dword v86, v84, s[0:3], 0 offen
	ds_read_b32 v87, v83
	v_add_u32_e32 v85, 1, v85
	v_cmp_lt_u32_e32 vcc, 33, v85
	v_add_u32_e32 v83, 4, v83
	v_add_u32_e32 v84, 4, v84
	s_or_b64 s[10:11], vcc, s[10:11]
	s_waitcnt vmcnt(0) lgkmcnt(0)
	v_fmac_f32_e32 v82, v86, v87
	s_andn2_b64 exec, exec, s[10:11]
	s_cbranch_execnz .LBB38_715
; %bb.716:
	s_or_b64 exec, exec, s[10:11]
.LBB38_717:
	s_or_b64 exec, exec, s[8:9]
	v_mov_b32_e32 v83, 0
	ds_read_b32 v83, v83 offset:140
	s_waitcnt lgkmcnt(0)
	v_mul_f32_e32 v82, v82, v83
	buffer_store_dword v82, off, s[0:3], 0 offset:140
.LBB38_718:
	s_or_b64 exec, exec, s[6:7]
	buffer_load_dword v82, off, s[0:3], 0 offset:144
	v_cmp_gt_u32_e32 vcc, 36, v0
	s_waitcnt vmcnt(0)
	ds_write_b32 v80, v82
	s_waitcnt lgkmcnt(0)
	; wave barrier
	s_and_saveexec_b64 s[6:7], vcc
	s_cbranch_execz .LBB38_728
; %bb.719:
	s_and_b64 vcc, exec, s[4:5]
	s_cbranch_vccnz .LBB38_721
; %bb.720:
	buffer_load_dword v82, v81, s[0:3], 0 offen
	ds_read_b32 v83, v80
	s_waitcnt vmcnt(0) lgkmcnt(0)
	v_mul_f32_e32 v82, v82, v83
	s_cbranch_execz .LBB38_722
	s_branch .LBB38_723
.LBB38_721:
                                        ; implicit-def: $vgpr82
.LBB38_722:
	ds_read_b32 v82, v80
.LBB38_723:
	v_cmp_ne_u32_e32 vcc, 35, v0
	s_and_saveexec_b64 s[8:9], vcc
	s_cbranch_execz .LBB38_727
; %bb.724:
	s_mov_b32 s10, 0
	v_add_u32_e32 v83, 0xa4, v79
	v_add3_u32 v84, v79, s10, 4
	s_mov_b64 s[10:11], 0
	v_mov_b32_e32 v85, v0
.LBB38_725:                             ; =>This Inner Loop Header: Depth=1
	buffer_load_dword v86, v84, s[0:3], 0 offen
	ds_read_b32 v87, v83
	v_add_u32_e32 v85, 1, v85
	v_cmp_lt_u32_e32 vcc, 34, v85
	v_add_u32_e32 v83, 4, v83
	v_add_u32_e32 v84, 4, v84
	s_or_b64 s[10:11], vcc, s[10:11]
	s_waitcnt vmcnt(0) lgkmcnt(0)
	v_fmac_f32_e32 v82, v86, v87
	s_andn2_b64 exec, exec, s[10:11]
	s_cbranch_execnz .LBB38_725
; %bb.726:
	s_or_b64 exec, exec, s[10:11]
.LBB38_727:
	s_or_b64 exec, exec, s[8:9]
	v_mov_b32_e32 v83, 0
	ds_read_b32 v83, v83 offset:144
	s_waitcnt lgkmcnt(0)
	v_mul_f32_e32 v82, v82, v83
	buffer_store_dword v82, off, s[0:3], 0 offset:144
.LBB38_728:
	s_or_b64 exec, exec, s[6:7]
	buffer_load_dword v82, off, s[0:3], 0 offset:148
	v_cmp_gt_u32_e64 s[6:7], 37, v0
	s_waitcnt vmcnt(0)
	ds_write_b32 v80, v82
	s_waitcnt lgkmcnt(0)
	; wave barrier
	s_and_saveexec_b64 s[8:9], s[6:7]
	s_cbranch_execz .LBB38_738
; %bb.729:
	s_and_b64 vcc, exec, s[4:5]
	s_cbranch_vccnz .LBB38_731
; %bb.730:
	buffer_load_dword v82, v81, s[0:3], 0 offen
	ds_read_b32 v83, v80
	s_waitcnt vmcnt(0) lgkmcnt(0)
	v_mul_f32_e32 v82, v82, v83
	s_cbranch_execz .LBB38_732
	s_branch .LBB38_733
.LBB38_731:
                                        ; implicit-def: $vgpr82
.LBB38_732:
	ds_read_b32 v82, v80
.LBB38_733:
	v_cmp_ne_u32_e32 vcc, 36, v0
	s_and_saveexec_b64 s[10:11], vcc
	s_cbranch_execz .LBB38_737
; %bb.734:
	s_mov_b32 s12, 0
	v_add_u32_e32 v83, 0xa4, v79
	v_add3_u32 v84, v79, s12, 4
	s_mov_b64 s[12:13], 0
	v_mov_b32_e32 v85, v0
.LBB38_735:                             ; =>This Inner Loop Header: Depth=1
	buffer_load_dword v86, v84, s[0:3], 0 offen
	ds_read_b32 v87, v83
	v_add_u32_e32 v85, 1, v85
	v_cmp_lt_u32_e32 vcc, 35, v85
	v_add_u32_e32 v83, 4, v83
	v_add_u32_e32 v84, 4, v84
	s_or_b64 s[12:13], vcc, s[12:13]
	s_waitcnt vmcnt(0) lgkmcnt(0)
	v_fmac_f32_e32 v82, v86, v87
	s_andn2_b64 exec, exec, s[12:13]
	s_cbranch_execnz .LBB38_735
; %bb.736:
	s_or_b64 exec, exec, s[12:13]
.LBB38_737:
	s_or_b64 exec, exec, s[10:11]
	v_mov_b32_e32 v83, 0
	ds_read_b32 v83, v83 offset:148
	s_waitcnt lgkmcnt(0)
	v_mul_f32_e32 v82, v82, v83
	buffer_store_dword v82, off, s[0:3], 0 offset:148
.LBB38_738:
	s_or_b64 exec, exec, s[8:9]
	buffer_load_dword v82, off, s[0:3], 0 offset:152
	v_cmp_ne_u32_e32 vcc, 38, v0
	s_waitcnt vmcnt(0)
	ds_write_b32 v80, v82
	s_waitcnt lgkmcnt(0)
	; wave barrier
	s_and_saveexec_b64 s[8:9], vcc
	s_cbranch_execz .LBB38_748
; %bb.739:
	s_and_b64 vcc, exec, s[4:5]
	s_cbranch_vccnz .LBB38_741
; %bb.740:
	buffer_load_dword v81, v81, s[0:3], 0 offen
	ds_read_b32 v82, v80
	s_waitcnt vmcnt(0) lgkmcnt(0)
	v_mul_f32_e32 v81, v81, v82
	s_cbranch_execz .LBB38_742
	s_branch .LBB38_743
.LBB38_741:
                                        ; implicit-def: $vgpr81
.LBB38_742:
	ds_read_b32 v81, v80
.LBB38_743:
	s_and_saveexec_b64 s[4:5], s[6:7]
	s_cbranch_execz .LBB38_747
; %bb.744:
	s_mov_b32 s6, 0
	v_add_u32_e32 v80, 0xa4, v79
	v_add3_u32 v79, v79, s6, 4
	s_mov_b64 s[6:7], 0
.LBB38_745:                             ; =>This Inner Loop Header: Depth=1
	buffer_load_dword v82, v79, s[0:3], 0 offen
	ds_read_b32 v83, v80
	v_add_u32_e32 v0, 1, v0
	v_cmp_lt_u32_e32 vcc, 36, v0
	v_add_u32_e32 v80, 4, v80
	v_add_u32_e32 v79, 4, v79
	s_or_b64 s[6:7], vcc, s[6:7]
	s_waitcnt vmcnt(0) lgkmcnt(0)
	v_fmac_f32_e32 v81, v82, v83
	s_andn2_b64 exec, exec, s[6:7]
	s_cbranch_execnz .LBB38_745
; %bb.746:
	s_or_b64 exec, exec, s[6:7]
.LBB38_747:
	s_or_b64 exec, exec, s[4:5]
	v_mov_b32_e32 v0, 0
	ds_read_b32 v0, v0 offset:152
	s_waitcnt lgkmcnt(0)
	v_mul_f32_e32 v0, v81, v0
	buffer_store_dword v0, off, s[0:3], 0 offset:152
.LBB38_748:
	s_or_b64 exec, exec, s[8:9]
.LBB38_749:
	buffer_load_dword v0, off, s[0:3], 0
	buffer_load_dword v79, off, s[0:3], 0 offset:4
	buffer_load_dword v80, off, s[0:3], 0 offset:8
	;; [unrolled: 1-line block ×38, first 2 shown]
	s_waitcnt vmcnt(38)
	global_store_dword v[1:2], v0, off
	s_waitcnt vmcnt(38)
	global_store_dword v[3:4], v79, off
	s_waitcnt vmcnt(38)
	global_store_dword v[5:6], v80, off
	s_waitcnt vmcnt(38)
	global_store_dword v[7:8], v81, off
	s_waitcnt vmcnt(38)
	global_store_dword v[9:10], v82, off
	s_waitcnt vmcnt(38)
	global_store_dword v[11:12], v83, off
	s_waitcnt vmcnt(38)
	global_store_dword v[13:14], v84, off
	s_waitcnt vmcnt(38)
	global_store_dword v[15:16], v85, off
	s_waitcnt vmcnt(38)
	global_store_dword v[17:18], v86, off
	s_waitcnt vmcnt(38)
	global_store_dword v[19:20], v87, off
	s_waitcnt vmcnt(38)
	global_store_dword v[21:22], v88, off
	s_waitcnt vmcnt(38)
	global_store_dword v[23:24], v89, off
	s_waitcnt vmcnt(38)
	global_store_dword v[25:26], v90, off
	s_waitcnt vmcnt(38)
	global_store_dword v[27:28], v91, off
	s_waitcnt vmcnt(38)
	global_store_dword v[29:30], v92, off
	s_waitcnt vmcnt(38)
	global_store_dword v[31:32], v93, off
	s_waitcnt vmcnt(38)
	global_store_dword v[33:34], v94, off
	s_waitcnt vmcnt(38)
	global_store_dword v[35:36], v95, off
	s_waitcnt vmcnt(38)
	global_store_dword v[37:38], v96, off
	s_waitcnt vmcnt(38)
	global_store_dword v[39:40], v97, off
	s_waitcnt vmcnt(38)
	global_store_dword v[41:42], v98, off
	s_waitcnt vmcnt(38)
	global_store_dword v[43:44], v99, off
	s_waitcnt vmcnt(38)
	global_store_dword v[45:46], v100, off
	s_waitcnt vmcnt(38)
	global_store_dword v[47:48], v101, off
	s_waitcnt vmcnt(38)
	global_store_dword v[49:50], v102, off
	s_waitcnt vmcnt(38)
	global_store_dword v[51:52], v103, off
	s_waitcnt vmcnt(38)
	global_store_dword v[53:54], v104, off
	s_waitcnt vmcnt(38)
	global_store_dword v[55:56], v105, off
	s_waitcnt vmcnt(38)
	global_store_dword v[57:58], v106, off
	s_waitcnt vmcnt(38)
	global_store_dword v[59:60], v107, off
	s_waitcnt vmcnt(38)
	global_store_dword v[61:62], v108, off
	s_waitcnt vmcnt(38)
	global_store_dword v[63:64], v109, off
	s_waitcnt vmcnt(38)
	global_store_dword v[65:66], v110, off
	s_waitcnt vmcnt(38)
	global_store_dword v[67:68], v111, off
	s_waitcnt vmcnt(38)
	global_store_dword v[69:70], v112, off
	s_waitcnt vmcnt(38)
	global_store_dword v[71:72], v113, off
	s_waitcnt vmcnt(38)
	global_store_dword v[73:74], v114, off
	s_waitcnt vmcnt(38)
	global_store_dword v[75:76], v115, off
	s_waitcnt vmcnt(38)
	global_store_dword v[77:78], v116, off
.LBB38_750:
	s_endpgm
	.section	.rodata,"a",@progbits
	.p2align	6, 0x0
	.amdhsa_kernel _ZN9rocsolver6v33100L18trti2_kernel_smallILi39EfPfEEv13rocblas_fill_17rocblas_diagonal_T1_iil
		.amdhsa_group_segment_fixed_size 316
		.amdhsa_private_segment_fixed_size 160
		.amdhsa_kernarg_size 32
		.amdhsa_user_sgpr_count 6
		.amdhsa_user_sgpr_private_segment_buffer 1
		.amdhsa_user_sgpr_dispatch_ptr 0
		.amdhsa_user_sgpr_queue_ptr 0
		.amdhsa_user_sgpr_kernarg_segment_ptr 1
		.amdhsa_user_sgpr_dispatch_id 0
		.amdhsa_user_sgpr_flat_scratch_init 0
		.amdhsa_user_sgpr_private_segment_size 0
		.amdhsa_uses_dynamic_stack 0
		.amdhsa_system_sgpr_private_segment_wavefront_offset 1
		.amdhsa_system_sgpr_workgroup_id_x 1
		.amdhsa_system_sgpr_workgroup_id_y 0
		.amdhsa_system_sgpr_workgroup_id_z 0
		.amdhsa_system_sgpr_workgroup_info 0
		.amdhsa_system_vgpr_workitem_id 0
		.amdhsa_next_free_vgpr 119
		.amdhsa_next_free_sgpr 52
		.amdhsa_reserve_vcc 1
		.amdhsa_reserve_flat_scratch 0
		.amdhsa_float_round_mode_32 0
		.amdhsa_float_round_mode_16_64 0
		.amdhsa_float_denorm_mode_32 3
		.amdhsa_float_denorm_mode_16_64 3
		.amdhsa_dx10_clamp 1
		.amdhsa_ieee_mode 1
		.amdhsa_fp16_overflow 0
		.amdhsa_exception_fp_ieee_invalid_op 0
		.amdhsa_exception_fp_denorm_src 0
		.amdhsa_exception_fp_ieee_div_zero 0
		.amdhsa_exception_fp_ieee_overflow 0
		.amdhsa_exception_fp_ieee_underflow 0
		.amdhsa_exception_fp_ieee_inexact 0
		.amdhsa_exception_int_div_zero 0
	.end_amdhsa_kernel
	.section	.text._ZN9rocsolver6v33100L18trti2_kernel_smallILi39EfPfEEv13rocblas_fill_17rocblas_diagonal_T1_iil,"axG",@progbits,_ZN9rocsolver6v33100L18trti2_kernel_smallILi39EfPfEEv13rocblas_fill_17rocblas_diagonal_T1_iil,comdat
.Lfunc_end38:
	.size	_ZN9rocsolver6v33100L18trti2_kernel_smallILi39EfPfEEv13rocblas_fill_17rocblas_diagonal_T1_iil, .Lfunc_end38-_ZN9rocsolver6v33100L18trti2_kernel_smallILi39EfPfEEv13rocblas_fill_17rocblas_diagonal_T1_iil
                                        ; -- End function
	.set _ZN9rocsolver6v33100L18trti2_kernel_smallILi39EfPfEEv13rocblas_fill_17rocblas_diagonal_T1_iil.num_vgpr, 119
	.set _ZN9rocsolver6v33100L18trti2_kernel_smallILi39EfPfEEv13rocblas_fill_17rocblas_diagonal_T1_iil.num_agpr, 0
	.set _ZN9rocsolver6v33100L18trti2_kernel_smallILi39EfPfEEv13rocblas_fill_17rocblas_diagonal_T1_iil.numbered_sgpr, 52
	.set _ZN9rocsolver6v33100L18trti2_kernel_smallILi39EfPfEEv13rocblas_fill_17rocblas_diagonal_T1_iil.num_named_barrier, 0
	.set _ZN9rocsolver6v33100L18trti2_kernel_smallILi39EfPfEEv13rocblas_fill_17rocblas_diagonal_T1_iil.private_seg_size, 160
	.set _ZN9rocsolver6v33100L18trti2_kernel_smallILi39EfPfEEv13rocblas_fill_17rocblas_diagonal_T1_iil.uses_vcc, 1
	.set _ZN9rocsolver6v33100L18trti2_kernel_smallILi39EfPfEEv13rocblas_fill_17rocblas_diagonal_T1_iil.uses_flat_scratch, 0
	.set _ZN9rocsolver6v33100L18trti2_kernel_smallILi39EfPfEEv13rocblas_fill_17rocblas_diagonal_T1_iil.has_dyn_sized_stack, 0
	.set _ZN9rocsolver6v33100L18trti2_kernel_smallILi39EfPfEEv13rocblas_fill_17rocblas_diagonal_T1_iil.has_recursion, 0
	.set _ZN9rocsolver6v33100L18trti2_kernel_smallILi39EfPfEEv13rocblas_fill_17rocblas_diagonal_T1_iil.has_indirect_call, 0
	.section	.AMDGPU.csdata,"",@progbits
; Kernel info:
; codeLenInByte = 18840
; TotalNumSgprs: 56
; NumVgprs: 119
; ScratchSize: 160
; MemoryBound: 0
; FloatMode: 240
; IeeeMode: 1
; LDSByteSize: 316 bytes/workgroup (compile time only)
; SGPRBlocks: 6
; VGPRBlocks: 29
; NumSGPRsForWavesPerEU: 56
; NumVGPRsForWavesPerEU: 119
; Occupancy: 2
; WaveLimiterHint : 0
; COMPUTE_PGM_RSRC2:SCRATCH_EN: 1
; COMPUTE_PGM_RSRC2:USER_SGPR: 6
; COMPUTE_PGM_RSRC2:TRAP_HANDLER: 0
; COMPUTE_PGM_RSRC2:TGID_X_EN: 1
; COMPUTE_PGM_RSRC2:TGID_Y_EN: 0
; COMPUTE_PGM_RSRC2:TGID_Z_EN: 0
; COMPUTE_PGM_RSRC2:TIDIG_COMP_CNT: 0
	.section	.text._ZN9rocsolver6v33100L18trti2_kernel_smallILi40EfPfEEv13rocblas_fill_17rocblas_diagonal_T1_iil,"axG",@progbits,_ZN9rocsolver6v33100L18trti2_kernel_smallILi40EfPfEEv13rocblas_fill_17rocblas_diagonal_T1_iil,comdat
	.globl	_ZN9rocsolver6v33100L18trti2_kernel_smallILi40EfPfEEv13rocblas_fill_17rocblas_diagonal_T1_iil ; -- Begin function _ZN9rocsolver6v33100L18trti2_kernel_smallILi40EfPfEEv13rocblas_fill_17rocblas_diagonal_T1_iil
	.p2align	8
	.type	_ZN9rocsolver6v33100L18trti2_kernel_smallILi40EfPfEEv13rocblas_fill_17rocblas_diagonal_T1_iil,@function
_ZN9rocsolver6v33100L18trti2_kernel_smallILi40EfPfEEv13rocblas_fill_17rocblas_diagonal_T1_iil: ; @_ZN9rocsolver6v33100L18trti2_kernel_smallILi40EfPfEEv13rocblas_fill_17rocblas_diagonal_T1_iil
; %bb.0:
	s_add_u32 s0, s0, s7
	s_addc_u32 s1, s1, 0
	v_cmp_gt_u32_e32 vcc, 40, v0
	s_and_saveexec_b64 s[8:9], vcc
	s_cbranch_execz .LBB39_770
; %bb.1:
	s_load_dwordx8 s[8:15], s[4:5], 0x0
	s_ashr_i32 s7, s6, 31
	v_lshlrev_b32_e32 v81, 2, v0
	s_waitcnt lgkmcnt(0)
	s_ashr_i32 s5, s12, 31
	s_mov_b32 s4, s12
	s_mul_hi_u32 s12, s14, s6
	s_mul_i32 s7, s14, s7
	s_add_i32 s7, s12, s7
	s_mul_i32 s12, s15, s6
	s_add_i32 s7, s7, s12
	s_mul_i32 s6, s14, s6
	s_lshl_b64 s[6:7], s[6:7], 2
	s_add_u32 s6, s10, s6
	s_addc_u32 s7, s11, s7
	s_lshl_b64 s[4:5], s[4:5], 2
	s_add_u32 s4, s6, s4
	s_addc_u32 s5, s7, s5
	v_mov_b32_e32 v2, s5
	v_add_co_u32_e32 v1, vcc, s4, v81
	s_ashr_i32 s7, s13, 31
	s_mov_b32 s6, s13
	v_addc_co_u32_e32 v2, vcc, 0, v2, vcc
	s_lshl_b64 s[6:7], s[6:7], 2
	v_add_co_u32_e32 v3, vcc, s6, v1
	s_add_i32 s6, s13, s13
	v_add_u32_e32 v7, s6, v0
	v_ashrrev_i32_e32 v8, 31, v7
	v_mov_b32_e32 v4, s7
	v_lshlrev_b64 v[5:6], 2, v[7:8]
	v_addc_co_u32_e32 v4, vcc, v2, v4, vcc
	v_add_u32_e32 v9, s13, v7
	v_mov_b32_e32 v8, s5
	v_add_co_u32_e32 v5, vcc, s4, v5
	v_ashrrev_i32_e32 v10, 31, v9
	v_addc_co_u32_e32 v6, vcc, v8, v6, vcc
	v_lshlrev_b64 v[7:8], 2, v[9:10]
	v_add_u32_e32 v11, s13, v9
	v_mov_b32_e32 v10, s5
	v_add_co_u32_e32 v7, vcc, s4, v7
	v_ashrrev_i32_e32 v12, 31, v11
	v_addc_co_u32_e32 v8, vcc, v10, v8, vcc
	v_lshlrev_b64 v[9:10], 2, v[11:12]
	;; [unrolled: 6-line block ×36, first 2 shown]
	v_mov_b32_e32 v80, s5
	v_add_co_u32_e32 v77, vcc, s4, v77
	v_add_u32_e32 v79, s13, v79
	v_addc_co_u32_e32 v78, vcc, v80, v78, vcc
	v_ashrrev_i32_e32 v80, 31, v79
	v_lshlrev_b64 v[79:80], 2, v[79:80]
	global_load_dword v82, v81, s[4:5]
	global_load_dword v83, v[3:4], off
	global_load_dword v84, v[5:6], off
	;; [unrolled: 1-line block ×32, first 2 shown]
	v_mov_b32_e32 v115, s5
	v_add_co_u32_e32 v79, vcc, s4, v79
	v_addc_co_u32_e32 v80, vcc, v115, v80, vcc
	global_load_dword v115, v[67:68], off
	global_load_dword v116, v[69:70], off
	;; [unrolled: 1-line block ×7, first 2 shown]
	s_cmpk_lg_i32 s9, 0x84
	s_waitcnt vmcnt(39)
	buffer_store_dword v82, off, s[0:3], 0
	s_waitcnt vmcnt(39)
	buffer_store_dword v83, off, s[0:3], 0 offset:4
	s_waitcnt vmcnt(39)
	buffer_store_dword v84, off, s[0:3], 0 offset:8
	;; [unrolled: 2-line block ×32, first 2 shown]
	s_movk_i32 s12, 0x84
	s_cselect_b64 s[10:11], -1, 0
	s_cmpk_eq_i32 s9, 0x84
	v_mov_b32_e32 v82, -1.0
	s_waitcnt vmcnt(39)
	buffer_store_dword v115, off, s[0:3], 0 offset:132
	s_waitcnt vmcnt(39)
	buffer_store_dword v116, off, s[0:3], 0 offset:136
	;; [unrolled: 2-line block ×7, first 2 shown]
	s_cbranch_scc1 .LBB39_3
; %bb.2:
	v_mov_b32_e32 v82, 0
	v_lshl_add_u32 v82, v0, 2, v82
	buffer_load_dword v83, v82, s[0:3], 0 offen
	s_waitcnt vmcnt(0)
	v_div_scale_f32 v84, s[4:5], v83, v83, 1.0
	v_div_scale_f32 v85, vcc, 1.0, v83, 1.0
	v_rcp_f32_e32 v86, v84
	v_fma_f32 v87, -v84, v86, 1.0
	v_fmac_f32_e32 v86, v87, v86
	v_mul_f32_e32 v87, v85, v86
	v_fma_f32 v88, -v84, v87, v85
	v_fmac_f32_e32 v87, v88, v86
	v_fma_f32 v84, -v84, v87, v85
	v_div_fmas_f32 v84, v84, v86, v87
	v_div_fixup_f32 v83, v84, v83, 1.0
	buffer_store_dword v83, v82, s[0:3], 0 offen
	v_xor_b32_e32 v82, 0x80000000, v83
.LBB39_3:
	ds_write_b32 v81, v82
	s_cmpk_eq_i32 s8, 0x79
	v_add_u32_e32 v82, 0xa0, v81
	v_mov_b32_e32 v83, v81
	s_mov_b64 s[4:5], -1
	s_cbranch_scc1 .LBB39_387
; %bb.4:
	buffer_load_dword v84, off, s[0:3], 0 offset:152
	s_movk_i32 s30, 0x44
	s_movk_i32 s31, 0x48
	;; [unrolled: 1-line block ×20, first 2 shown]
	v_cmp_eq_u32_e64 s[4:5], 39, v0
	s_waitcnt vmcnt(0)
	ds_write_b32 v82, v84
	s_waitcnt lgkmcnt(0)
	; wave barrier
	s_and_saveexec_b64 s[6:7], s[4:5]
	s_cbranch_execz .LBB39_10
; %bb.5:
	s_and_b64 vcc, exec, s[10:11]
	s_cbranch_vccz .LBB39_7
; %bb.6:
	buffer_load_dword v84, v83, s[0:3], 0 offen
	ds_read_b32 v85, v82
	s_waitcnt vmcnt(0) lgkmcnt(0)
	v_mul_f32_e32 v84, v84, v85
	s_cbranch_execz .LBB39_8
	s_branch .LBB39_9
.LBB39_7:
                                        ; implicit-def: $vgpr84
.LBB39_8:
	ds_read_b32 v84, v82
.LBB39_9:
	v_mov_b32_e32 v85, 0
	ds_read_b32 v85, v85 offset:152
	s_waitcnt lgkmcnt(0)
	v_mul_f32_e32 v84, v84, v85
	buffer_store_dword v84, off, s[0:3], 0 offset:152
.LBB39_10:
	s_or_b64 exec, exec, s[6:7]
	buffer_load_dword v84, off, s[0:3], 0 offset:148
	s_or_b32 s14, 0, 4
	s_or_b32 s15, 0, 8
	;; [unrolled: 1-line block ×3, first 2 shown]
	s_mov_b32 s17, 16
	s_mov_b32 s18, 20
	;; [unrolled: 1-line block ×15, first 2 shown]
	v_cmp_lt_u32_e64 s[6:7], 37, v0
	s_waitcnt vmcnt(0)
	ds_write_b32 v82, v84
	s_waitcnt lgkmcnt(0)
	; wave barrier
	s_and_saveexec_b64 s[8:9], s[6:7]
	s_cbranch_execz .LBB39_16
; %bb.11:
	s_andn2_b64 vcc, exec, s[10:11]
	s_cbranch_vccnz .LBB39_13
; %bb.12:
	buffer_load_dword v84, v83, s[0:3], 0 offen
	ds_read_b32 v85, v82
	s_waitcnt vmcnt(0) lgkmcnt(0)
	v_mul_f32_e32 v84, v84, v85
	s_cbranch_execz .LBB39_14
	s_branch .LBB39_15
.LBB39_13:
                                        ; implicit-def: $vgpr84
.LBB39_14:
	ds_read_b32 v84, v82
.LBB39_15:
	buffer_load_dword v87, off, s[0:3], 0 offset:152
	v_mov_b32_e32 v85, 0
	ds_read2_b32 v[85:86], v85 offset0:37 offset1:78
	s_waitcnt vmcnt(0) lgkmcnt(0)
	v_fma_f32 v86, v87, v86, v84
	v_cndmask_b32_e64 v84, v84, v86, s[4:5]
	v_mul_f32_e32 v84, v84, v85
	buffer_store_dword v84, off, s[0:3], 0 offset:148
.LBB39_16:
	s_or_b64 exec, exec, s[8:9]
	buffer_load_dword v84, off, s[0:3], 0 offset:144
	v_cmp_lt_u32_e64 s[4:5], 36, v0
	s_waitcnt vmcnt(0)
	ds_write_b32 v82, v84
	s_waitcnt lgkmcnt(0)
	; wave barrier
	s_and_saveexec_b64 s[8:9], s[4:5]
	s_cbranch_execz .LBB39_26
; %bb.17:
	s_andn2_b64 vcc, exec, s[10:11]
	s_cbranch_vccnz .LBB39_19
; %bb.18:
	buffer_load_dword v84, v83, s[0:3], 0 offen
	ds_read_b32 v85, v82
	s_waitcnt vmcnt(0) lgkmcnt(0)
	v_mul_f32_e32 v84, v84, v85
	s_cbranch_execz .LBB39_20
	s_branch .LBB39_21
.LBB39_19:
                                        ; implicit-def: $vgpr84
.LBB39_20:
	ds_read_b32 v84, v82
.LBB39_21:
	s_and_saveexec_b64 s[12:13], s[6:7]
	s_cbranch_execz .LBB39_25
; %bb.22:
	v_subrev_u32_e32 v85, 37, v0
	s_movk_i32 s52, 0x134
	s_mov_b64 s[6:7], 0
.LBB39_23:                              ; =>This Inner Loop Header: Depth=1
	v_mov_b32_e32 v86, s51
	buffer_load_dword v86, v86, s[0:3], 0 offen
	v_mov_b32_e32 v87, s52
	ds_read_b32 v87, v87
	v_add_u32_e32 v85, -1, v85
	s_add_i32 s52, s52, 4
	s_add_i32 s51, s51, 4
	v_cmp_eq_u32_e32 vcc, 0, v85
	s_or_b64 s[6:7], vcc, s[6:7]
	s_waitcnt vmcnt(0) lgkmcnt(0)
	v_fmac_f32_e32 v84, v86, v87
	s_andn2_b64 exec, exec, s[6:7]
	s_cbranch_execnz .LBB39_23
; %bb.24:
	s_or_b64 exec, exec, s[6:7]
.LBB39_25:
	s_or_b64 exec, exec, s[12:13]
	v_mov_b32_e32 v85, 0
	ds_read_b32 v85, v85 offset:144
	s_waitcnt lgkmcnt(0)
	v_mul_f32_e32 v84, v84, v85
	buffer_store_dword v84, off, s[0:3], 0 offset:144
.LBB39_26:
	s_or_b64 exec, exec, s[8:9]
	buffer_load_dword v84, off, s[0:3], 0 offset:140
	v_cmp_lt_u32_e64 s[6:7], 35, v0
	s_waitcnt vmcnt(0)
	ds_write_b32 v82, v84
	s_waitcnt lgkmcnt(0)
	; wave barrier
	s_and_saveexec_b64 s[8:9], s[6:7]
	s_cbranch_execz .LBB39_36
; %bb.27:
	s_andn2_b64 vcc, exec, s[10:11]
	s_cbranch_vccnz .LBB39_29
; %bb.28:
	buffer_load_dword v84, v83, s[0:3], 0 offen
	ds_read_b32 v85, v82
	s_waitcnt vmcnt(0) lgkmcnt(0)
	v_mul_f32_e32 v84, v84, v85
	s_cbranch_execz .LBB39_30
	s_branch .LBB39_31
.LBB39_29:
                                        ; implicit-def: $vgpr84
.LBB39_30:
	ds_read_b32 v84, v82
.LBB39_31:
	s_and_saveexec_b64 s[12:13], s[4:5]
	s_cbranch_execz .LBB39_35
; %bb.32:
	v_subrev_u32_e32 v85, 36, v0
	s_movk_i32 s51, 0x130
	s_mov_b64 s[4:5], 0
.LBB39_33:                              ; =>This Inner Loop Header: Depth=1
	v_mov_b32_e32 v86, s50
	buffer_load_dword v86, v86, s[0:3], 0 offen
	v_mov_b32_e32 v87, s51
	ds_read_b32 v87, v87
	v_add_u32_e32 v85, -1, v85
	s_add_i32 s51, s51, 4
	s_add_i32 s50, s50, 4
	v_cmp_eq_u32_e32 vcc, 0, v85
	s_or_b64 s[4:5], vcc, s[4:5]
	s_waitcnt vmcnt(0) lgkmcnt(0)
	v_fmac_f32_e32 v84, v86, v87
	s_andn2_b64 exec, exec, s[4:5]
	s_cbranch_execnz .LBB39_33
; %bb.34:
	s_or_b64 exec, exec, s[4:5]
.LBB39_35:
	s_or_b64 exec, exec, s[12:13]
	v_mov_b32_e32 v85, 0
	ds_read_b32 v85, v85 offset:140
	s_waitcnt lgkmcnt(0)
	v_mul_f32_e32 v84, v84, v85
	buffer_store_dword v84, off, s[0:3], 0 offset:140
.LBB39_36:
	;; [unrolled: 54-line block ×8, first 2 shown]
	s_or_b64 exec, exec, s[8:9]
	buffer_load_dword v84, off, s[0:3], 0 offset:112
	v_cmp_lt_u32_e64 s[4:5], 28, v0
	s_waitcnt vmcnt(0)
	ds_write_b32 v82, v84
	s_waitcnt lgkmcnt(0)
	; wave barrier
	s_and_saveexec_b64 s[8:9], s[4:5]
	s_cbranch_execz .LBB39_106
; %bb.97:
	s_andn2_b64 vcc, exec, s[10:11]
	s_cbranch_vccnz .LBB39_99
; %bb.98:
	buffer_load_dword v84, v83, s[0:3], 0 offen
	ds_read_b32 v85, v82
	s_waitcnt vmcnt(0) lgkmcnt(0)
	v_mul_f32_e32 v84, v84, v85
	s_cbranch_execz .LBB39_100
	s_branch .LBB39_101
.LBB39_99:
                                        ; implicit-def: $vgpr84
.LBB39_100:
	ds_read_b32 v84, v82
.LBB39_101:
	s_and_saveexec_b64 s[12:13], s[6:7]
	s_cbranch_execz .LBB39_105
; %bb.102:
	v_subrev_u32_e32 v85, 29, v0
	s_movk_i32 s44, 0x114
	s_mov_b64 s[6:7], 0
.LBB39_103:                             ; =>This Inner Loop Header: Depth=1
	v_mov_b32_e32 v86, s43
	buffer_load_dword v86, v86, s[0:3], 0 offen
	v_mov_b32_e32 v87, s44
	ds_read_b32 v87, v87
	v_add_u32_e32 v85, -1, v85
	s_add_i32 s44, s44, 4
	s_add_i32 s43, s43, 4
	v_cmp_eq_u32_e32 vcc, 0, v85
	s_or_b64 s[6:7], vcc, s[6:7]
	s_waitcnt vmcnt(0) lgkmcnt(0)
	v_fmac_f32_e32 v84, v86, v87
	s_andn2_b64 exec, exec, s[6:7]
	s_cbranch_execnz .LBB39_103
; %bb.104:
	s_or_b64 exec, exec, s[6:7]
.LBB39_105:
	s_or_b64 exec, exec, s[12:13]
	v_mov_b32_e32 v85, 0
	ds_read_b32 v85, v85 offset:112
	s_waitcnt lgkmcnt(0)
	v_mul_f32_e32 v84, v84, v85
	buffer_store_dword v84, off, s[0:3], 0 offset:112
.LBB39_106:
	s_or_b64 exec, exec, s[8:9]
	buffer_load_dword v84, off, s[0:3], 0 offset:108
	v_cmp_lt_u32_e64 s[6:7], 27, v0
	s_waitcnt vmcnt(0)
	ds_write_b32 v82, v84
	s_waitcnt lgkmcnt(0)
	; wave barrier
	s_and_saveexec_b64 s[8:9], s[6:7]
	s_cbranch_execz .LBB39_116
; %bb.107:
	s_andn2_b64 vcc, exec, s[10:11]
	s_cbranch_vccnz .LBB39_109
; %bb.108:
	buffer_load_dword v84, v83, s[0:3], 0 offen
	ds_read_b32 v85, v82
	s_waitcnt vmcnt(0) lgkmcnt(0)
	v_mul_f32_e32 v84, v84, v85
	s_cbranch_execz .LBB39_110
	s_branch .LBB39_111
.LBB39_109:
                                        ; implicit-def: $vgpr84
.LBB39_110:
	ds_read_b32 v84, v82
.LBB39_111:
	s_and_saveexec_b64 s[12:13], s[4:5]
	s_cbranch_execz .LBB39_115
; %bb.112:
	v_subrev_u32_e32 v85, 28, v0
	s_movk_i32 s43, 0x110
	s_mov_b64 s[4:5], 0
.LBB39_113:                             ; =>This Inner Loop Header: Depth=1
	v_mov_b32_e32 v86, s42
	buffer_load_dword v86, v86, s[0:3], 0 offen
	v_mov_b32_e32 v87, s43
	ds_read_b32 v87, v87
	v_add_u32_e32 v85, -1, v85
	s_add_i32 s43, s43, 4
	s_add_i32 s42, s42, 4
	v_cmp_eq_u32_e32 vcc, 0, v85
	s_or_b64 s[4:5], vcc, s[4:5]
	s_waitcnt vmcnt(0) lgkmcnt(0)
	v_fmac_f32_e32 v84, v86, v87
	s_andn2_b64 exec, exec, s[4:5]
	s_cbranch_execnz .LBB39_113
; %bb.114:
	s_or_b64 exec, exec, s[4:5]
.LBB39_115:
	s_or_b64 exec, exec, s[12:13]
	v_mov_b32_e32 v85, 0
	ds_read_b32 v85, v85 offset:108
	s_waitcnt lgkmcnt(0)
	v_mul_f32_e32 v84, v84, v85
	buffer_store_dword v84, off, s[0:3], 0 offset:108
.LBB39_116:
	;; [unrolled: 54-line block ×13, first 2 shown]
	s_or_b64 exec, exec, s[8:9]
	buffer_load_dword v84, off, s[0:3], 0 offset:60
	v_cmp_lt_u32_e64 s[6:7], 15, v0
	s_waitcnt vmcnt(0)
	ds_write_b32 v82, v84
	s_waitcnt lgkmcnt(0)
	; wave barrier
	s_and_saveexec_b64 s[8:9], s[6:7]
	s_cbranch_execz .LBB39_236
; %bb.227:
	s_andn2_b64 vcc, exec, s[10:11]
	s_cbranch_vccnz .LBB39_229
; %bb.228:
	buffer_load_dword v84, v83, s[0:3], 0 offen
	ds_read_b32 v85, v82
	s_waitcnt vmcnt(0) lgkmcnt(0)
	v_mul_f32_e32 v84, v84, v85
	s_cbranch_execz .LBB39_230
	s_branch .LBB39_231
.LBB39_229:
                                        ; implicit-def: $vgpr84
.LBB39_230:
	ds_read_b32 v84, v82
.LBB39_231:
	s_and_saveexec_b64 s[12:13], s[4:5]
	s_cbranch_execz .LBB39_235
; %bb.232:
	v_add_u32_e32 v85, -16, v0
	s_movk_i32 s30, 0xe0
	s_mov_b64 s[4:5], 0
.LBB39_233:                             ; =>This Inner Loop Header: Depth=1
	v_mov_b32_e32 v86, s29
	buffer_load_dword v86, v86, s[0:3], 0 offen
	v_mov_b32_e32 v87, s30
	ds_read_b32 v87, v87
	v_add_u32_e32 v85, -1, v85
	s_add_i32 s30, s30, 4
	s_add_i32 s29, s29, 4
	v_cmp_eq_u32_e32 vcc, 0, v85
	s_or_b64 s[4:5], vcc, s[4:5]
	s_waitcnt vmcnt(0) lgkmcnt(0)
	v_fmac_f32_e32 v84, v86, v87
	s_andn2_b64 exec, exec, s[4:5]
	s_cbranch_execnz .LBB39_233
; %bb.234:
	s_or_b64 exec, exec, s[4:5]
.LBB39_235:
	s_or_b64 exec, exec, s[12:13]
	v_mov_b32_e32 v85, 0
	ds_read_b32 v85, v85 offset:60
	s_waitcnt lgkmcnt(0)
	v_mul_f32_e32 v84, v84, v85
	buffer_store_dword v84, off, s[0:3], 0 offset:60
.LBB39_236:
	s_or_b64 exec, exec, s[8:9]
	buffer_load_dword v84, off, s[0:3], 0 offset:56
	v_cmp_lt_u32_e64 s[4:5], 14, v0
	s_waitcnt vmcnt(0)
	ds_write_b32 v82, v84
	s_waitcnt lgkmcnt(0)
	; wave barrier
	s_and_saveexec_b64 s[8:9], s[4:5]
	s_cbranch_execz .LBB39_246
; %bb.237:
	s_andn2_b64 vcc, exec, s[10:11]
	s_cbranch_vccnz .LBB39_239
; %bb.238:
	buffer_load_dword v84, v83, s[0:3], 0 offen
	ds_read_b32 v85, v82
	s_waitcnt vmcnt(0) lgkmcnt(0)
	v_mul_f32_e32 v84, v84, v85
	s_cbranch_execz .LBB39_240
	s_branch .LBB39_241
.LBB39_239:
                                        ; implicit-def: $vgpr84
.LBB39_240:
	ds_read_b32 v84, v82
.LBB39_241:
	s_and_saveexec_b64 s[12:13], s[6:7]
	s_cbranch_execz .LBB39_245
; %bb.242:
	v_add_u32_e32 v85, -15, v0
	s_movk_i32 s29, 0xdc
	s_mov_b64 s[6:7], 0
.LBB39_243:                             ; =>This Inner Loop Header: Depth=1
	v_mov_b32_e32 v86, s28
	buffer_load_dword v86, v86, s[0:3], 0 offen
	v_mov_b32_e32 v87, s29
	ds_read_b32 v87, v87
	v_add_u32_e32 v85, -1, v85
	s_add_i32 s29, s29, 4
	s_add_i32 s28, s28, 4
	v_cmp_eq_u32_e32 vcc, 0, v85
	s_or_b64 s[6:7], vcc, s[6:7]
	s_waitcnt vmcnt(0) lgkmcnt(0)
	v_fmac_f32_e32 v84, v86, v87
	s_andn2_b64 exec, exec, s[6:7]
	s_cbranch_execnz .LBB39_243
; %bb.244:
	s_or_b64 exec, exec, s[6:7]
.LBB39_245:
	s_or_b64 exec, exec, s[12:13]
	v_mov_b32_e32 v85, 0
	ds_read_b32 v85, v85 offset:56
	s_waitcnt lgkmcnt(0)
	v_mul_f32_e32 v84, v84, v85
	buffer_store_dword v84, off, s[0:3], 0 offset:56
.LBB39_246:
	;; [unrolled: 54-line block ×15, first 2 shown]
	s_or_b64 exec, exec, s[8:9]
	buffer_load_dword v84, off, s[0:3], 0
	v_cmp_ne_u32_e32 vcc, 0, v0
	s_waitcnt vmcnt(0)
	ds_write_b32 v82, v84
	s_waitcnt lgkmcnt(0)
	; wave barrier
	s_and_saveexec_b64 s[4:5], vcc
	s_cbranch_execz .LBB39_386
; %bb.377:
	s_andn2_b64 vcc, exec, s[10:11]
	s_cbranch_vccnz .LBB39_379
; %bb.378:
	buffer_load_dword v84, v83, s[0:3], 0 offen
	ds_read_b32 v85, v82
	s_waitcnt vmcnt(0) lgkmcnt(0)
	v_mul_f32_e32 v84, v84, v85
	s_cbranch_execz .LBB39_380
	s_branch .LBB39_381
.LBB39_379:
                                        ; implicit-def: $vgpr84
.LBB39_380:
	ds_read_b32 v84, v82
.LBB39_381:
	s_and_saveexec_b64 s[8:9], s[6:7]
	s_cbranch_execz .LBB39_385
; %bb.382:
	v_add_u32_e32 v85, -1, v0
	s_movk_i32 s12, 0xa4
	s_mov_b64 s[6:7], 0
.LBB39_383:                             ; =>This Inner Loop Header: Depth=1
	v_mov_b32_e32 v86, s14
	buffer_load_dword v86, v86, s[0:3], 0 offen
	v_mov_b32_e32 v87, s12
	ds_read_b32 v87, v87
	v_add_u32_e32 v85, -1, v85
	s_add_i32 s12, s12, 4
	s_add_i32 s14, s14, 4
	v_cmp_eq_u32_e32 vcc, 0, v85
	s_or_b64 s[6:7], vcc, s[6:7]
	s_waitcnt vmcnt(0) lgkmcnt(0)
	v_fmac_f32_e32 v84, v86, v87
	s_andn2_b64 exec, exec, s[6:7]
	s_cbranch_execnz .LBB39_383
; %bb.384:
	s_or_b64 exec, exec, s[6:7]
.LBB39_385:
	s_or_b64 exec, exec, s[8:9]
	v_mov_b32_e32 v85, 0
	ds_read_b32 v85, v85
	s_waitcnt lgkmcnt(0)
	v_mul_f32_e32 v84, v84, v85
	buffer_store_dword v84, off, s[0:3], 0
.LBB39_386:
	s_or_b64 exec, exec, s[4:5]
	s_mov_b64 s[4:5], 0
.LBB39_387:
	s_and_b64 vcc, exec, s[4:5]
	s_cbranch_vccz .LBB39_769
; %bb.388:
	buffer_load_dword v84, off, s[0:3], 0 offset:4
	v_cmp_eq_u32_e64 s[6:7], 0, v0
	s_waitcnt vmcnt(0)
	ds_write_b32 v82, v84
	s_waitcnt lgkmcnt(0)
	; wave barrier
	s_and_saveexec_b64 s[4:5], s[6:7]
	s_cbranch_execz .LBB39_394
; %bb.389:
	s_and_b64 vcc, exec, s[10:11]
	s_cbranch_vccz .LBB39_391
; %bb.390:
	buffer_load_dword v84, v83, s[0:3], 0 offen
	ds_read_b32 v85, v82
	s_waitcnt vmcnt(0) lgkmcnt(0)
	v_mul_f32_e32 v84, v84, v85
	s_cbranch_execz .LBB39_392
	s_branch .LBB39_393
.LBB39_391:
                                        ; implicit-def: $vgpr84
.LBB39_392:
	ds_read_b32 v84, v82
.LBB39_393:
	v_mov_b32_e32 v85, 0
	ds_read_b32 v85, v85 offset:4
	s_waitcnt lgkmcnt(0)
	v_mul_f32_e32 v84, v84, v85
	buffer_store_dword v84, off, s[0:3], 0 offset:4
.LBB39_394:
	s_or_b64 exec, exec, s[4:5]
	buffer_load_dword v84, off, s[0:3], 0 offset:8
	v_cndmask_b32_e64 v85, 0, 1, s[10:11]
	v_cmp_gt_u32_e32 vcc, 2, v0
	v_cmp_ne_u32_e64 s[4:5], 1, v85
	s_waitcnt vmcnt(0)
	ds_write_b32 v82, v84
	s_waitcnt lgkmcnt(0)
	; wave barrier
	s_and_saveexec_b64 s[8:9], vcc
	s_cbranch_execz .LBB39_400
; %bb.395:
	s_and_b64 vcc, exec, s[4:5]
	s_cbranch_vccnz .LBB39_397
; %bb.396:
	buffer_load_dword v84, v83, s[0:3], 0 offen
	ds_read_b32 v85, v82
	s_waitcnt vmcnt(0) lgkmcnt(0)
	v_mul_f32_e32 v84, v84, v85
	s_cbranch_execz .LBB39_398
	s_branch .LBB39_399
.LBB39_397:
                                        ; implicit-def: $vgpr84
.LBB39_398:
	ds_read_b32 v84, v82
.LBB39_399:
	buffer_load_dword v87, off, s[0:3], 0 offset:4
	v_mov_b32_e32 v85, 0
	ds_read2_b32 v[85:86], v85 offset0:2 offset1:41
	s_waitcnt vmcnt(0) lgkmcnt(0)
	v_fma_f32 v86, v87, v86, v84
	v_cndmask_b32_e64 v84, v84, v86, s[6:7]
	v_mul_f32_e32 v84, v84, v85
	buffer_store_dword v84, off, s[0:3], 0 offset:8
.LBB39_400:
	s_or_b64 exec, exec, s[8:9]
	buffer_load_dword v84, off, s[0:3], 0 offset:12
	v_cmp_gt_u32_e32 vcc, 3, v0
	s_waitcnt vmcnt(0)
	ds_write_b32 v82, v84
	s_waitcnt lgkmcnt(0)
	; wave barrier
	s_and_saveexec_b64 s[8:9], vcc
	s_cbranch_execz .LBB39_408
; %bb.401:
	s_and_b64 vcc, exec, s[4:5]
	s_cbranch_vccnz .LBB39_403
; %bb.402:
	buffer_load_dword v84, v83, s[0:3], 0 offen
	ds_read_b32 v85, v82
	s_waitcnt vmcnt(0) lgkmcnt(0)
	v_mul_f32_e32 v84, v84, v85
	s_cbranch_execz .LBB39_404
	s_branch .LBB39_405
.LBB39_403:
                                        ; implicit-def: $vgpr84
.LBB39_404:
	ds_read_b32 v84, v82
.LBB39_405:
	v_cmp_ne_u32_e32 vcc, 2, v0
	s_and_saveexec_b64 s[10:11], vcc
	s_cbranch_execz .LBB39_407
; %bb.406:
	buffer_load_dword v85, v83, s[0:3], 0 offen offset:4
	buffer_load_dword v86, off, s[0:3], 0 offset:8
	v_mov_b32_e32 v87, 0
	ds_read_b32 v88, v82 offset:4
	ds_read_b32 v87, v87 offset:168
	s_waitcnt vmcnt(1) lgkmcnt(1)
	v_fmac_f32_e32 v84, v85, v88
	s_waitcnt vmcnt(0) lgkmcnt(0)
	v_fma_f32 v85, v86, v87, v84
	v_cndmask_b32_e64 v84, v84, v85, s[6:7]
.LBB39_407:
	s_or_b64 exec, exec, s[10:11]
	v_mov_b32_e32 v85, 0
	ds_read_b32 v85, v85 offset:12
	s_waitcnt lgkmcnt(0)
	v_mul_f32_e32 v84, v84, v85
	buffer_store_dword v84, off, s[0:3], 0 offset:12
.LBB39_408:
	s_or_b64 exec, exec, s[8:9]
	buffer_load_dword v84, off, s[0:3], 0 offset:16
	v_cmp_gt_u32_e32 vcc, 4, v0
	s_waitcnt vmcnt(0)
	ds_write_b32 v82, v84
	s_waitcnt lgkmcnt(0)
	; wave barrier
	s_and_saveexec_b64 s[6:7], vcc
	s_cbranch_execz .LBB39_418
; %bb.409:
	s_and_b64 vcc, exec, s[4:5]
	s_cbranch_vccnz .LBB39_411
; %bb.410:
	buffer_load_dword v84, v83, s[0:3], 0 offen
	ds_read_b32 v85, v82
	s_waitcnt vmcnt(0) lgkmcnt(0)
	v_mul_f32_e32 v84, v84, v85
	s_cbranch_execz .LBB39_412
	s_branch .LBB39_413
.LBB39_411:
                                        ; implicit-def: $vgpr84
.LBB39_412:
	ds_read_b32 v84, v82
.LBB39_413:
	v_cmp_ne_u32_e32 vcc, 3, v0
	s_and_saveexec_b64 s[8:9], vcc
	s_cbranch_execz .LBB39_417
; %bb.414:
	s_mov_b32 s10, 0
	v_add_u32_e32 v85, 0xa4, v81
	v_add3_u32 v86, v81, s10, 4
	s_mov_b64 s[10:11], 0
	v_mov_b32_e32 v87, v0
.LBB39_415:                             ; =>This Inner Loop Header: Depth=1
	buffer_load_dword v88, v86, s[0:3], 0 offen
	ds_read_b32 v89, v85
	v_add_u32_e32 v87, 1, v87
	v_cmp_lt_u32_e32 vcc, 2, v87
	v_add_u32_e32 v85, 4, v85
	v_add_u32_e32 v86, 4, v86
	s_or_b64 s[10:11], vcc, s[10:11]
	s_waitcnt vmcnt(0) lgkmcnt(0)
	v_fmac_f32_e32 v84, v88, v89
	s_andn2_b64 exec, exec, s[10:11]
	s_cbranch_execnz .LBB39_415
; %bb.416:
	s_or_b64 exec, exec, s[10:11]
.LBB39_417:
	s_or_b64 exec, exec, s[8:9]
	v_mov_b32_e32 v85, 0
	ds_read_b32 v85, v85 offset:16
	s_waitcnt lgkmcnt(0)
	v_mul_f32_e32 v84, v84, v85
	buffer_store_dword v84, off, s[0:3], 0 offset:16
.LBB39_418:
	s_or_b64 exec, exec, s[6:7]
	buffer_load_dword v84, off, s[0:3], 0 offset:20
	v_cmp_gt_u32_e32 vcc, 5, v0
	s_waitcnt vmcnt(0)
	ds_write_b32 v82, v84
	s_waitcnt lgkmcnt(0)
	; wave barrier
	s_and_saveexec_b64 s[6:7], vcc
	s_cbranch_execz .LBB39_428
; %bb.419:
	s_and_b64 vcc, exec, s[4:5]
	s_cbranch_vccnz .LBB39_421
; %bb.420:
	buffer_load_dword v84, v83, s[0:3], 0 offen
	ds_read_b32 v85, v82
	s_waitcnt vmcnt(0) lgkmcnt(0)
	v_mul_f32_e32 v84, v84, v85
	s_cbranch_execz .LBB39_422
	s_branch .LBB39_423
.LBB39_421:
                                        ; implicit-def: $vgpr84
.LBB39_422:
	ds_read_b32 v84, v82
.LBB39_423:
	v_cmp_ne_u32_e32 vcc, 4, v0
	s_and_saveexec_b64 s[8:9], vcc
	s_cbranch_execz .LBB39_427
; %bb.424:
	s_mov_b32 s10, 0
	v_add_u32_e32 v85, 0xa4, v81
	v_add3_u32 v86, v81, s10, 4
	s_mov_b64 s[10:11], 0
	v_mov_b32_e32 v87, v0
.LBB39_425:                             ; =>This Inner Loop Header: Depth=1
	buffer_load_dword v88, v86, s[0:3], 0 offen
	ds_read_b32 v89, v85
	v_add_u32_e32 v87, 1, v87
	v_cmp_lt_u32_e32 vcc, 3, v87
	v_add_u32_e32 v85, 4, v85
	v_add_u32_e32 v86, 4, v86
	s_or_b64 s[10:11], vcc, s[10:11]
	s_waitcnt vmcnt(0) lgkmcnt(0)
	v_fmac_f32_e32 v84, v88, v89
	s_andn2_b64 exec, exec, s[10:11]
	s_cbranch_execnz .LBB39_425
; %bb.426:
	s_or_b64 exec, exec, s[10:11]
.LBB39_427:
	s_or_b64 exec, exec, s[8:9]
	v_mov_b32_e32 v85, 0
	ds_read_b32 v85, v85 offset:20
	s_waitcnt lgkmcnt(0)
	v_mul_f32_e32 v84, v84, v85
	buffer_store_dword v84, off, s[0:3], 0 offset:20
.LBB39_428:
	;; [unrolled: 55-line block ×34, first 2 shown]
	s_or_b64 exec, exec, s[6:7]
	buffer_load_dword v84, off, s[0:3], 0 offset:152
	v_cmp_gt_u32_e64 s[6:7], 38, v0
	s_waitcnt vmcnt(0)
	ds_write_b32 v82, v84
	s_waitcnt lgkmcnt(0)
	; wave barrier
	s_and_saveexec_b64 s[8:9], s[6:7]
	s_cbranch_execz .LBB39_758
; %bb.749:
	s_and_b64 vcc, exec, s[4:5]
	s_cbranch_vccnz .LBB39_751
; %bb.750:
	buffer_load_dword v84, v83, s[0:3], 0 offen
	ds_read_b32 v85, v82
	s_waitcnt vmcnt(0) lgkmcnt(0)
	v_mul_f32_e32 v84, v84, v85
	s_cbranch_execz .LBB39_752
	s_branch .LBB39_753
.LBB39_751:
                                        ; implicit-def: $vgpr84
.LBB39_752:
	ds_read_b32 v84, v82
.LBB39_753:
	v_cmp_ne_u32_e32 vcc, 37, v0
	s_and_saveexec_b64 s[10:11], vcc
	s_cbranch_execz .LBB39_757
; %bb.754:
	s_mov_b32 s12, 0
	v_add_u32_e32 v85, 0xa4, v81
	v_add3_u32 v86, v81, s12, 4
	s_mov_b64 s[12:13], 0
	v_mov_b32_e32 v87, v0
.LBB39_755:                             ; =>This Inner Loop Header: Depth=1
	buffer_load_dword v88, v86, s[0:3], 0 offen
	ds_read_b32 v89, v85
	v_add_u32_e32 v87, 1, v87
	v_cmp_lt_u32_e32 vcc, 36, v87
	v_add_u32_e32 v85, 4, v85
	v_add_u32_e32 v86, 4, v86
	s_or_b64 s[12:13], vcc, s[12:13]
	s_waitcnt vmcnt(0) lgkmcnt(0)
	v_fmac_f32_e32 v84, v88, v89
	s_andn2_b64 exec, exec, s[12:13]
	s_cbranch_execnz .LBB39_755
; %bb.756:
	s_or_b64 exec, exec, s[12:13]
.LBB39_757:
	s_or_b64 exec, exec, s[10:11]
	v_mov_b32_e32 v85, 0
	ds_read_b32 v85, v85 offset:152
	s_waitcnt lgkmcnt(0)
	v_mul_f32_e32 v84, v84, v85
	buffer_store_dword v84, off, s[0:3], 0 offset:152
.LBB39_758:
	s_or_b64 exec, exec, s[8:9]
	buffer_load_dword v84, off, s[0:3], 0 offset:156
	v_cmp_ne_u32_e32 vcc, 39, v0
	s_waitcnt vmcnt(0)
	ds_write_b32 v82, v84
	s_waitcnt lgkmcnt(0)
	; wave barrier
	s_and_saveexec_b64 s[8:9], vcc
	s_cbranch_execz .LBB39_768
; %bb.759:
	s_and_b64 vcc, exec, s[4:5]
	s_cbranch_vccnz .LBB39_761
; %bb.760:
	buffer_load_dword v83, v83, s[0:3], 0 offen
	ds_read_b32 v84, v82
	s_waitcnt vmcnt(0) lgkmcnt(0)
	v_mul_f32_e32 v83, v83, v84
	s_cbranch_execz .LBB39_762
	s_branch .LBB39_763
.LBB39_761:
                                        ; implicit-def: $vgpr83
.LBB39_762:
	ds_read_b32 v83, v82
.LBB39_763:
	s_and_saveexec_b64 s[4:5], s[6:7]
	s_cbranch_execz .LBB39_767
; %bb.764:
	s_mov_b32 s6, 0
	v_add_u32_e32 v82, 0xa4, v81
	v_add3_u32 v81, v81, s6, 4
	s_mov_b64 s[6:7], 0
.LBB39_765:                             ; =>This Inner Loop Header: Depth=1
	buffer_load_dword v84, v81, s[0:3], 0 offen
	ds_read_b32 v85, v82
	v_add_u32_e32 v0, 1, v0
	v_cmp_lt_u32_e32 vcc, 37, v0
	v_add_u32_e32 v82, 4, v82
	v_add_u32_e32 v81, 4, v81
	s_or_b64 s[6:7], vcc, s[6:7]
	s_waitcnt vmcnt(0) lgkmcnt(0)
	v_fmac_f32_e32 v83, v84, v85
	s_andn2_b64 exec, exec, s[6:7]
	s_cbranch_execnz .LBB39_765
; %bb.766:
	s_or_b64 exec, exec, s[6:7]
.LBB39_767:
	s_or_b64 exec, exec, s[4:5]
	v_mov_b32_e32 v0, 0
	ds_read_b32 v0, v0 offset:156
	s_waitcnt lgkmcnt(0)
	v_mul_f32_e32 v0, v83, v0
	buffer_store_dword v0, off, s[0:3], 0 offset:156
.LBB39_768:
	s_or_b64 exec, exec, s[8:9]
.LBB39_769:
	buffer_load_dword v0, off, s[0:3], 0
	buffer_load_dword v81, off, s[0:3], 0 offset:4
	buffer_load_dword v82, off, s[0:3], 0 offset:8
	;; [unrolled: 1-line block ×39, first 2 shown]
	s_waitcnt vmcnt(39)
	global_store_dword v[1:2], v0, off
	s_waitcnt vmcnt(39)
	global_store_dword v[3:4], v81, off
	;; [unrolled: 2-line block ×40, first 2 shown]
.LBB39_770:
	s_endpgm
	.section	.rodata,"a",@progbits
	.p2align	6, 0x0
	.amdhsa_kernel _ZN9rocsolver6v33100L18trti2_kernel_smallILi40EfPfEEv13rocblas_fill_17rocblas_diagonal_T1_iil
		.amdhsa_group_segment_fixed_size 320
		.amdhsa_private_segment_fixed_size 176
		.amdhsa_kernarg_size 32
		.amdhsa_user_sgpr_count 6
		.amdhsa_user_sgpr_private_segment_buffer 1
		.amdhsa_user_sgpr_dispatch_ptr 0
		.amdhsa_user_sgpr_queue_ptr 0
		.amdhsa_user_sgpr_kernarg_segment_ptr 1
		.amdhsa_user_sgpr_dispatch_id 0
		.amdhsa_user_sgpr_flat_scratch_init 0
		.amdhsa_user_sgpr_private_segment_size 0
		.amdhsa_uses_dynamic_stack 0
		.amdhsa_system_sgpr_private_segment_wavefront_offset 1
		.amdhsa_system_sgpr_workgroup_id_x 1
		.amdhsa_system_sgpr_workgroup_id_y 0
		.amdhsa_system_sgpr_workgroup_id_z 0
		.amdhsa_system_sgpr_workgroup_info 0
		.amdhsa_system_vgpr_workitem_id 0
		.amdhsa_next_free_vgpr 122
		.amdhsa_next_free_sgpr 53
		.amdhsa_reserve_vcc 1
		.amdhsa_reserve_flat_scratch 0
		.amdhsa_float_round_mode_32 0
		.amdhsa_float_round_mode_16_64 0
		.amdhsa_float_denorm_mode_32 3
		.amdhsa_float_denorm_mode_16_64 3
		.amdhsa_dx10_clamp 1
		.amdhsa_ieee_mode 1
		.amdhsa_fp16_overflow 0
		.amdhsa_exception_fp_ieee_invalid_op 0
		.amdhsa_exception_fp_denorm_src 0
		.amdhsa_exception_fp_ieee_div_zero 0
		.amdhsa_exception_fp_ieee_overflow 0
		.amdhsa_exception_fp_ieee_underflow 0
		.amdhsa_exception_fp_ieee_inexact 0
		.amdhsa_exception_int_div_zero 0
	.end_amdhsa_kernel
	.section	.text._ZN9rocsolver6v33100L18trti2_kernel_smallILi40EfPfEEv13rocblas_fill_17rocblas_diagonal_T1_iil,"axG",@progbits,_ZN9rocsolver6v33100L18trti2_kernel_smallILi40EfPfEEv13rocblas_fill_17rocblas_diagonal_T1_iil,comdat
.Lfunc_end39:
	.size	_ZN9rocsolver6v33100L18trti2_kernel_smallILi40EfPfEEv13rocblas_fill_17rocblas_diagonal_T1_iil, .Lfunc_end39-_ZN9rocsolver6v33100L18trti2_kernel_smallILi40EfPfEEv13rocblas_fill_17rocblas_diagonal_T1_iil
                                        ; -- End function
	.set _ZN9rocsolver6v33100L18trti2_kernel_smallILi40EfPfEEv13rocblas_fill_17rocblas_diagonal_T1_iil.num_vgpr, 122
	.set _ZN9rocsolver6v33100L18trti2_kernel_smallILi40EfPfEEv13rocblas_fill_17rocblas_diagonal_T1_iil.num_agpr, 0
	.set _ZN9rocsolver6v33100L18trti2_kernel_smallILi40EfPfEEv13rocblas_fill_17rocblas_diagonal_T1_iil.numbered_sgpr, 53
	.set _ZN9rocsolver6v33100L18trti2_kernel_smallILi40EfPfEEv13rocblas_fill_17rocblas_diagonal_T1_iil.num_named_barrier, 0
	.set _ZN9rocsolver6v33100L18trti2_kernel_smallILi40EfPfEEv13rocblas_fill_17rocblas_diagonal_T1_iil.private_seg_size, 176
	.set _ZN9rocsolver6v33100L18trti2_kernel_smallILi40EfPfEEv13rocblas_fill_17rocblas_diagonal_T1_iil.uses_vcc, 1
	.set _ZN9rocsolver6v33100L18trti2_kernel_smallILi40EfPfEEv13rocblas_fill_17rocblas_diagonal_T1_iil.uses_flat_scratch, 0
	.set _ZN9rocsolver6v33100L18trti2_kernel_smallILi40EfPfEEv13rocblas_fill_17rocblas_diagonal_T1_iil.has_dyn_sized_stack, 0
	.set _ZN9rocsolver6v33100L18trti2_kernel_smallILi40EfPfEEv13rocblas_fill_17rocblas_diagonal_T1_iil.has_recursion, 0
	.set _ZN9rocsolver6v33100L18trti2_kernel_smallILi40EfPfEEv13rocblas_fill_17rocblas_diagonal_T1_iil.has_indirect_call, 0
	.section	.AMDGPU.csdata,"",@progbits
; Kernel info:
; codeLenInByte = 19336
; TotalNumSgprs: 57
; NumVgprs: 122
; ScratchSize: 176
; MemoryBound: 0
; FloatMode: 240
; IeeeMode: 1
; LDSByteSize: 320 bytes/workgroup (compile time only)
; SGPRBlocks: 7
; VGPRBlocks: 30
; NumSGPRsForWavesPerEU: 57
; NumVGPRsForWavesPerEU: 122
; Occupancy: 2
; WaveLimiterHint : 0
; COMPUTE_PGM_RSRC2:SCRATCH_EN: 1
; COMPUTE_PGM_RSRC2:USER_SGPR: 6
; COMPUTE_PGM_RSRC2:TRAP_HANDLER: 0
; COMPUTE_PGM_RSRC2:TGID_X_EN: 1
; COMPUTE_PGM_RSRC2:TGID_Y_EN: 0
; COMPUTE_PGM_RSRC2:TGID_Z_EN: 0
; COMPUTE_PGM_RSRC2:TIDIG_COMP_CNT: 0
	.section	.text._ZN9rocsolver6v33100L18trti2_kernel_smallILi41EfPfEEv13rocblas_fill_17rocblas_diagonal_T1_iil,"axG",@progbits,_ZN9rocsolver6v33100L18trti2_kernel_smallILi41EfPfEEv13rocblas_fill_17rocblas_diagonal_T1_iil,comdat
	.globl	_ZN9rocsolver6v33100L18trti2_kernel_smallILi41EfPfEEv13rocblas_fill_17rocblas_diagonal_T1_iil ; -- Begin function _ZN9rocsolver6v33100L18trti2_kernel_smallILi41EfPfEEv13rocblas_fill_17rocblas_diagonal_T1_iil
	.p2align	8
	.type	_ZN9rocsolver6v33100L18trti2_kernel_smallILi41EfPfEEv13rocblas_fill_17rocblas_diagonal_T1_iil,@function
_ZN9rocsolver6v33100L18trti2_kernel_smallILi41EfPfEEv13rocblas_fill_17rocblas_diagonal_T1_iil: ; @_ZN9rocsolver6v33100L18trti2_kernel_smallILi41EfPfEEv13rocblas_fill_17rocblas_diagonal_T1_iil
; %bb.0:
	s_add_u32 s0, s0, s7
	s_addc_u32 s1, s1, 0
	v_cmp_gt_u32_e32 vcc, 41, v0
	s_and_saveexec_b64 s[8:9], vcc
	s_cbranch_execz .LBB40_790
; %bb.1:
	s_load_dwordx8 s[8:15], s[4:5], 0x0
	s_ashr_i32 s7, s6, 31
	v_lshlrev_b32_e32 v83, 2, v0
	s_waitcnt lgkmcnt(0)
	s_ashr_i32 s5, s12, 31
	s_mov_b32 s4, s12
	s_mul_hi_u32 s12, s14, s6
	s_mul_i32 s7, s14, s7
	s_add_i32 s7, s12, s7
	s_mul_i32 s12, s15, s6
	s_add_i32 s7, s7, s12
	s_mul_i32 s6, s14, s6
	s_lshl_b64 s[6:7], s[6:7], 2
	s_add_u32 s6, s10, s6
	s_addc_u32 s7, s11, s7
	s_lshl_b64 s[4:5], s[4:5], 2
	s_add_u32 s4, s6, s4
	s_addc_u32 s5, s7, s5
	s_add_i32 s6, s13, s13
	v_add_u32_e32 v3, s6, v0
	v_ashrrev_i32_e32 v4, 31, v3
	v_lshlrev_b64 v[1:2], 2, v[3:4]
	v_add_u32_e32 v5, s13, v3
	v_mov_b32_e32 v4, s5
	v_add_co_u32_e32 v1, vcc, s4, v1
	v_ashrrev_i32_e32 v6, 31, v5
	v_addc_co_u32_e32 v2, vcc, v4, v2, vcc
	v_lshlrev_b64 v[3:4], 2, v[5:6]
	v_add_u32_e32 v7, s13, v5
	v_mov_b32_e32 v6, s5
	v_add_co_u32_e32 v3, vcc, s4, v3
	v_ashrrev_i32_e32 v8, 31, v7
	v_addc_co_u32_e32 v4, vcc, v6, v4, vcc
	;; [unrolled: 6-line block ×8, first 2 shown]
	v_lshlrev_b64 v[17:18], 2, v[19:20]
	v_mov_b32_e32 v21, s5
	v_add_co_u32_e32 v17, vcc, s4, v17
	v_addc_co_u32_e32 v18, vcc, v21, v18, vcc
	v_add_u32_e32 v21, s13, v19
	v_ashrrev_i32_e32 v22, 31, v21
	v_lshlrev_b64 v[19:20], 2, v[21:22]
	v_mov_b32_e32 v23, s5
	v_add_co_u32_e32 v19, vcc, s4, v19
	v_addc_co_u32_e32 v20, vcc, v23, v20, vcc
	v_add_u32_e32 v23, s13, v21
	v_ashrrev_i32_e32 v24, 31, v23
	;; [unrolled: 6-line block ×14, first 2 shown]
	v_lshlrev_b64 v[45:46], 2, v[47:48]
	v_mov_b32_e32 v49, s5
	v_add_co_u32_e32 v45, vcc, s4, v45
	v_addc_co_u32_e32 v46, vcc, v49, v46, vcc
	v_add_u32_e32 v49, s13, v47
	global_load_dword v81, v83, s[4:5]
	v_ashrrev_i32_e32 v50, 31, v49
	v_lshlrev_b64 v[47:48], 2, v[49:50]
	v_mov_b32_e32 v51, s5
	v_add_co_u32_e32 v47, vcc, s4, v47
	v_addc_co_u32_e32 v48, vcc, v51, v48, vcc
	v_add_u32_e32 v51, s13, v49
	v_ashrrev_i32_e32 v52, 31, v51
	v_lshlrev_b64 v[49:50], 2, v[51:52]
	v_mov_b32_e32 v53, s5
	v_add_co_u32_e32 v49, vcc, s4, v49
	v_addc_co_u32_e32 v50, vcc, v53, v50, vcc
	v_add_u32_e32 v53, s13, v51
	v_ashrrev_i32_e32 v54, 31, v53
	v_lshlrev_b64 v[51:52], 2, v[53:54]
	v_mov_b32_e32 v55, s5
	v_add_co_u32_e32 v51, vcc, s4, v51
	v_addc_co_u32_e32 v52, vcc, v55, v52, vcc
	v_add_u32_e32 v55, s13, v53
	v_ashrrev_i32_e32 v56, 31, v55
	v_lshlrev_b64 v[53:54], 2, v[55:56]
	v_mov_b32_e32 v57, s5
	v_add_co_u32_e32 v53, vcc, s4, v53
	v_addc_co_u32_e32 v54, vcc, v57, v54, vcc
	v_add_u32_e32 v57, s13, v55
	v_ashrrev_i32_e32 v58, 31, v57
	v_lshlrev_b64 v[55:56], 2, v[57:58]
	v_mov_b32_e32 v59, s5
	v_add_co_u32_e32 v55, vcc, s4, v55
	v_addc_co_u32_e32 v56, vcc, v59, v56, vcc
	v_add_u32_e32 v59, s13, v57
	v_ashrrev_i32_e32 v60, 31, v59
	v_lshlrev_b64 v[57:58], 2, v[59:60]
	v_mov_b32_e32 v61, s5
	v_add_co_u32_e32 v57, vcc, s4, v57
	v_addc_co_u32_e32 v58, vcc, v61, v58, vcc
	v_add_u32_e32 v61, s13, v59
	v_ashrrev_i32_e32 v62, 31, v61
	v_lshlrev_b64 v[59:60], 2, v[61:62]
	v_mov_b32_e32 v63, s5
	v_add_co_u32_e32 v59, vcc, s4, v59
	v_addc_co_u32_e32 v60, vcc, v63, v60, vcc
	v_add_u32_e32 v63, s13, v61
	v_ashrrev_i32_e32 v64, 31, v63
	v_lshlrev_b64 v[61:62], 2, v[63:64]
	v_mov_b32_e32 v65, s5
	v_add_co_u32_e32 v61, vcc, s4, v61
	v_addc_co_u32_e32 v62, vcc, v65, v62, vcc
	v_add_u32_e32 v65, s13, v63
	v_ashrrev_i32_e32 v66, 31, v65
	v_lshlrev_b64 v[63:64], 2, v[65:66]
	v_mov_b32_e32 v67, s5
	v_add_co_u32_e32 v63, vcc, s4, v63
	v_addc_co_u32_e32 v64, vcc, v67, v64, vcc
	v_add_u32_e32 v67, s13, v65
	v_ashrrev_i32_e32 v68, 31, v67
	v_lshlrev_b64 v[65:66], 2, v[67:68]
	v_mov_b32_e32 v69, s5
	v_add_co_u32_e32 v65, vcc, s4, v65
	v_addc_co_u32_e32 v66, vcc, v69, v66, vcc
	v_add_u32_e32 v69, s13, v67
	v_ashrrev_i32_e32 v70, 31, v69
	v_lshlrev_b64 v[67:68], 2, v[69:70]
	v_mov_b32_e32 v71, s5
	v_add_co_u32_e32 v67, vcc, s4, v67
	v_addc_co_u32_e32 v68, vcc, v71, v68, vcc
	v_add_u32_e32 v71, s13, v69
	v_ashrrev_i32_e32 v72, 31, v71
	v_lshlrev_b64 v[69:70], 2, v[71:72]
	v_mov_b32_e32 v73, s5
	v_add_co_u32_e32 v69, vcc, s4, v69
	v_addc_co_u32_e32 v70, vcc, v73, v70, vcc
	v_add_u32_e32 v73, s13, v71
	v_ashrrev_i32_e32 v74, 31, v73
	v_lshlrev_b64 v[71:72], 2, v[73:74]
	v_mov_b32_e32 v75, s5
	v_add_co_u32_e32 v71, vcc, s4, v71
	v_addc_co_u32_e32 v72, vcc, v75, v72, vcc
	v_add_u32_e32 v75, s13, v73
	v_ashrrev_i32_e32 v76, 31, v75
	v_lshlrev_b64 v[73:74], 2, v[75:76]
	v_mov_b32_e32 v77, s5
	v_add_co_u32_e32 v73, vcc, s4, v73
	v_addc_co_u32_e32 v74, vcc, v77, v74, vcc
	v_add_u32_e32 v77, s13, v75
	v_ashrrev_i32_e32 v78, 31, v77
	v_lshlrev_b64 v[75:76], 2, v[77:78]
	v_add_u32_e32 v77, s13, v77
	v_ashrrev_i32_e32 v78, 31, v77
	v_mov_b32_e32 v79, s5
	v_add_co_u32_e32 v75, vcc, s4, v75
	v_lshlrev_b64 v[77:78], 2, v[77:78]
	v_addc_co_u32_e32 v76, vcc, v79, v76, vcc
	v_add_co_u32_e32 v77, vcc, s4, v77
	v_addc_co_u32_e32 v78, vcc, v79, v78, vcc
	v_mov_b32_e32 v80, s5
	v_add_co_u32_e32 v79, vcc, s4, v83
	s_ashr_i32 s5, s13, 31
	s_mov_b32 s4, s13
	v_addc_co_u32_e32 v80, vcc, 0, v80, vcc
	s_lshl_b64 s[4:5], s[4:5], 2
	s_waitcnt vmcnt(0)
	buffer_store_dword v81, off, s[0:3], 0
	v_mov_b32_e32 v82, s5
	v_add_co_u32_e32 v81, vcc, s4, v79
	v_addc_co_u32_e32 v82, vcc, v80, v82, vcc
	global_load_dword v84, v[81:82], off
	global_load_dword v85, v[1:2], off
	;; [unrolled: 1-line block ×40, first 2 shown]
	s_cmpk_lg_i32 s9, 0x84
	s_waitcnt vmcnt(39)
	buffer_store_dword v84, off, s[0:3], 0 offset:4
	s_waitcnt vmcnt(39)
	buffer_store_dword v85, off, s[0:3], 0 offset:8
	;; [unrolled: 2-line block ×40, first 2 shown]
	s_movk_i32 s12, 0x84
	s_cselect_b64 s[10:11], -1, 0
	s_cmpk_eq_i32 s9, 0x84
	v_mov_b32_e32 v84, -1.0
	s_cbranch_scc1 .LBB40_3
; %bb.2:
	v_mov_b32_e32 v84, 0
	v_lshl_add_u32 v84, v0, 2, v84
	buffer_load_dword v85, v84, s[0:3], 0 offen
	s_waitcnt vmcnt(0)
	v_div_scale_f32 v86, s[4:5], v85, v85, 1.0
	v_div_scale_f32 v87, vcc, 1.0, v85, 1.0
	v_rcp_f32_e32 v88, v86
	v_fma_f32 v89, -v86, v88, 1.0
	v_fmac_f32_e32 v88, v89, v88
	v_mul_f32_e32 v89, v87, v88
	v_fma_f32 v90, -v86, v89, v87
	v_fmac_f32_e32 v89, v90, v88
	v_fma_f32 v86, -v86, v89, v87
	v_div_fmas_f32 v86, v86, v88, v89
	v_div_fixup_f32 v85, v86, v85, 1.0
	buffer_store_dword v85, v84, s[0:3], 0 offen
	v_xor_b32_e32 v84, 0x80000000, v85
.LBB40_3:
	ds_write_b32 v83, v84
	s_cmpk_eq_i32 s8, 0x79
	v_add_u32_e32 v84, 0xb0, v83
	v_mov_b32_e32 v85, v83
	s_mov_b64 s[4:5], -1
	s_cbranch_scc1 .LBB40_397
; %bb.4:
	buffer_load_dword v86, off, s[0:3], 0 offset:156
	s_movk_i32 s30, 0x44
	s_movk_i32 s31, 0x48
	;; [unrolled: 1-line block ×21, first 2 shown]
	v_cmp_eq_u32_e64 s[4:5], 40, v0
	s_waitcnt vmcnt(0)
	ds_write_b32 v84, v86
	s_waitcnt lgkmcnt(0)
	; wave barrier
	s_and_saveexec_b64 s[6:7], s[4:5]
	s_cbranch_execz .LBB40_10
; %bb.5:
	s_and_b64 vcc, exec, s[10:11]
	s_cbranch_vccz .LBB40_7
; %bb.6:
	buffer_load_dword v86, v85, s[0:3], 0 offen
	ds_read_b32 v87, v84
	s_waitcnt vmcnt(0) lgkmcnt(0)
	v_mul_f32_e32 v86, v86, v87
	s_cbranch_execz .LBB40_8
	s_branch .LBB40_9
.LBB40_7:
                                        ; implicit-def: $vgpr86
.LBB40_8:
	ds_read_b32 v86, v84
.LBB40_9:
	v_mov_b32_e32 v87, 0
	ds_read_b32 v87, v87 offset:156
	s_waitcnt lgkmcnt(0)
	v_mul_f32_e32 v86, v86, v87
	buffer_store_dword v86, off, s[0:3], 0 offset:156
.LBB40_10:
	s_or_b64 exec, exec, s[6:7]
	buffer_load_dword v86, off, s[0:3], 0 offset:152
	s_or_b32 s14, 0, 4
	s_or_b32 s15, 0, 8
	;; [unrolled: 1-line block ×3, first 2 shown]
	s_mov_b32 s17, 16
	s_mov_b32 s18, 20
	s_mov_b32 s19, 24
	s_mov_b32 s20, 28
	s_mov_b32 s21, 32
	s_mov_b32 s22, 36
	s_mov_b32 s23, 40
	s_mov_b32 s24, 44
	s_mov_b32 s25, 48
	s_mov_b32 s26, 52
	s_mov_b32 s27, 56
	s_mov_b32 s28, 60
	s_mov_b32 s29, 64
	s_mov_b32 s47, s12
	s_mov_b32 s48, s13
	v_cmp_lt_u32_e64 s[6:7], 38, v0
	s_waitcnt vmcnt(0)
	ds_write_b32 v84, v86
	s_waitcnt lgkmcnt(0)
	; wave barrier
	s_and_saveexec_b64 s[8:9], s[6:7]
	s_cbranch_execz .LBB40_16
; %bb.11:
	s_andn2_b64 vcc, exec, s[10:11]
	s_cbranch_vccnz .LBB40_13
; %bb.12:
	buffer_load_dword v86, v85, s[0:3], 0 offen
	ds_read_b32 v87, v84
	s_waitcnt vmcnt(0) lgkmcnt(0)
	v_mul_f32_e32 v86, v86, v87
	s_cbranch_execz .LBB40_14
	s_branch .LBB40_15
.LBB40_13:
                                        ; implicit-def: $vgpr86
.LBB40_14:
	ds_read_b32 v86, v84
.LBB40_15:
	buffer_load_dword v89, off, s[0:3], 0 offset:156
	v_mov_b32_e32 v87, 0
	ds_read2_b32 v[87:88], v87 offset0:38 offset1:83
	s_waitcnt vmcnt(0) lgkmcnt(0)
	v_fma_f32 v88, v89, v88, v86
	v_cndmask_b32_e64 v86, v86, v88, s[4:5]
	v_mul_f32_e32 v86, v86, v87
	buffer_store_dword v86, off, s[0:3], 0 offset:152
.LBB40_16:
	s_or_b64 exec, exec, s[8:9]
	buffer_load_dword v86, off, s[0:3], 0 offset:148
	v_cmp_lt_u32_e64 s[4:5], 37, v0
	s_waitcnt vmcnt(0)
	ds_write_b32 v84, v86
	s_waitcnt lgkmcnt(0)
	; wave barrier
	s_and_saveexec_b64 s[8:9], s[4:5]
	s_cbranch_execz .LBB40_26
; %bb.17:
	s_andn2_b64 vcc, exec, s[10:11]
	s_cbranch_vccnz .LBB40_19
; %bb.18:
	buffer_load_dword v86, v85, s[0:3], 0 offen
	ds_read_b32 v87, v84
	s_waitcnt vmcnt(0) lgkmcnt(0)
	v_mul_f32_e32 v86, v86, v87
	s_cbranch_execz .LBB40_20
	s_branch .LBB40_21
.LBB40_19:
                                        ; implicit-def: $vgpr86
.LBB40_20:
	ds_read_b32 v86, v84
.LBB40_21:
	s_and_saveexec_b64 s[12:13], s[6:7]
	s_cbranch_execz .LBB40_25
; %bb.22:
	v_subrev_u32_e32 v87, 38, v0
	s_movk_i32 s53, 0x148
	s_mov_b64 s[6:7], 0
.LBB40_23:                              ; =>This Inner Loop Header: Depth=1
	v_mov_b32_e32 v88, s52
	buffer_load_dword v88, v88, s[0:3], 0 offen
	v_mov_b32_e32 v89, s53
	ds_read_b32 v89, v89
	v_add_u32_e32 v87, -1, v87
	s_add_i32 s53, s53, 4
	s_add_i32 s52, s52, 4
	v_cmp_eq_u32_e32 vcc, 0, v87
	s_or_b64 s[6:7], vcc, s[6:7]
	s_waitcnt vmcnt(0) lgkmcnt(0)
	v_fmac_f32_e32 v86, v88, v89
	s_andn2_b64 exec, exec, s[6:7]
	s_cbranch_execnz .LBB40_23
; %bb.24:
	s_or_b64 exec, exec, s[6:7]
.LBB40_25:
	s_or_b64 exec, exec, s[12:13]
	v_mov_b32_e32 v87, 0
	ds_read_b32 v87, v87 offset:148
	s_waitcnt lgkmcnt(0)
	v_mul_f32_e32 v86, v86, v87
	buffer_store_dword v86, off, s[0:3], 0 offset:148
.LBB40_26:
	s_or_b64 exec, exec, s[8:9]
	buffer_load_dword v86, off, s[0:3], 0 offset:144
	v_cmp_lt_u32_e64 s[6:7], 36, v0
	s_waitcnt vmcnt(0)
	ds_write_b32 v84, v86
	s_waitcnt lgkmcnt(0)
	; wave barrier
	s_and_saveexec_b64 s[8:9], s[6:7]
	s_cbranch_execz .LBB40_36
; %bb.27:
	s_andn2_b64 vcc, exec, s[10:11]
	s_cbranch_vccnz .LBB40_29
; %bb.28:
	buffer_load_dword v86, v85, s[0:3], 0 offen
	ds_read_b32 v87, v84
	s_waitcnt vmcnt(0) lgkmcnt(0)
	v_mul_f32_e32 v86, v86, v87
	s_cbranch_execz .LBB40_30
	s_branch .LBB40_31
.LBB40_29:
                                        ; implicit-def: $vgpr86
.LBB40_30:
	ds_read_b32 v86, v84
.LBB40_31:
	s_and_saveexec_b64 s[12:13], s[4:5]
	s_cbranch_execz .LBB40_35
; %bb.32:
	v_subrev_u32_e32 v87, 37, v0
	s_movk_i32 s52, 0x144
	s_mov_b64 s[4:5], 0
.LBB40_33:                              ; =>This Inner Loop Header: Depth=1
	v_mov_b32_e32 v88, s51
	buffer_load_dword v88, v88, s[0:3], 0 offen
	v_mov_b32_e32 v89, s52
	ds_read_b32 v89, v89
	v_add_u32_e32 v87, -1, v87
	s_add_i32 s52, s52, 4
	s_add_i32 s51, s51, 4
	v_cmp_eq_u32_e32 vcc, 0, v87
	s_or_b64 s[4:5], vcc, s[4:5]
	s_waitcnt vmcnt(0) lgkmcnt(0)
	v_fmac_f32_e32 v86, v88, v89
	s_andn2_b64 exec, exec, s[4:5]
	s_cbranch_execnz .LBB40_33
; %bb.34:
	s_or_b64 exec, exec, s[4:5]
.LBB40_35:
	s_or_b64 exec, exec, s[12:13]
	v_mov_b32_e32 v87, 0
	ds_read_b32 v87, v87 offset:144
	s_waitcnt lgkmcnt(0)
	v_mul_f32_e32 v86, v86, v87
	buffer_store_dword v86, off, s[0:3], 0 offset:144
.LBB40_36:
	;; [unrolled: 54-line block ×8, first 2 shown]
	s_or_b64 exec, exec, s[8:9]
	buffer_load_dword v86, off, s[0:3], 0 offset:116
	v_cmp_lt_u32_e64 s[4:5], 29, v0
	s_waitcnt vmcnt(0)
	ds_write_b32 v84, v86
	s_waitcnt lgkmcnt(0)
	; wave barrier
	s_and_saveexec_b64 s[8:9], s[4:5]
	s_cbranch_execz .LBB40_106
; %bb.97:
	s_andn2_b64 vcc, exec, s[10:11]
	s_cbranch_vccnz .LBB40_99
; %bb.98:
	buffer_load_dword v86, v85, s[0:3], 0 offen
	ds_read_b32 v87, v84
	s_waitcnt vmcnt(0) lgkmcnt(0)
	v_mul_f32_e32 v86, v86, v87
	s_cbranch_execz .LBB40_100
	s_branch .LBB40_101
.LBB40_99:
                                        ; implicit-def: $vgpr86
.LBB40_100:
	ds_read_b32 v86, v84
.LBB40_101:
	s_and_saveexec_b64 s[12:13], s[6:7]
	s_cbranch_execz .LBB40_105
; %bb.102:
	v_subrev_u32_e32 v87, 30, v0
	s_movk_i32 s45, 0x128
	s_mov_b64 s[6:7], 0
.LBB40_103:                             ; =>This Inner Loop Header: Depth=1
	v_mov_b32_e32 v88, s44
	buffer_load_dword v88, v88, s[0:3], 0 offen
	v_mov_b32_e32 v89, s45
	ds_read_b32 v89, v89
	v_add_u32_e32 v87, -1, v87
	s_add_i32 s45, s45, 4
	s_add_i32 s44, s44, 4
	v_cmp_eq_u32_e32 vcc, 0, v87
	s_or_b64 s[6:7], vcc, s[6:7]
	s_waitcnt vmcnt(0) lgkmcnt(0)
	v_fmac_f32_e32 v86, v88, v89
	s_andn2_b64 exec, exec, s[6:7]
	s_cbranch_execnz .LBB40_103
; %bb.104:
	s_or_b64 exec, exec, s[6:7]
.LBB40_105:
	s_or_b64 exec, exec, s[12:13]
	v_mov_b32_e32 v87, 0
	ds_read_b32 v87, v87 offset:116
	s_waitcnt lgkmcnt(0)
	v_mul_f32_e32 v86, v86, v87
	buffer_store_dword v86, off, s[0:3], 0 offset:116
.LBB40_106:
	s_or_b64 exec, exec, s[8:9]
	buffer_load_dword v86, off, s[0:3], 0 offset:112
	v_cmp_lt_u32_e64 s[6:7], 28, v0
	s_waitcnt vmcnt(0)
	ds_write_b32 v84, v86
	s_waitcnt lgkmcnt(0)
	; wave barrier
	s_and_saveexec_b64 s[8:9], s[6:7]
	s_cbranch_execz .LBB40_116
; %bb.107:
	s_andn2_b64 vcc, exec, s[10:11]
	s_cbranch_vccnz .LBB40_109
; %bb.108:
	buffer_load_dword v86, v85, s[0:3], 0 offen
	ds_read_b32 v87, v84
	s_waitcnt vmcnt(0) lgkmcnt(0)
	v_mul_f32_e32 v86, v86, v87
	s_cbranch_execz .LBB40_110
	s_branch .LBB40_111
.LBB40_109:
                                        ; implicit-def: $vgpr86
.LBB40_110:
	ds_read_b32 v86, v84
.LBB40_111:
	s_and_saveexec_b64 s[12:13], s[4:5]
	s_cbranch_execz .LBB40_115
; %bb.112:
	v_subrev_u32_e32 v87, 29, v0
	s_movk_i32 s44, 0x124
	s_mov_b64 s[4:5], 0
.LBB40_113:                             ; =>This Inner Loop Header: Depth=1
	v_mov_b32_e32 v88, s43
	buffer_load_dword v88, v88, s[0:3], 0 offen
	v_mov_b32_e32 v89, s44
	ds_read_b32 v89, v89
	v_add_u32_e32 v87, -1, v87
	s_add_i32 s44, s44, 4
	s_add_i32 s43, s43, 4
	v_cmp_eq_u32_e32 vcc, 0, v87
	s_or_b64 s[4:5], vcc, s[4:5]
	s_waitcnt vmcnt(0) lgkmcnt(0)
	v_fmac_f32_e32 v86, v88, v89
	s_andn2_b64 exec, exec, s[4:5]
	s_cbranch_execnz .LBB40_113
; %bb.114:
	s_or_b64 exec, exec, s[4:5]
.LBB40_115:
	s_or_b64 exec, exec, s[12:13]
	v_mov_b32_e32 v87, 0
	ds_read_b32 v87, v87 offset:112
	s_waitcnt lgkmcnt(0)
	v_mul_f32_e32 v86, v86, v87
	buffer_store_dword v86, off, s[0:3], 0 offset:112
.LBB40_116:
	;; [unrolled: 54-line block ×14, first 2 shown]
	s_or_b64 exec, exec, s[8:9]
	buffer_load_dword v86, off, s[0:3], 0 offset:60
	v_cmp_lt_u32_e64 s[4:5], 15, v0
	s_waitcnt vmcnt(0)
	ds_write_b32 v84, v86
	s_waitcnt lgkmcnt(0)
	; wave barrier
	s_and_saveexec_b64 s[8:9], s[4:5]
	s_cbranch_execz .LBB40_246
; %bb.237:
	s_andn2_b64 vcc, exec, s[10:11]
	s_cbranch_vccnz .LBB40_239
; %bb.238:
	buffer_load_dword v86, v85, s[0:3], 0 offen
	ds_read_b32 v87, v84
	s_waitcnt vmcnt(0) lgkmcnt(0)
	v_mul_f32_e32 v86, v86, v87
	s_cbranch_execz .LBB40_240
	s_branch .LBB40_241
.LBB40_239:
                                        ; implicit-def: $vgpr86
.LBB40_240:
	ds_read_b32 v86, v84
.LBB40_241:
	s_and_saveexec_b64 s[12:13], s[6:7]
	s_cbranch_execz .LBB40_245
; %bb.242:
	v_add_u32_e32 v87, -16, v0
	s_movk_i32 s30, 0xf0
	s_mov_b64 s[6:7], 0
.LBB40_243:                             ; =>This Inner Loop Header: Depth=1
	v_mov_b32_e32 v88, s29
	buffer_load_dword v88, v88, s[0:3], 0 offen
	v_mov_b32_e32 v89, s30
	ds_read_b32 v89, v89
	v_add_u32_e32 v87, -1, v87
	s_add_i32 s30, s30, 4
	s_add_i32 s29, s29, 4
	v_cmp_eq_u32_e32 vcc, 0, v87
	s_or_b64 s[6:7], vcc, s[6:7]
	s_waitcnt vmcnt(0) lgkmcnt(0)
	v_fmac_f32_e32 v86, v88, v89
	s_andn2_b64 exec, exec, s[6:7]
	s_cbranch_execnz .LBB40_243
; %bb.244:
	s_or_b64 exec, exec, s[6:7]
.LBB40_245:
	s_or_b64 exec, exec, s[12:13]
	v_mov_b32_e32 v87, 0
	ds_read_b32 v87, v87 offset:60
	s_waitcnt lgkmcnt(0)
	v_mul_f32_e32 v86, v86, v87
	buffer_store_dword v86, off, s[0:3], 0 offset:60
.LBB40_246:
	s_or_b64 exec, exec, s[8:9]
	buffer_load_dword v86, off, s[0:3], 0 offset:56
	v_cmp_lt_u32_e64 s[6:7], 14, v0
	s_waitcnt vmcnt(0)
	ds_write_b32 v84, v86
	s_waitcnt lgkmcnt(0)
	; wave barrier
	s_and_saveexec_b64 s[8:9], s[6:7]
	s_cbranch_execz .LBB40_256
; %bb.247:
	s_andn2_b64 vcc, exec, s[10:11]
	s_cbranch_vccnz .LBB40_249
; %bb.248:
	buffer_load_dword v86, v85, s[0:3], 0 offen
	ds_read_b32 v87, v84
	s_waitcnt vmcnt(0) lgkmcnt(0)
	v_mul_f32_e32 v86, v86, v87
	s_cbranch_execz .LBB40_250
	s_branch .LBB40_251
.LBB40_249:
                                        ; implicit-def: $vgpr86
.LBB40_250:
	ds_read_b32 v86, v84
.LBB40_251:
	s_and_saveexec_b64 s[12:13], s[4:5]
	s_cbranch_execz .LBB40_255
; %bb.252:
	v_add_u32_e32 v87, -15, v0
	s_movk_i32 s29, 0xec
	s_mov_b64 s[4:5], 0
.LBB40_253:                             ; =>This Inner Loop Header: Depth=1
	v_mov_b32_e32 v88, s28
	buffer_load_dword v88, v88, s[0:3], 0 offen
	v_mov_b32_e32 v89, s29
	ds_read_b32 v89, v89
	v_add_u32_e32 v87, -1, v87
	s_add_i32 s29, s29, 4
	s_add_i32 s28, s28, 4
	v_cmp_eq_u32_e32 vcc, 0, v87
	s_or_b64 s[4:5], vcc, s[4:5]
	s_waitcnt vmcnt(0) lgkmcnt(0)
	v_fmac_f32_e32 v86, v88, v89
	s_andn2_b64 exec, exec, s[4:5]
	s_cbranch_execnz .LBB40_253
; %bb.254:
	s_or_b64 exec, exec, s[4:5]
.LBB40_255:
	s_or_b64 exec, exec, s[12:13]
	v_mov_b32_e32 v87, 0
	ds_read_b32 v87, v87 offset:56
	s_waitcnt lgkmcnt(0)
	v_mul_f32_e32 v86, v86, v87
	buffer_store_dword v86, off, s[0:3], 0 offset:56
.LBB40_256:
	;; [unrolled: 54-line block ×15, first 2 shown]
	s_or_b64 exec, exec, s[8:9]
	buffer_load_dword v86, off, s[0:3], 0
	v_cmp_ne_u32_e32 vcc, 0, v0
	s_waitcnt vmcnt(0)
	ds_write_b32 v84, v86
	s_waitcnt lgkmcnt(0)
	; wave barrier
	s_and_saveexec_b64 s[6:7], vcc
	s_cbranch_execz .LBB40_396
; %bb.387:
	s_andn2_b64 vcc, exec, s[10:11]
	s_cbranch_vccnz .LBB40_389
; %bb.388:
	buffer_load_dword v86, v85, s[0:3], 0 offen
	ds_read_b32 v87, v84
	s_waitcnt vmcnt(0) lgkmcnt(0)
	v_mul_f32_e32 v86, v86, v87
	s_cbranch_execz .LBB40_390
	s_branch .LBB40_391
.LBB40_389:
                                        ; implicit-def: $vgpr86
.LBB40_390:
	ds_read_b32 v86, v84
.LBB40_391:
	s_and_saveexec_b64 s[8:9], s[4:5]
	s_cbranch_execz .LBB40_395
; %bb.392:
	v_add_u32_e32 v87, -1, v0
	s_movk_i32 s12, 0xb4
	s_mov_b64 s[4:5], 0
.LBB40_393:                             ; =>This Inner Loop Header: Depth=1
	v_mov_b32_e32 v88, s14
	buffer_load_dword v88, v88, s[0:3], 0 offen
	v_mov_b32_e32 v89, s12
	ds_read_b32 v89, v89
	v_add_u32_e32 v87, -1, v87
	s_add_i32 s12, s12, 4
	s_add_i32 s14, s14, 4
	v_cmp_eq_u32_e32 vcc, 0, v87
	s_or_b64 s[4:5], vcc, s[4:5]
	s_waitcnt vmcnt(0) lgkmcnt(0)
	v_fmac_f32_e32 v86, v88, v89
	s_andn2_b64 exec, exec, s[4:5]
	s_cbranch_execnz .LBB40_393
; %bb.394:
	s_or_b64 exec, exec, s[4:5]
.LBB40_395:
	s_or_b64 exec, exec, s[8:9]
	v_mov_b32_e32 v87, 0
	ds_read_b32 v87, v87
	s_waitcnt lgkmcnt(0)
	v_mul_f32_e32 v86, v86, v87
	buffer_store_dword v86, off, s[0:3], 0
.LBB40_396:
	s_or_b64 exec, exec, s[6:7]
	s_mov_b64 s[4:5], 0
.LBB40_397:
	s_and_b64 vcc, exec, s[4:5]
	s_cbranch_vccz .LBB40_789
; %bb.398:
	buffer_load_dword v86, off, s[0:3], 0 offset:4
	v_cmp_eq_u32_e64 s[6:7], 0, v0
	s_waitcnt vmcnt(0)
	ds_write_b32 v84, v86
	s_waitcnt lgkmcnt(0)
	; wave barrier
	s_and_saveexec_b64 s[4:5], s[6:7]
	s_cbranch_execz .LBB40_404
; %bb.399:
	s_and_b64 vcc, exec, s[10:11]
	s_cbranch_vccz .LBB40_401
; %bb.400:
	buffer_load_dword v86, v85, s[0:3], 0 offen
	ds_read_b32 v87, v84
	s_waitcnt vmcnt(0) lgkmcnt(0)
	v_mul_f32_e32 v86, v86, v87
	s_cbranch_execz .LBB40_402
	s_branch .LBB40_403
.LBB40_401:
                                        ; implicit-def: $vgpr86
.LBB40_402:
	ds_read_b32 v86, v84
.LBB40_403:
	v_mov_b32_e32 v87, 0
	ds_read_b32 v87, v87 offset:4
	s_waitcnt lgkmcnt(0)
	v_mul_f32_e32 v86, v86, v87
	buffer_store_dword v86, off, s[0:3], 0 offset:4
.LBB40_404:
	s_or_b64 exec, exec, s[4:5]
	buffer_load_dword v86, off, s[0:3], 0 offset:8
	v_cndmask_b32_e64 v87, 0, 1, s[10:11]
	v_cmp_gt_u32_e32 vcc, 2, v0
	v_cmp_ne_u32_e64 s[4:5], 1, v87
	s_waitcnt vmcnt(0)
	ds_write_b32 v84, v86
	s_waitcnt lgkmcnt(0)
	; wave barrier
	s_and_saveexec_b64 s[8:9], vcc
	s_cbranch_execz .LBB40_410
; %bb.405:
	s_and_b64 vcc, exec, s[4:5]
	s_cbranch_vccnz .LBB40_407
; %bb.406:
	buffer_load_dword v86, v85, s[0:3], 0 offen
	ds_read_b32 v87, v84
	s_waitcnt vmcnt(0) lgkmcnt(0)
	v_mul_f32_e32 v86, v86, v87
	s_cbranch_execz .LBB40_408
	s_branch .LBB40_409
.LBB40_407:
                                        ; implicit-def: $vgpr86
.LBB40_408:
	ds_read_b32 v86, v84
.LBB40_409:
	buffer_load_dword v89, off, s[0:3], 0 offset:4
	v_mov_b32_e32 v87, 0
	ds_read2_b32 v[87:88], v87 offset0:2 offset1:45
	s_waitcnt vmcnt(0) lgkmcnt(0)
	v_fma_f32 v88, v89, v88, v86
	v_cndmask_b32_e64 v86, v86, v88, s[6:7]
	v_mul_f32_e32 v86, v86, v87
	buffer_store_dword v86, off, s[0:3], 0 offset:8
.LBB40_410:
	s_or_b64 exec, exec, s[8:9]
	buffer_load_dword v86, off, s[0:3], 0 offset:12
	v_cmp_gt_u32_e32 vcc, 3, v0
	s_waitcnt vmcnt(0)
	ds_write_b32 v84, v86
	s_waitcnt lgkmcnt(0)
	; wave barrier
	s_and_saveexec_b64 s[8:9], vcc
	s_cbranch_execz .LBB40_418
; %bb.411:
	s_and_b64 vcc, exec, s[4:5]
	s_cbranch_vccnz .LBB40_413
; %bb.412:
	buffer_load_dword v86, v85, s[0:3], 0 offen
	ds_read_b32 v87, v84
	s_waitcnt vmcnt(0) lgkmcnt(0)
	v_mul_f32_e32 v86, v86, v87
	s_cbranch_execz .LBB40_414
	s_branch .LBB40_415
.LBB40_413:
                                        ; implicit-def: $vgpr86
.LBB40_414:
	ds_read_b32 v86, v84
.LBB40_415:
	v_cmp_ne_u32_e32 vcc, 2, v0
	s_and_saveexec_b64 s[10:11], vcc
	s_cbranch_execz .LBB40_417
; %bb.416:
	buffer_load_dword v87, v85, s[0:3], 0 offen offset:4
	buffer_load_dword v88, off, s[0:3], 0 offset:8
	v_mov_b32_e32 v89, 0
	ds_read_b32 v90, v84 offset:4
	ds_read_b32 v89, v89 offset:184
	s_waitcnt vmcnt(1) lgkmcnt(1)
	v_fmac_f32_e32 v86, v87, v90
	s_waitcnt vmcnt(0) lgkmcnt(0)
	v_fma_f32 v87, v88, v89, v86
	v_cndmask_b32_e64 v86, v86, v87, s[6:7]
.LBB40_417:
	s_or_b64 exec, exec, s[10:11]
	v_mov_b32_e32 v87, 0
	ds_read_b32 v87, v87 offset:12
	s_waitcnt lgkmcnt(0)
	v_mul_f32_e32 v86, v86, v87
	buffer_store_dword v86, off, s[0:3], 0 offset:12
.LBB40_418:
	s_or_b64 exec, exec, s[8:9]
	buffer_load_dword v86, off, s[0:3], 0 offset:16
	v_cmp_gt_u32_e32 vcc, 4, v0
	s_waitcnt vmcnt(0)
	ds_write_b32 v84, v86
	s_waitcnt lgkmcnt(0)
	; wave barrier
	s_and_saveexec_b64 s[6:7], vcc
	s_cbranch_execz .LBB40_428
; %bb.419:
	s_and_b64 vcc, exec, s[4:5]
	s_cbranch_vccnz .LBB40_421
; %bb.420:
	buffer_load_dword v86, v85, s[0:3], 0 offen
	ds_read_b32 v87, v84
	s_waitcnt vmcnt(0) lgkmcnt(0)
	v_mul_f32_e32 v86, v86, v87
	s_cbranch_execz .LBB40_422
	s_branch .LBB40_423
.LBB40_421:
                                        ; implicit-def: $vgpr86
.LBB40_422:
	ds_read_b32 v86, v84
.LBB40_423:
	v_cmp_ne_u32_e32 vcc, 3, v0
	s_and_saveexec_b64 s[8:9], vcc
	s_cbranch_execz .LBB40_427
; %bb.424:
	s_mov_b32 s10, 0
	v_add_u32_e32 v87, 0xb4, v83
	v_add3_u32 v88, v83, s10, 4
	s_mov_b64 s[10:11], 0
	v_mov_b32_e32 v89, v0
.LBB40_425:                             ; =>This Inner Loop Header: Depth=1
	buffer_load_dword v90, v88, s[0:3], 0 offen
	ds_read_b32 v91, v87
	v_add_u32_e32 v89, 1, v89
	v_cmp_lt_u32_e32 vcc, 2, v89
	v_add_u32_e32 v87, 4, v87
	v_add_u32_e32 v88, 4, v88
	s_or_b64 s[10:11], vcc, s[10:11]
	s_waitcnt vmcnt(0) lgkmcnt(0)
	v_fmac_f32_e32 v86, v90, v91
	s_andn2_b64 exec, exec, s[10:11]
	s_cbranch_execnz .LBB40_425
; %bb.426:
	s_or_b64 exec, exec, s[10:11]
.LBB40_427:
	s_or_b64 exec, exec, s[8:9]
	v_mov_b32_e32 v87, 0
	ds_read_b32 v87, v87 offset:16
	s_waitcnt lgkmcnt(0)
	v_mul_f32_e32 v86, v86, v87
	buffer_store_dword v86, off, s[0:3], 0 offset:16
.LBB40_428:
	s_or_b64 exec, exec, s[6:7]
	buffer_load_dword v86, off, s[0:3], 0 offset:20
	v_cmp_gt_u32_e32 vcc, 5, v0
	s_waitcnt vmcnt(0)
	ds_write_b32 v84, v86
	s_waitcnt lgkmcnt(0)
	; wave barrier
	s_and_saveexec_b64 s[6:7], vcc
	s_cbranch_execz .LBB40_438
; %bb.429:
	s_and_b64 vcc, exec, s[4:5]
	s_cbranch_vccnz .LBB40_431
; %bb.430:
	buffer_load_dword v86, v85, s[0:3], 0 offen
	ds_read_b32 v87, v84
	s_waitcnt vmcnt(0) lgkmcnt(0)
	v_mul_f32_e32 v86, v86, v87
	s_cbranch_execz .LBB40_432
	s_branch .LBB40_433
.LBB40_431:
                                        ; implicit-def: $vgpr86
.LBB40_432:
	ds_read_b32 v86, v84
.LBB40_433:
	v_cmp_ne_u32_e32 vcc, 4, v0
	s_and_saveexec_b64 s[8:9], vcc
	s_cbranch_execz .LBB40_437
; %bb.434:
	s_mov_b32 s10, 0
	v_add_u32_e32 v87, 0xb4, v83
	v_add3_u32 v88, v83, s10, 4
	s_mov_b64 s[10:11], 0
	v_mov_b32_e32 v89, v0
.LBB40_435:                             ; =>This Inner Loop Header: Depth=1
	buffer_load_dword v90, v88, s[0:3], 0 offen
	ds_read_b32 v91, v87
	v_add_u32_e32 v89, 1, v89
	v_cmp_lt_u32_e32 vcc, 3, v89
	v_add_u32_e32 v87, 4, v87
	v_add_u32_e32 v88, 4, v88
	s_or_b64 s[10:11], vcc, s[10:11]
	s_waitcnt vmcnt(0) lgkmcnt(0)
	v_fmac_f32_e32 v86, v90, v91
	s_andn2_b64 exec, exec, s[10:11]
	s_cbranch_execnz .LBB40_435
; %bb.436:
	s_or_b64 exec, exec, s[10:11]
.LBB40_437:
	s_or_b64 exec, exec, s[8:9]
	v_mov_b32_e32 v87, 0
	ds_read_b32 v87, v87 offset:20
	s_waitcnt lgkmcnt(0)
	v_mul_f32_e32 v86, v86, v87
	buffer_store_dword v86, off, s[0:3], 0 offset:20
.LBB40_438:
	;; [unrolled: 55-line block ×35, first 2 shown]
	s_or_b64 exec, exec, s[6:7]
	buffer_load_dword v86, off, s[0:3], 0 offset:156
	v_cmp_gt_u32_e64 s[6:7], 39, v0
	s_waitcnt vmcnt(0)
	ds_write_b32 v84, v86
	s_waitcnt lgkmcnt(0)
	; wave barrier
	s_and_saveexec_b64 s[8:9], s[6:7]
	s_cbranch_execz .LBB40_778
; %bb.769:
	s_and_b64 vcc, exec, s[4:5]
	s_cbranch_vccnz .LBB40_771
; %bb.770:
	buffer_load_dword v86, v85, s[0:3], 0 offen
	ds_read_b32 v87, v84
	s_waitcnt vmcnt(0) lgkmcnt(0)
	v_mul_f32_e32 v86, v86, v87
	s_cbranch_execz .LBB40_772
	s_branch .LBB40_773
.LBB40_771:
                                        ; implicit-def: $vgpr86
.LBB40_772:
	ds_read_b32 v86, v84
.LBB40_773:
	v_cmp_ne_u32_e32 vcc, 38, v0
	s_and_saveexec_b64 s[10:11], vcc
	s_cbranch_execz .LBB40_777
; %bb.774:
	s_mov_b32 s12, 0
	v_add_u32_e32 v87, 0xb4, v83
	v_add3_u32 v88, v83, s12, 4
	s_mov_b64 s[12:13], 0
	v_mov_b32_e32 v89, v0
.LBB40_775:                             ; =>This Inner Loop Header: Depth=1
	buffer_load_dword v90, v88, s[0:3], 0 offen
	ds_read_b32 v91, v87
	v_add_u32_e32 v89, 1, v89
	v_cmp_lt_u32_e32 vcc, 37, v89
	v_add_u32_e32 v87, 4, v87
	v_add_u32_e32 v88, 4, v88
	s_or_b64 s[12:13], vcc, s[12:13]
	s_waitcnt vmcnt(0) lgkmcnt(0)
	v_fmac_f32_e32 v86, v90, v91
	s_andn2_b64 exec, exec, s[12:13]
	s_cbranch_execnz .LBB40_775
; %bb.776:
	s_or_b64 exec, exec, s[12:13]
.LBB40_777:
	s_or_b64 exec, exec, s[10:11]
	v_mov_b32_e32 v87, 0
	ds_read_b32 v87, v87 offset:156
	s_waitcnt lgkmcnt(0)
	v_mul_f32_e32 v86, v86, v87
	buffer_store_dword v86, off, s[0:3], 0 offset:156
.LBB40_778:
	s_or_b64 exec, exec, s[8:9]
	buffer_load_dword v86, off, s[0:3], 0 offset:160
	v_cmp_ne_u32_e32 vcc, 40, v0
	s_waitcnt vmcnt(0)
	ds_write_b32 v84, v86
	s_waitcnt lgkmcnt(0)
	; wave barrier
	s_and_saveexec_b64 s[8:9], vcc
	s_cbranch_execz .LBB40_788
; %bb.779:
	s_and_b64 vcc, exec, s[4:5]
	s_cbranch_vccnz .LBB40_781
; %bb.780:
	buffer_load_dword v85, v85, s[0:3], 0 offen
	ds_read_b32 v86, v84
	s_waitcnt vmcnt(0) lgkmcnt(0)
	v_mul_f32_e32 v85, v85, v86
	s_cbranch_execz .LBB40_782
	s_branch .LBB40_783
.LBB40_781:
                                        ; implicit-def: $vgpr85
.LBB40_782:
	ds_read_b32 v85, v84
.LBB40_783:
	s_and_saveexec_b64 s[4:5], s[6:7]
	s_cbranch_execz .LBB40_787
; %bb.784:
	s_mov_b32 s6, 0
	v_add_u32_e32 v84, 0xb4, v83
	v_add3_u32 v83, v83, s6, 4
	s_mov_b64 s[6:7], 0
.LBB40_785:                             ; =>This Inner Loop Header: Depth=1
	buffer_load_dword v86, v83, s[0:3], 0 offen
	ds_read_b32 v87, v84
	v_add_u32_e32 v0, 1, v0
	v_cmp_lt_u32_e32 vcc, 38, v0
	v_add_u32_e32 v84, 4, v84
	v_add_u32_e32 v83, 4, v83
	s_or_b64 s[6:7], vcc, s[6:7]
	s_waitcnt vmcnt(0) lgkmcnt(0)
	v_fmac_f32_e32 v85, v86, v87
	s_andn2_b64 exec, exec, s[6:7]
	s_cbranch_execnz .LBB40_785
; %bb.786:
	s_or_b64 exec, exec, s[6:7]
.LBB40_787:
	s_or_b64 exec, exec, s[4:5]
	v_mov_b32_e32 v0, 0
	ds_read_b32 v0, v0 offset:160
	s_waitcnt lgkmcnt(0)
	v_mul_f32_e32 v0, v85, v0
	buffer_store_dword v0, off, s[0:3], 0 offset:160
.LBB40_788:
	s_or_b64 exec, exec, s[8:9]
.LBB40_789:
	buffer_load_dword v0, off, s[0:3], 0
	buffer_load_dword v83, off, s[0:3], 0 offset:4
	buffer_load_dword v84, off, s[0:3], 0 offset:8
	;; [unrolled: 1-line block ×40, first 2 shown]
	s_waitcnt vmcnt(40)
	global_store_dword v[79:80], v0, off
	s_waitcnt vmcnt(40)
	global_store_dword v[81:82], v83, off
	;; [unrolled: 2-line block ×41, first 2 shown]
.LBB40_790:
	s_endpgm
	.section	.rodata,"a",@progbits
	.p2align	6, 0x0
	.amdhsa_kernel _ZN9rocsolver6v33100L18trti2_kernel_smallILi41EfPfEEv13rocblas_fill_17rocblas_diagonal_T1_iil
		.amdhsa_group_segment_fixed_size 340
		.amdhsa_private_segment_fixed_size 176
		.amdhsa_kernarg_size 32
		.amdhsa_user_sgpr_count 6
		.amdhsa_user_sgpr_private_segment_buffer 1
		.amdhsa_user_sgpr_dispatch_ptr 0
		.amdhsa_user_sgpr_queue_ptr 0
		.amdhsa_user_sgpr_kernarg_segment_ptr 1
		.amdhsa_user_sgpr_dispatch_id 0
		.amdhsa_user_sgpr_flat_scratch_init 0
		.amdhsa_user_sgpr_private_segment_size 0
		.amdhsa_uses_dynamic_stack 0
		.amdhsa_system_sgpr_private_segment_wavefront_offset 1
		.amdhsa_system_sgpr_workgroup_id_x 1
		.amdhsa_system_sgpr_workgroup_id_y 0
		.amdhsa_system_sgpr_workgroup_id_z 0
		.amdhsa_system_sgpr_workgroup_info 0
		.amdhsa_system_vgpr_workitem_id 0
		.amdhsa_next_free_vgpr 124
		.amdhsa_next_free_sgpr 54
		.amdhsa_reserve_vcc 1
		.amdhsa_reserve_flat_scratch 0
		.amdhsa_float_round_mode_32 0
		.amdhsa_float_round_mode_16_64 0
		.amdhsa_float_denorm_mode_32 3
		.amdhsa_float_denorm_mode_16_64 3
		.amdhsa_dx10_clamp 1
		.amdhsa_ieee_mode 1
		.amdhsa_fp16_overflow 0
		.amdhsa_exception_fp_ieee_invalid_op 0
		.amdhsa_exception_fp_denorm_src 0
		.amdhsa_exception_fp_ieee_div_zero 0
		.amdhsa_exception_fp_ieee_overflow 0
		.amdhsa_exception_fp_ieee_underflow 0
		.amdhsa_exception_fp_ieee_inexact 0
		.amdhsa_exception_int_div_zero 0
	.end_amdhsa_kernel
	.section	.text._ZN9rocsolver6v33100L18trti2_kernel_smallILi41EfPfEEv13rocblas_fill_17rocblas_diagonal_T1_iil,"axG",@progbits,_ZN9rocsolver6v33100L18trti2_kernel_smallILi41EfPfEEv13rocblas_fill_17rocblas_diagonal_T1_iil,comdat
.Lfunc_end40:
	.size	_ZN9rocsolver6v33100L18trti2_kernel_smallILi41EfPfEEv13rocblas_fill_17rocblas_diagonal_T1_iil, .Lfunc_end40-_ZN9rocsolver6v33100L18trti2_kernel_smallILi41EfPfEEv13rocblas_fill_17rocblas_diagonal_T1_iil
                                        ; -- End function
	.set _ZN9rocsolver6v33100L18trti2_kernel_smallILi41EfPfEEv13rocblas_fill_17rocblas_diagonal_T1_iil.num_vgpr, 124
	.set _ZN9rocsolver6v33100L18trti2_kernel_smallILi41EfPfEEv13rocblas_fill_17rocblas_diagonal_T1_iil.num_agpr, 0
	.set _ZN9rocsolver6v33100L18trti2_kernel_smallILi41EfPfEEv13rocblas_fill_17rocblas_diagonal_T1_iil.numbered_sgpr, 54
	.set _ZN9rocsolver6v33100L18trti2_kernel_smallILi41EfPfEEv13rocblas_fill_17rocblas_diagonal_T1_iil.num_named_barrier, 0
	.set _ZN9rocsolver6v33100L18trti2_kernel_smallILi41EfPfEEv13rocblas_fill_17rocblas_diagonal_T1_iil.private_seg_size, 176
	.set _ZN9rocsolver6v33100L18trti2_kernel_smallILi41EfPfEEv13rocblas_fill_17rocblas_diagonal_T1_iil.uses_vcc, 1
	.set _ZN9rocsolver6v33100L18trti2_kernel_smallILi41EfPfEEv13rocblas_fill_17rocblas_diagonal_T1_iil.uses_flat_scratch, 0
	.set _ZN9rocsolver6v33100L18trti2_kernel_smallILi41EfPfEEv13rocblas_fill_17rocblas_diagonal_T1_iil.has_dyn_sized_stack, 0
	.set _ZN9rocsolver6v33100L18trti2_kernel_smallILi41EfPfEEv13rocblas_fill_17rocblas_diagonal_T1_iil.has_recursion, 0
	.set _ZN9rocsolver6v33100L18trti2_kernel_smallILi41EfPfEEv13rocblas_fill_17rocblas_diagonal_T1_iil.has_indirect_call, 0
	.section	.AMDGPU.csdata,"",@progbits
; Kernel info:
; codeLenInByte = 19828
; TotalNumSgprs: 58
; NumVgprs: 124
; ScratchSize: 176
; MemoryBound: 0
; FloatMode: 240
; IeeeMode: 1
; LDSByteSize: 340 bytes/workgroup (compile time only)
; SGPRBlocks: 7
; VGPRBlocks: 30
; NumSGPRsForWavesPerEU: 58
; NumVGPRsForWavesPerEU: 124
; Occupancy: 2
; WaveLimiterHint : 0
; COMPUTE_PGM_RSRC2:SCRATCH_EN: 1
; COMPUTE_PGM_RSRC2:USER_SGPR: 6
; COMPUTE_PGM_RSRC2:TRAP_HANDLER: 0
; COMPUTE_PGM_RSRC2:TGID_X_EN: 1
; COMPUTE_PGM_RSRC2:TGID_Y_EN: 0
; COMPUTE_PGM_RSRC2:TGID_Z_EN: 0
; COMPUTE_PGM_RSRC2:TIDIG_COMP_CNT: 0
	.section	.text._ZN9rocsolver6v33100L18trti2_kernel_smallILi42EfPfEEv13rocblas_fill_17rocblas_diagonal_T1_iil,"axG",@progbits,_ZN9rocsolver6v33100L18trti2_kernel_smallILi42EfPfEEv13rocblas_fill_17rocblas_diagonal_T1_iil,comdat
	.globl	_ZN9rocsolver6v33100L18trti2_kernel_smallILi42EfPfEEv13rocblas_fill_17rocblas_diagonal_T1_iil ; -- Begin function _ZN9rocsolver6v33100L18trti2_kernel_smallILi42EfPfEEv13rocblas_fill_17rocblas_diagonal_T1_iil
	.p2align	8
	.type	_ZN9rocsolver6v33100L18trti2_kernel_smallILi42EfPfEEv13rocblas_fill_17rocblas_diagonal_T1_iil,@function
_ZN9rocsolver6v33100L18trti2_kernel_smallILi42EfPfEEv13rocblas_fill_17rocblas_diagonal_T1_iil: ; @_ZN9rocsolver6v33100L18trti2_kernel_smallILi42EfPfEEv13rocblas_fill_17rocblas_diagonal_T1_iil
; %bb.0:
	s_add_u32 s0, s0, s7
	s_addc_u32 s1, s1, 0
	v_cmp_gt_u32_e32 vcc, 42, v0
	s_and_saveexec_b64 s[8:9], vcc
	s_cbranch_execz .LBB41_810
; %bb.1:
	s_load_dwordx8 s[8:15], s[4:5], 0x0
	s_ashr_i32 s7, s6, 31
	v_lshlrev_b32_e32 v85, 2, v0
	s_waitcnt lgkmcnt(0)
	s_ashr_i32 s5, s12, 31
	s_mov_b32 s4, s12
	s_mul_hi_u32 s12, s14, s6
	s_mul_i32 s7, s14, s7
	s_add_i32 s7, s12, s7
	s_mul_i32 s12, s15, s6
	s_add_i32 s7, s7, s12
	s_mul_i32 s6, s14, s6
	s_lshl_b64 s[6:7], s[6:7], 2
	s_add_u32 s6, s10, s6
	s_addc_u32 s7, s11, s7
	s_lshl_b64 s[4:5], s[4:5], 2
	s_add_u32 s4, s6, s4
	s_addc_u32 s5, s7, s5
	s_add_i32 s6, s13, s13
	v_add_u32_e32 v3, s6, v0
	v_ashrrev_i32_e32 v4, 31, v3
	v_lshlrev_b64 v[1:2], 2, v[3:4]
	v_add_u32_e32 v5, s13, v3
	v_mov_b32_e32 v4, s5
	v_add_co_u32_e32 v1, vcc, s4, v1
	v_ashrrev_i32_e32 v6, 31, v5
	v_addc_co_u32_e32 v2, vcc, v4, v2, vcc
	v_lshlrev_b64 v[3:4], 2, v[5:6]
	v_add_u32_e32 v7, s13, v5
	v_mov_b32_e32 v6, s5
	v_add_co_u32_e32 v3, vcc, s4, v3
	v_ashrrev_i32_e32 v8, 31, v7
	v_addc_co_u32_e32 v4, vcc, v6, v4, vcc
	;; [unrolled: 6-line block ×8, first 2 shown]
	v_lshlrev_b64 v[17:18], 2, v[19:20]
	v_mov_b32_e32 v21, s5
	v_add_co_u32_e32 v17, vcc, s4, v17
	v_addc_co_u32_e32 v18, vcc, v21, v18, vcc
	v_add_u32_e32 v21, s13, v19
	v_ashrrev_i32_e32 v22, 31, v21
	v_lshlrev_b64 v[19:20], 2, v[21:22]
	v_mov_b32_e32 v23, s5
	v_add_co_u32_e32 v19, vcc, s4, v19
	v_addc_co_u32_e32 v20, vcc, v23, v20, vcc
	v_add_u32_e32 v23, s13, v21
	v_ashrrev_i32_e32 v24, 31, v23
	;; [unrolled: 6-line block ×22, first 2 shown]
	v_lshlrev_b64 v[61:62], 2, v[63:64]
	v_mov_b32_e32 v65, s5
	v_add_co_u32_e32 v61, vcc, s4, v61
	v_addc_co_u32_e32 v62, vcc, v65, v62, vcc
	v_add_u32_e32 v65, s13, v63
	v_mov_b32_e32 v63, s5
	v_add_co_u32_e32 v71, vcc, s4, v85
	s_ashr_i32 s7, s13, 31
	s_mov_b32 s6, s13
	v_addc_co_u32_e32 v72, vcc, 0, v63, vcc
	s_lshl_b64 s[6:7], s[6:7], 2
	v_mov_b32_e32 v63, s7
	v_add_co_u32_e32 v75, vcc, s6, v71
	global_load_dword v86, v85, s[4:5]
	v_addc_co_u32_e32 v76, vcc, v72, v63, vcc
	global_load_dword v87, v[75:76], off
	global_load_dword v88, v[1:2], off
	;; [unrolled: 1-line block ×3, first 2 shown]
	v_ashrrev_i32_e32 v66, 31, v65
	v_lshlrev_b64 v[63:64], 2, v[65:66]
	v_mov_b32_e32 v67, s5
	v_add_co_u32_e32 v63, vcc, s4, v63
	v_addc_co_u32_e32 v64, vcc, v67, v64, vcc
	v_add_u32_e32 v67, s13, v65
	v_ashrrev_i32_e32 v68, 31, v67
	v_lshlrev_b64 v[65:66], 2, v[67:68]
	v_mov_b32_e32 v69, s5
	v_add_co_u32_e32 v65, vcc, s4, v65
	v_addc_co_u32_e32 v66, vcc, v69, v66, vcc
	v_add_u32_e32 v69, s13, v67
	;; [unrolled: 6-line block ×7, first 2 shown]
	v_ashrrev_i32_e32 v84, 31, v83
	v_lshlrev_b64 v[81:82], 2, v[83:84]
	v_add_u32_e32 v83, s13, v83
	v_ashrrev_i32_e32 v84, 31, v83
	v_mov_b32_e32 v90, s5
	v_add_co_u32_e32 v81, vcc, s4, v81
	v_lshlrev_b64 v[83:84], 2, v[83:84]
	v_addc_co_u32_e32 v82, vcc, v90, v82, vcc
	v_add_co_u32_e32 v83, vcc, s4, v83
	v_addc_co_u32_e32 v84, vcc, v90, v84, vcc
	global_load_dword v90, v[83:84], off
	s_cmpk_lg_i32 s9, 0x84
	s_movk_i32 s12, 0x84
	s_cselect_b64 s[10:11], -1, 0
	s_cmpk_eq_i32 s9, 0x84
	s_waitcnt vmcnt(4)
	buffer_store_dword v86, off, s[0:3], 0
	global_load_dword v86, v[5:6], off
	s_nop 0
	global_load_dword v91, v[7:8], off
	global_load_dword v92, v[9:10], off
	;; [unrolled: 1-line block ×4, first 2 shown]
	s_waitcnt vmcnt(9)
	buffer_store_dword v87, off, s[0:3], 0 offset:4
	s_waitcnt vmcnt(9)
	buffer_store_dword v88, off, s[0:3], 0 offset:8
	s_waitcnt vmcnt(9)
	buffer_store_dword v89, off, s[0:3], 0 offset:12
	global_load_dword v87, v[15:16], off
	global_load_dword v88, v[17:18], off
	s_nop 0
	global_load_dword v89, v[19:20], off
	global_load_dword v95, v[21:22], off
	;; [unrolled: 1-line block ×30, first 2 shown]
	s_waitcnt vmcnt(39)
	buffer_store_dword v86, off, s[0:3], 0 offset:16
	s_waitcnt vmcnt(39)
	buffer_store_dword v91, off, s[0:3], 0 offset:20
	;; [unrolled: 2-line block ×37, first 2 shown]
	buffer_store_dword v90, off, s[0:3], 0 offset:164
	v_mov_b32_e32 v86, -1.0
	s_cbranch_scc1 .LBB41_3
; %bb.2:
	v_mov_b32_e32 v86, 0
	v_lshl_add_u32 v86, v0, 2, v86
	buffer_load_dword v87, v86, s[0:3], 0 offen
	s_waitcnt vmcnt(0)
	v_div_scale_f32 v88, s[4:5], v87, v87, 1.0
	v_div_scale_f32 v89, vcc, 1.0, v87, 1.0
	v_rcp_f32_e32 v90, v88
	v_fma_f32 v91, -v88, v90, 1.0
	v_fmac_f32_e32 v90, v91, v90
	v_mul_f32_e32 v91, v89, v90
	v_fma_f32 v92, -v88, v91, v89
	v_fmac_f32_e32 v91, v92, v90
	v_fma_f32 v88, -v88, v91, v89
	v_div_fmas_f32 v88, v88, v90, v91
	v_div_fixup_f32 v87, v88, v87, 1.0
	buffer_store_dword v87, v86, s[0:3], 0 offen
	v_xor_b32_e32 v86, 0x80000000, v87
.LBB41_3:
	ds_write_b32 v85, v86
	s_cmpk_eq_i32 s8, 0x79
	v_add_u32_e32 v86, 0xb0, v85
	v_mov_b32_e32 v87, v85
	s_mov_b64 s[4:5], -1
	s_cbranch_scc1 .LBB41_407
; %bb.4:
	buffer_load_dword v88, off, s[0:3], 0 offset:160
	s_movk_i32 s30, 0x44
	s_movk_i32 s31, 0x48
	;; [unrolled: 1-line block ×22, first 2 shown]
	v_cmp_eq_u32_e64 s[4:5], 41, v0
	s_waitcnt vmcnt(0)
	ds_write_b32 v86, v88
	s_waitcnt lgkmcnt(0)
	; wave barrier
	s_and_saveexec_b64 s[6:7], s[4:5]
	s_cbranch_execz .LBB41_10
; %bb.5:
	s_and_b64 vcc, exec, s[10:11]
	s_cbranch_vccz .LBB41_7
; %bb.6:
	buffer_load_dword v88, v87, s[0:3], 0 offen
	ds_read_b32 v89, v86
	s_waitcnt vmcnt(0) lgkmcnt(0)
	v_mul_f32_e32 v88, v88, v89
	s_cbranch_execz .LBB41_8
	s_branch .LBB41_9
.LBB41_7:
                                        ; implicit-def: $vgpr88
.LBB41_8:
	ds_read_b32 v88, v86
.LBB41_9:
	v_mov_b32_e32 v89, 0
	ds_read_b32 v89, v89 offset:160
	s_waitcnt lgkmcnt(0)
	v_mul_f32_e32 v88, v88, v89
	buffer_store_dword v88, off, s[0:3], 0 offset:160
.LBB41_10:
	s_or_b64 exec, exec, s[6:7]
	buffer_load_dword v88, off, s[0:3], 0 offset:156
	s_or_b32 s14, 0, 4
	s_or_b32 s15, 0, 8
	;; [unrolled: 1-line block ×3, first 2 shown]
	s_mov_b32 s17, 16
	s_mov_b32 s18, 20
	;; [unrolled: 1-line block ×15, first 2 shown]
	v_cmp_lt_u32_e64 s[6:7], 39, v0
	s_waitcnt vmcnt(0)
	ds_write_b32 v86, v88
	s_waitcnt lgkmcnt(0)
	; wave barrier
	s_and_saveexec_b64 s[8:9], s[6:7]
	s_cbranch_execz .LBB41_16
; %bb.11:
	s_andn2_b64 vcc, exec, s[10:11]
	s_cbranch_vccnz .LBB41_13
; %bb.12:
	buffer_load_dword v88, v87, s[0:3], 0 offen
	ds_read_b32 v89, v86
	s_waitcnt vmcnt(0) lgkmcnt(0)
	v_mul_f32_e32 v88, v88, v89
	s_cbranch_execz .LBB41_14
	s_branch .LBB41_15
.LBB41_13:
                                        ; implicit-def: $vgpr88
.LBB41_14:
	ds_read_b32 v88, v86
.LBB41_15:
	buffer_load_dword v91, off, s[0:3], 0 offset:160
	v_mov_b32_e32 v89, 0
	ds_read2_b32 v[89:90], v89 offset0:39 offset1:84
	s_waitcnt vmcnt(0) lgkmcnt(0)
	v_fma_f32 v90, v91, v90, v88
	v_cndmask_b32_e64 v88, v88, v90, s[4:5]
	v_mul_f32_e32 v88, v88, v89
	buffer_store_dword v88, off, s[0:3], 0 offset:156
.LBB41_16:
	s_or_b64 exec, exec, s[8:9]
	buffer_load_dword v88, off, s[0:3], 0 offset:152
	v_cmp_lt_u32_e64 s[4:5], 38, v0
	s_waitcnt vmcnt(0)
	ds_write_b32 v86, v88
	s_waitcnt lgkmcnt(0)
	; wave barrier
	s_and_saveexec_b64 s[8:9], s[4:5]
	s_cbranch_execz .LBB41_26
; %bb.17:
	s_andn2_b64 vcc, exec, s[10:11]
	s_cbranch_vccnz .LBB41_19
; %bb.18:
	buffer_load_dword v88, v87, s[0:3], 0 offen
	ds_read_b32 v89, v86
	s_waitcnt vmcnt(0) lgkmcnt(0)
	v_mul_f32_e32 v88, v88, v89
	s_cbranch_execz .LBB41_20
	s_branch .LBB41_21
.LBB41_19:
                                        ; implicit-def: $vgpr88
.LBB41_20:
	ds_read_b32 v88, v86
.LBB41_21:
	s_and_saveexec_b64 s[12:13], s[6:7]
	s_cbranch_execz .LBB41_25
; %bb.22:
	v_subrev_u32_e32 v89, 39, v0
	s_movk_i32 s54, 0x14c
	s_mov_b64 s[6:7], 0
.LBB41_23:                              ; =>This Inner Loop Header: Depth=1
	v_mov_b32_e32 v90, s53
	buffer_load_dword v90, v90, s[0:3], 0 offen
	v_mov_b32_e32 v91, s54
	ds_read_b32 v91, v91
	v_add_u32_e32 v89, -1, v89
	s_add_i32 s54, s54, 4
	s_add_i32 s53, s53, 4
	v_cmp_eq_u32_e32 vcc, 0, v89
	s_or_b64 s[6:7], vcc, s[6:7]
	s_waitcnt vmcnt(0) lgkmcnt(0)
	v_fmac_f32_e32 v88, v90, v91
	s_andn2_b64 exec, exec, s[6:7]
	s_cbranch_execnz .LBB41_23
; %bb.24:
	s_or_b64 exec, exec, s[6:7]
.LBB41_25:
	s_or_b64 exec, exec, s[12:13]
	v_mov_b32_e32 v89, 0
	ds_read_b32 v89, v89 offset:152
	s_waitcnt lgkmcnt(0)
	v_mul_f32_e32 v88, v88, v89
	buffer_store_dword v88, off, s[0:3], 0 offset:152
.LBB41_26:
	s_or_b64 exec, exec, s[8:9]
	buffer_load_dword v88, off, s[0:3], 0 offset:148
	v_cmp_lt_u32_e64 s[6:7], 37, v0
	s_waitcnt vmcnt(0)
	ds_write_b32 v86, v88
	s_waitcnt lgkmcnt(0)
	; wave barrier
	s_and_saveexec_b64 s[8:9], s[6:7]
	s_cbranch_execz .LBB41_36
; %bb.27:
	s_andn2_b64 vcc, exec, s[10:11]
	s_cbranch_vccnz .LBB41_29
; %bb.28:
	buffer_load_dword v88, v87, s[0:3], 0 offen
	ds_read_b32 v89, v86
	s_waitcnt vmcnt(0) lgkmcnt(0)
	v_mul_f32_e32 v88, v88, v89
	s_cbranch_execz .LBB41_30
	s_branch .LBB41_31
.LBB41_29:
                                        ; implicit-def: $vgpr88
.LBB41_30:
	ds_read_b32 v88, v86
.LBB41_31:
	s_and_saveexec_b64 s[12:13], s[4:5]
	s_cbranch_execz .LBB41_35
; %bb.32:
	v_subrev_u32_e32 v89, 38, v0
	s_movk_i32 s53, 0x148
	s_mov_b64 s[4:5], 0
.LBB41_33:                              ; =>This Inner Loop Header: Depth=1
	v_mov_b32_e32 v90, s52
	buffer_load_dword v90, v90, s[0:3], 0 offen
	v_mov_b32_e32 v91, s53
	ds_read_b32 v91, v91
	v_add_u32_e32 v89, -1, v89
	s_add_i32 s53, s53, 4
	s_add_i32 s52, s52, 4
	v_cmp_eq_u32_e32 vcc, 0, v89
	s_or_b64 s[4:5], vcc, s[4:5]
	s_waitcnt vmcnt(0) lgkmcnt(0)
	v_fmac_f32_e32 v88, v90, v91
	s_andn2_b64 exec, exec, s[4:5]
	s_cbranch_execnz .LBB41_33
; %bb.34:
	s_or_b64 exec, exec, s[4:5]
.LBB41_35:
	s_or_b64 exec, exec, s[12:13]
	v_mov_b32_e32 v89, 0
	ds_read_b32 v89, v89 offset:148
	s_waitcnt lgkmcnt(0)
	v_mul_f32_e32 v88, v88, v89
	buffer_store_dword v88, off, s[0:3], 0 offset:148
.LBB41_36:
	;; [unrolled: 54-line block ×8, first 2 shown]
	s_or_b64 exec, exec, s[8:9]
	buffer_load_dword v88, off, s[0:3], 0 offset:120
	v_cmp_lt_u32_e64 s[4:5], 30, v0
	s_waitcnt vmcnt(0)
	ds_write_b32 v86, v88
	s_waitcnt lgkmcnt(0)
	; wave barrier
	s_and_saveexec_b64 s[8:9], s[4:5]
	s_cbranch_execz .LBB41_106
; %bb.97:
	s_andn2_b64 vcc, exec, s[10:11]
	s_cbranch_vccnz .LBB41_99
; %bb.98:
	buffer_load_dword v88, v87, s[0:3], 0 offen
	ds_read_b32 v89, v86
	s_waitcnt vmcnt(0) lgkmcnt(0)
	v_mul_f32_e32 v88, v88, v89
	s_cbranch_execz .LBB41_100
	s_branch .LBB41_101
.LBB41_99:
                                        ; implicit-def: $vgpr88
.LBB41_100:
	ds_read_b32 v88, v86
.LBB41_101:
	s_and_saveexec_b64 s[12:13], s[6:7]
	s_cbranch_execz .LBB41_105
; %bb.102:
	v_subrev_u32_e32 v89, 31, v0
	s_movk_i32 s46, 0x12c
	s_mov_b64 s[6:7], 0
.LBB41_103:                             ; =>This Inner Loop Header: Depth=1
	v_mov_b32_e32 v90, s45
	buffer_load_dword v90, v90, s[0:3], 0 offen
	v_mov_b32_e32 v91, s46
	ds_read_b32 v91, v91
	v_add_u32_e32 v89, -1, v89
	s_add_i32 s46, s46, 4
	s_add_i32 s45, s45, 4
	v_cmp_eq_u32_e32 vcc, 0, v89
	s_or_b64 s[6:7], vcc, s[6:7]
	s_waitcnt vmcnt(0) lgkmcnt(0)
	v_fmac_f32_e32 v88, v90, v91
	s_andn2_b64 exec, exec, s[6:7]
	s_cbranch_execnz .LBB41_103
; %bb.104:
	s_or_b64 exec, exec, s[6:7]
.LBB41_105:
	s_or_b64 exec, exec, s[12:13]
	v_mov_b32_e32 v89, 0
	ds_read_b32 v89, v89 offset:120
	s_waitcnt lgkmcnt(0)
	v_mul_f32_e32 v88, v88, v89
	buffer_store_dword v88, off, s[0:3], 0 offset:120
.LBB41_106:
	s_or_b64 exec, exec, s[8:9]
	buffer_load_dword v88, off, s[0:3], 0 offset:116
	v_cmp_lt_u32_e64 s[6:7], 29, v0
	s_waitcnt vmcnt(0)
	ds_write_b32 v86, v88
	s_waitcnt lgkmcnt(0)
	; wave barrier
	s_and_saveexec_b64 s[8:9], s[6:7]
	s_cbranch_execz .LBB41_116
; %bb.107:
	s_andn2_b64 vcc, exec, s[10:11]
	s_cbranch_vccnz .LBB41_109
; %bb.108:
	buffer_load_dword v88, v87, s[0:3], 0 offen
	ds_read_b32 v89, v86
	s_waitcnt vmcnt(0) lgkmcnt(0)
	v_mul_f32_e32 v88, v88, v89
	s_cbranch_execz .LBB41_110
	s_branch .LBB41_111
.LBB41_109:
                                        ; implicit-def: $vgpr88
.LBB41_110:
	ds_read_b32 v88, v86
.LBB41_111:
	s_and_saveexec_b64 s[12:13], s[4:5]
	s_cbranch_execz .LBB41_115
; %bb.112:
	v_subrev_u32_e32 v89, 30, v0
	s_movk_i32 s45, 0x128
	s_mov_b64 s[4:5], 0
.LBB41_113:                             ; =>This Inner Loop Header: Depth=1
	v_mov_b32_e32 v90, s44
	buffer_load_dword v90, v90, s[0:3], 0 offen
	v_mov_b32_e32 v91, s45
	ds_read_b32 v91, v91
	v_add_u32_e32 v89, -1, v89
	s_add_i32 s45, s45, 4
	s_add_i32 s44, s44, 4
	v_cmp_eq_u32_e32 vcc, 0, v89
	s_or_b64 s[4:5], vcc, s[4:5]
	s_waitcnt vmcnt(0) lgkmcnt(0)
	v_fmac_f32_e32 v88, v90, v91
	s_andn2_b64 exec, exec, s[4:5]
	s_cbranch_execnz .LBB41_113
; %bb.114:
	s_or_b64 exec, exec, s[4:5]
.LBB41_115:
	s_or_b64 exec, exec, s[12:13]
	v_mov_b32_e32 v89, 0
	ds_read_b32 v89, v89 offset:116
	s_waitcnt lgkmcnt(0)
	v_mul_f32_e32 v88, v88, v89
	buffer_store_dword v88, off, s[0:3], 0 offset:116
.LBB41_116:
	;; [unrolled: 54-line block ×15, first 2 shown]
	s_or_b64 exec, exec, s[8:9]
	buffer_load_dword v88, off, s[0:3], 0 offset:60
	v_cmp_lt_u32_e64 s[6:7], 15, v0
	s_waitcnt vmcnt(0)
	ds_write_b32 v86, v88
	s_waitcnt lgkmcnt(0)
	; wave barrier
	s_and_saveexec_b64 s[8:9], s[6:7]
	s_cbranch_execz .LBB41_256
; %bb.247:
	s_andn2_b64 vcc, exec, s[10:11]
	s_cbranch_vccnz .LBB41_249
; %bb.248:
	buffer_load_dword v88, v87, s[0:3], 0 offen
	ds_read_b32 v89, v86
	s_waitcnt vmcnt(0) lgkmcnt(0)
	v_mul_f32_e32 v88, v88, v89
	s_cbranch_execz .LBB41_250
	s_branch .LBB41_251
.LBB41_249:
                                        ; implicit-def: $vgpr88
.LBB41_250:
	ds_read_b32 v88, v86
.LBB41_251:
	s_and_saveexec_b64 s[12:13], s[4:5]
	s_cbranch_execz .LBB41_255
; %bb.252:
	v_add_u32_e32 v89, -16, v0
	s_movk_i32 s30, 0xf0
	s_mov_b64 s[4:5], 0
.LBB41_253:                             ; =>This Inner Loop Header: Depth=1
	v_mov_b32_e32 v90, s29
	buffer_load_dword v90, v90, s[0:3], 0 offen
	v_mov_b32_e32 v91, s30
	ds_read_b32 v91, v91
	v_add_u32_e32 v89, -1, v89
	s_add_i32 s30, s30, 4
	s_add_i32 s29, s29, 4
	v_cmp_eq_u32_e32 vcc, 0, v89
	s_or_b64 s[4:5], vcc, s[4:5]
	s_waitcnt vmcnt(0) lgkmcnt(0)
	v_fmac_f32_e32 v88, v90, v91
	s_andn2_b64 exec, exec, s[4:5]
	s_cbranch_execnz .LBB41_253
; %bb.254:
	s_or_b64 exec, exec, s[4:5]
.LBB41_255:
	s_or_b64 exec, exec, s[12:13]
	v_mov_b32_e32 v89, 0
	ds_read_b32 v89, v89 offset:60
	s_waitcnt lgkmcnt(0)
	v_mul_f32_e32 v88, v88, v89
	buffer_store_dword v88, off, s[0:3], 0 offset:60
.LBB41_256:
	s_or_b64 exec, exec, s[8:9]
	buffer_load_dword v88, off, s[0:3], 0 offset:56
	v_cmp_lt_u32_e64 s[4:5], 14, v0
	s_waitcnt vmcnt(0)
	ds_write_b32 v86, v88
	s_waitcnt lgkmcnt(0)
	; wave barrier
	s_and_saveexec_b64 s[8:9], s[4:5]
	s_cbranch_execz .LBB41_266
; %bb.257:
	s_andn2_b64 vcc, exec, s[10:11]
	s_cbranch_vccnz .LBB41_259
; %bb.258:
	buffer_load_dword v88, v87, s[0:3], 0 offen
	ds_read_b32 v89, v86
	s_waitcnt vmcnt(0) lgkmcnt(0)
	v_mul_f32_e32 v88, v88, v89
	s_cbranch_execz .LBB41_260
	s_branch .LBB41_261
.LBB41_259:
                                        ; implicit-def: $vgpr88
.LBB41_260:
	ds_read_b32 v88, v86
.LBB41_261:
	s_and_saveexec_b64 s[12:13], s[6:7]
	s_cbranch_execz .LBB41_265
; %bb.262:
	v_add_u32_e32 v89, -15, v0
	s_movk_i32 s29, 0xec
	s_mov_b64 s[6:7], 0
.LBB41_263:                             ; =>This Inner Loop Header: Depth=1
	v_mov_b32_e32 v90, s28
	buffer_load_dword v90, v90, s[0:3], 0 offen
	v_mov_b32_e32 v91, s29
	ds_read_b32 v91, v91
	v_add_u32_e32 v89, -1, v89
	s_add_i32 s29, s29, 4
	s_add_i32 s28, s28, 4
	v_cmp_eq_u32_e32 vcc, 0, v89
	s_or_b64 s[6:7], vcc, s[6:7]
	s_waitcnt vmcnt(0) lgkmcnt(0)
	v_fmac_f32_e32 v88, v90, v91
	s_andn2_b64 exec, exec, s[6:7]
	s_cbranch_execnz .LBB41_263
; %bb.264:
	s_or_b64 exec, exec, s[6:7]
.LBB41_265:
	s_or_b64 exec, exec, s[12:13]
	v_mov_b32_e32 v89, 0
	ds_read_b32 v89, v89 offset:56
	s_waitcnt lgkmcnt(0)
	v_mul_f32_e32 v88, v88, v89
	buffer_store_dword v88, off, s[0:3], 0 offset:56
.LBB41_266:
	;; [unrolled: 54-line block ×15, first 2 shown]
	s_or_b64 exec, exec, s[8:9]
	buffer_load_dword v88, off, s[0:3], 0
	v_cmp_ne_u32_e32 vcc, 0, v0
	s_waitcnt vmcnt(0)
	ds_write_b32 v86, v88
	s_waitcnt lgkmcnt(0)
	; wave barrier
	s_and_saveexec_b64 s[4:5], vcc
	s_cbranch_execz .LBB41_406
; %bb.397:
	s_andn2_b64 vcc, exec, s[10:11]
	s_cbranch_vccnz .LBB41_399
; %bb.398:
	buffer_load_dword v88, v87, s[0:3], 0 offen
	ds_read_b32 v89, v86
	s_waitcnt vmcnt(0) lgkmcnt(0)
	v_mul_f32_e32 v88, v88, v89
	s_cbranch_execz .LBB41_400
	s_branch .LBB41_401
.LBB41_399:
                                        ; implicit-def: $vgpr88
.LBB41_400:
	ds_read_b32 v88, v86
.LBB41_401:
	s_and_saveexec_b64 s[8:9], s[6:7]
	s_cbranch_execz .LBB41_405
; %bb.402:
	v_add_u32_e32 v89, -1, v0
	s_movk_i32 s12, 0xb4
	s_mov_b64 s[6:7], 0
.LBB41_403:                             ; =>This Inner Loop Header: Depth=1
	v_mov_b32_e32 v90, s14
	buffer_load_dword v90, v90, s[0:3], 0 offen
	v_mov_b32_e32 v91, s12
	ds_read_b32 v91, v91
	v_add_u32_e32 v89, -1, v89
	s_add_i32 s12, s12, 4
	s_add_i32 s14, s14, 4
	v_cmp_eq_u32_e32 vcc, 0, v89
	s_or_b64 s[6:7], vcc, s[6:7]
	s_waitcnt vmcnt(0) lgkmcnt(0)
	v_fmac_f32_e32 v88, v90, v91
	s_andn2_b64 exec, exec, s[6:7]
	s_cbranch_execnz .LBB41_403
; %bb.404:
	s_or_b64 exec, exec, s[6:7]
.LBB41_405:
	s_or_b64 exec, exec, s[8:9]
	v_mov_b32_e32 v89, 0
	ds_read_b32 v89, v89
	s_waitcnt lgkmcnt(0)
	v_mul_f32_e32 v88, v88, v89
	buffer_store_dword v88, off, s[0:3], 0
.LBB41_406:
	s_or_b64 exec, exec, s[4:5]
	s_mov_b64 s[4:5], 0
.LBB41_407:
	s_and_b64 vcc, exec, s[4:5]
	s_cbranch_vccz .LBB41_809
; %bb.408:
	buffer_load_dword v88, off, s[0:3], 0 offset:4
	v_cmp_eq_u32_e64 s[6:7], 0, v0
	s_waitcnt vmcnt(0)
	ds_write_b32 v86, v88
	s_waitcnt lgkmcnt(0)
	; wave barrier
	s_and_saveexec_b64 s[4:5], s[6:7]
	s_cbranch_execz .LBB41_414
; %bb.409:
	s_and_b64 vcc, exec, s[10:11]
	s_cbranch_vccz .LBB41_411
; %bb.410:
	buffer_load_dword v88, v87, s[0:3], 0 offen
	ds_read_b32 v89, v86
	s_waitcnt vmcnt(0) lgkmcnt(0)
	v_mul_f32_e32 v88, v88, v89
	s_cbranch_execz .LBB41_412
	s_branch .LBB41_413
.LBB41_411:
                                        ; implicit-def: $vgpr88
.LBB41_412:
	ds_read_b32 v88, v86
.LBB41_413:
	v_mov_b32_e32 v89, 0
	ds_read_b32 v89, v89 offset:4
	s_waitcnt lgkmcnt(0)
	v_mul_f32_e32 v88, v88, v89
	buffer_store_dword v88, off, s[0:3], 0 offset:4
.LBB41_414:
	s_or_b64 exec, exec, s[4:5]
	buffer_load_dword v88, off, s[0:3], 0 offset:8
	v_cndmask_b32_e64 v89, 0, 1, s[10:11]
	v_cmp_gt_u32_e32 vcc, 2, v0
	v_cmp_ne_u32_e64 s[4:5], 1, v89
	s_waitcnt vmcnt(0)
	ds_write_b32 v86, v88
	s_waitcnt lgkmcnt(0)
	; wave barrier
	s_and_saveexec_b64 s[8:9], vcc
	s_cbranch_execz .LBB41_420
; %bb.415:
	s_and_b64 vcc, exec, s[4:5]
	s_cbranch_vccnz .LBB41_417
; %bb.416:
	buffer_load_dword v88, v87, s[0:3], 0 offen
	ds_read_b32 v89, v86
	s_waitcnt vmcnt(0) lgkmcnt(0)
	v_mul_f32_e32 v88, v88, v89
	s_cbranch_execz .LBB41_418
	s_branch .LBB41_419
.LBB41_417:
                                        ; implicit-def: $vgpr88
.LBB41_418:
	ds_read_b32 v88, v86
.LBB41_419:
	buffer_load_dword v91, off, s[0:3], 0 offset:4
	v_mov_b32_e32 v89, 0
	ds_read2_b32 v[89:90], v89 offset0:2 offset1:45
	s_waitcnt vmcnt(0) lgkmcnt(0)
	v_fma_f32 v90, v91, v90, v88
	v_cndmask_b32_e64 v88, v88, v90, s[6:7]
	v_mul_f32_e32 v88, v88, v89
	buffer_store_dword v88, off, s[0:3], 0 offset:8
.LBB41_420:
	s_or_b64 exec, exec, s[8:9]
	buffer_load_dword v88, off, s[0:3], 0 offset:12
	v_cmp_gt_u32_e32 vcc, 3, v0
	s_waitcnt vmcnt(0)
	ds_write_b32 v86, v88
	s_waitcnt lgkmcnt(0)
	; wave barrier
	s_and_saveexec_b64 s[8:9], vcc
	s_cbranch_execz .LBB41_428
; %bb.421:
	s_and_b64 vcc, exec, s[4:5]
	s_cbranch_vccnz .LBB41_423
; %bb.422:
	buffer_load_dword v88, v87, s[0:3], 0 offen
	ds_read_b32 v89, v86
	s_waitcnt vmcnt(0) lgkmcnt(0)
	v_mul_f32_e32 v88, v88, v89
	s_cbranch_execz .LBB41_424
	s_branch .LBB41_425
.LBB41_423:
                                        ; implicit-def: $vgpr88
.LBB41_424:
	ds_read_b32 v88, v86
.LBB41_425:
	v_cmp_ne_u32_e32 vcc, 2, v0
	s_and_saveexec_b64 s[10:11], vcc
	s_cbranch_execz .LBB41_427
; %bb.426:
	buffer_load_dword v89, v87, s[0:3], 0 offen offset:4
	buffer_load_dword v90, off, s[0:3], 0 offset:8
	v_mov_b32_e32 v91, 0
	ds_read_b32 v92, v86 offset:4
	ds_read_b32 v91, v91 offset:184
	s_waitcnt vmcnt(1) lgkmcnt(1)
	v_fmac_f32_e32 v88, v89, v92
	s_waitcnt vmcnt(0) lgkmcnt(0)
	v_fma_f32 v89, v90, v91, v88
	v_cndmask_b32_e64 v88, v88, v89, s[6:7]
.LBB41_427:
	s_or_b64 exec, exec, s[10:11]
	v_mov_b32_e32 v89, 0
	ds_read_b32 v89, v89 offset:12
	s_waitcnt lgkmcnt(0)
	v_mul_f32_e32 v88, v88, v89
	buffer_store_dword v88, off, s[0:3], 0 offset:12
.LBB41_428:
	s_or_b64 exec, exec, s[8:9]
	buffer_load_dword v88, off, s[0:3], 0 offset:16
	v_cmp_gt_u32_e32 vcc, 4, v0
	s_waitcnt vmcnt(0)
	ds_write_b32 v86, v88
	s_waitcnt lgkmcnt(0)
	; wave barrier
	s_and_saveexec_b64 s[6:7], vcc
	s_cbranch_execz .LBB41_438
; %bb.429:
	s_and_b64 vcc, exec, s[4:5]
	s_cbranch_vccnz .LBB41_431
; %bb.430:
	buffer_load_dword v88, v87, s[0:3], 0 offen
	ds_read_b32 v89, v86
	s_waitcnt vmcnt(0) lgkmcnt(0)
	v_mul_f32_e32 v88, v88, v89
	s_cbranch_execz .LBB41_432
	s_branch .LBB41_433
.LBB41_431:
                                        ; implicit-def: $vgpr88
.LBB41_432:
	ds_read_b32 v88, v86
.LBB41_433:
	v_cmp_ne_u32_e32 vcc, 3, v0
	s_and_saveexec_b64 s[8:9], vcc
	s_cbranch_execz .LBB41_437
; %bb.434:
	s_mov_b32 s10, 0
	v_add_u32_e32 v89, 0xb4, v85
	v_add3_u32 v90, v85, s10, 4
	s_mov_b64 s[10:11], 0
	v_mov_b32_e32 v91, v0
.LBB41_435:                             ; =>This Inner Loop Header: Depth=1
	buffer_load_dword v92, v90, s[0:3], 0 offen
	ds_read_b32 v93, v89
	v_add_u32_e32 v91, 1, v91
	v_cmp_lt_u32_e32 vcc, 2, v91
	v_add_u32_e32 v89, 4, v89
	v_add_u32_e32 v90, 4, v90
	s_or_b64 s[10:11], vcc, s[10:11]
	s_waitcnt vmcnt(0) lgkmcnt(0)
	v_fmac_f32_e32 v88, v92, v93
	s_andn2_b64 exec, exec, s[10:11]
	s_cbranch_execnz .LBB41_435
; %bb.436:
	s_or_b64 exec, exec, s[10:11]
.LBB41_437:
	s_or_b64 exec, exec, s[8:9]
	v_mov_b32_e32 v89, 0
	ds_read_b32 v89, v89 offset:16
	s_waitcnt lgkmcnt(0)
	v_mul_f32_e32 v88, v88, v89
	buffer_store_dword v88, off, s[0:3], 0 offset:16
.LBB41_438:
	s_or_b64 exec, exec, s[6:7]
	buffer_load_dword v88, off, s[0:3], 0 offset:20
	v_cmp_gt_u32_e32 vcc, 5, v0
	s_waitcnt vmcnt(0)
	ds_write_b32 v86, v88
	s_waitcnt lgkmcnt(0)
	; wave barrier
	s_and_saveexec_b64 s[6:7], vcc
	s_cbranch_execz .LBB41_448
; %bb.439:
	s_and_b64 vcc, exec, s[4:5]
	s_cbranch_vccnz .LBB41_441
; %bb.440:
	buffer_load_dword v88, v87, s[0:3], 0 offen
	ds_read_b32 v89, v86
	s_waitcnt vmcnt(0) lgkmcnt(0)
	v_mul_f32_e32 v88, v88, v89
	s_cbranch_execz .LBB41_442
	s_branch .LBB41_443
.LBB41_441:
                                        ; implicit-def: $vgpr88
.LBB41_442:
	ds_read_b32 v88, v86
.LBB41_443:
	v_cmp_ne_u32_e32 vcc, 4, v0
	s_and_saveexec_b64 s[8:9], vcc
	s_cbranch_execz .LBB41_447
; %bb.444:
	s_mov_b32 s10, 0
	v_add_u32_e32 v89, 0xb4, v85
	v_add3_u32 v90, v85, s10, 4
	s_mov_b64 s[10:11], 0
	v_mov_b32_e32 v91, v0
.LBB41_445:                             ; =>This Inner Loop Header: Depth=1
	buffer_load_dword v92, v90, s[0:3], 0 offen
	ds_read_b32 v93, v89
	v_add_u32_e32 v91, 1, v91
	v_cmp_lt_u32_e32 vcc, 3, v91
	v_add_u32_e32 v89, 4, v89
	v_add_u32_e32 v90, 4, v90
	s_or_b64 s[10:11], vcc, s[10:11]
	s_waitcnt vmcnt(0) lgkmcnt(0)
	v_fmac_f32_e32 v88, v92, v93
	s_andn2_b64 exec, exec, s[10:11]
	s_cbranch_execnz .LBB41_445
; %bb.446:
	s_or_b64 exec, exec, s[10:11]
.LBB41_447:
	s_or_b64 exec, exec, s[8:9]
	v_mov_b32_e32 v89, 0
	ds_read_b32 v89, v89 offset:20
	s_waitcnt lgkmcnt(0)
	v_mul_f32_e32 v88, v88, v89
	buffer_store_dword v88, off, s[0:3], 0 offset:20
.LBB41_448:
	s_or_b64 exec, exec, s[6:7]
	buffer_load_dword v88, off, s[0:3], 0 offset:24
	v_cmp_gt_u32_e32 vcc, 6, v0
	s_waitcnt vmcnt(0)
	ds_write_b32 v86, v88
	s_waitcnt lgkmcnt(0)
	; wave barrier
	s_and_saveexec_b64 s[6:7], vcc
	s_cbranch_execz .LBB41_458
; %bb.449:
	s_and_b64 vcc, exec, s[4:5]
	s_cbranch_vccnz .LBB41_451
; %bb.450:
	buffer_load_dword v88, v87, s[0:3], 0 offen
	ds_read_b32 v89, v86
	s_waitcnt vmcnt(0) lgkmcnt(0)
	v_mul_f32_e32 v88, v88, v89
	s_cbranch_execz .LBB41_452
	s_branch .LBB41_453
.LBB41_451:
                                        ; implicit-def: $vgpr88
.LBB41_452:
	ds_read_b32 v88, v86
.LBB41_453:
	v_cmp_ne_u32_e32 vcc, 5, v0
	s_and_saveexec_b64 s[8:9], vcc
	s_cbranch_execz .LBB41_457
; %bb.454:
	s_mov_b32 s10, 0
	v_add_u32_e32 v89, 0xb4, v85
	v_add3_u32 v90, v85, s10, 4
	s_mov_b64 s[10:11], 0
	v_mov_b32_e32 v91, v0
.LBB41_455:                             ; =>This Inner Loop Header: Depth=1
	buffer_load_dword v92, v90, s[0:3], 0 offen
	ds_read_b32 v93, v89
	v_add_u32_e32 v91, 1, v91
	v_cmp_lt_u32_e32 vcc, 4, v91
	v_add_u32_e32 v89, 4, v89
	v_add_u32_e32 v90, 4, v90
	s_or_b64 s[10:11], vcc, s[10:11]
	s_waitcnt vmcnt(0) lgkmcnt(0)
	v_fmac_f32_e32 v88, v92, v93
	s_andn2_b64 exec, exec, s[10:11]
	s_cbranch_execnz .LBB41_455
; %bb.456:
	s_or_b64 exec, exec, s[10:11]
.LBB41_457:
	s_or_b64 exec, exec, s[8:9]
	v_mov_b32_e32 v89, 0
	ds_read_b32 v89, v89 offset:24
	s_waitcnt lgkmcnt(0)
	v_mul_f32_e32 v88, v88, v89
	buffer_store_dword v88, off, s[0:3], 0 offset:24
.LBB41_458:
	s_or_b64 exec, exec, s[6:7]
	buffer_load_dword v88, off, s[0:3], 0 offset:28
	v_cmp_gt_u32_e32 vcc, 7, v0
	s_waitcnt vmcnt(0)
	ds_write_b32 v86, v88
	s_waitcnt lgkmcnt(0)
	; wave barrier
	s_and_saveexec_b64 s[6:7], vcc
	s_cbranch_execz .LBB41_468
; %bb.459:
	s_and_b64 vcc, exec, s[4:5]
	s_cbranch_vccnz .LBB41_461
; %bb.460:
	buffer_load_dword v88, v87, s[0:3], 0 offen
	ds_read_b32 v89, v86
	s_waitcnt vmcnt(0) lgkmcnt(0)
	v_mul_f32_e32 v88, v88, v89
	s_cbranch_execz .LBB41_462
	s_branch .LBB41_463
.LBB41_461:
                                        ; implicit-def: $vgpr88
.LBB41_462:
	ds_read_b32 v88, v86
.LBB41_463:
	v_cmp_ne_u32_e32 vcc, 6, v0
	s_and_saveexec_b64 s[8:9], vcc
	s_cbranch_execz .LBB41_467
; %bb.464:
	s_mov_b32 s10, 0
	v_add_u32_e32 v89, 0xb4, v85
	v_add3_u32 v90, v85, s10, 4
	s_mov_b64 s[10:11], 0
	v_mov_b32_e32 v91, v0
.LBB41_465:                             ; =>This Inner Loop Header: Depth=1
	buffer_load_dword v92, v90, s[0:3], 0 offen
	ds_read_b32 v93, v89
	v_add_u32_e32 v91, 1, v91
	v_cmp_lt_u32_e32 vcc, 5, v91
	v_add_u32_e32 v89, 4, v89
	v_add_u32_e32 v90, 4, v90
	s_or_b64 s[10:11], vcc, s[10:11]
	s_waitcnt vmcnt(0) lgkmcnt(0)
	v_fmac_f32_e32 v88, v92, v93
	s_andn2_b64 exec, exec, s[10:11]
	s_cbranch_execnz .LBB41_465
; %bb.466:
	s_or_b64 exec, exec, s[10:11]
.LBB41_467:
	s_or_b64 exec, exec, s[8:9]
	v_mov_b32_e32 v89, 0
	ds_read_b32 v89, v89 offset:28
	s_waitcnt lgkmcnt(0)
	v_mul_f32_e32 v88, v88, v89
	buffer_store_dword v88, off, s[0:3], 0 offset:28
.LBB41_468:
	s_or_b64 exec, exec, s[6:7]
	buffer_load_dword v88, off, s[0:3], 0 offset:32
	v_cmp_gt_u32_e32 vcc, 8, v0
	s_waitcnt vmcnt(0)
	ds_write_b32 v86, v88
	s_waitcnt lgkmcnt(0)
	; wave barrier
	s_and_saveexec_b64 s[6:7], vcc
	s_cbranch_execz .LBB41_478
; %bb.469:
	s_and_b64 vcc, exec, s[4:5]
	s_cbranch_vccnz .LBB41_471
; %bb.470:
	buffer_load_dword v88, v87, s[0:3], 0 offen
	ds_read_b32 v89, v86
	s_waitcnt vmcnt(0) lgkmcnt(0)
	v_mul_f32_e32 v88, v88, v89
	s_cbranch_execz .LBB41_472
	s_branch .LBB41_473
.LBB41_471:
                                        ; implicit-def: $vgpr88
.LBB41_472:
	ds_read_b32 v88, v86
.LBB41_473:
	v_cmp_ne_u32_e32 vcc, 7, v0
	s_and_saveexec_b64 s[8:9], vcc
	s_cbranch_execz .LBB41_477
; %bb.474:
	s_mov_b32 s10, 0
	v_add_u32_e32 v89, 0xb4, v85
	v_add3_u32 v90, v85, s10, 4
	s_mov_b64 s[10:11], 0
	v_mov_b32_e32 v91, v0
.LBB41_475:                             ; =>This Inner Loop Header: Depth=1
	buffer_load_dword v92, v90, s[0:3], 0 offen
	ds_read_b32 v93, v89
	v_add_u32_e32 v91, 1, v91
	v_cmp_lt_u32_e32 vcc, 6, v91
	v_add_u32_e32 v89, 4, v89
	v_add_u32_e32 v90, 4, v90
	s_or_b64 s[10:11], vcc, s[10:11]
	s_waitcnt vmcnt(0) lgkmcnt(0)
	v_fmac_f32_e32 v88, v92, v93
	s_andn2_b64 exec, exec, s[10:11]
	s_cbranch_execnz .LBB41_475
; %bb.476:
	s_or_b64 exec, exec, s[10:11]
.LBB41_477:
	s_or_b64 exec, exec, s[8:9]
	v_mov_b32_e32 v89, 0
	ds_read_b32 v89, v89 offset:32
	s_waitcnt lgkmcnt(0)
	v_mul_f32_e32 v88, v88, v89
	buffer_store_dword v88, off, s[0:3], 0 offset:32
.LBB41_478:
	s_or_b64 exec, exec, s[6:7]
	buffer_load_dword v88, off, s[0:3], 0 offset:36
	v_cmp_gt_u32_e32 vcc, 9, v0
	s_waitcnt vmcnt(0)
	ds_write_b32 v86, v88
	s_waitcnt lgkmcnt(0)
	; wave barrier
	s_and_saveexec_b64 s[6:7], vcc
	s_cbranch_execz .LBB41_488
; %bb.479:
	s_and_b64 vcc, exec, s[4:5]
	s_cbranch_vccnz .LBB41_481
; %bb.480:
	buffer_load_dword v88, v87, s[0:3], 0 offen
	ds_read_b32 v89, v86
	s_waitcnt vmcnt(0) lgkmcnt(0)
	v_mul_f32_e32 v88, v88, v89
	s_cbranch_execz .LBB41_482
	s_branch .LBB41_483
.LBB41_481:
                                        ; implicit-def: $vgpr88
.LBB41_482:
	ds_read_b32 v88, v86
.LBB41_483:
	v_cmp_ne_u32_e32 vcc, 8, v0
	s_and_saveexec_b64 s[8:9], vcc
	s_cbranch_execz .LBB41_487
; %bb.484:
	s_mov_b32 s10, 0
	v_add_u32_e32 v89, 0xb4, v85
	v_add3_u32 v90, v85, s10, 4
	s_mov_b64 s[10:11], 0
	v_mov_b32_e32 v91, v0
.LBB41_485:                             ; =>This Inner Loop Header: Depth=1
	buffer_load_dword v92, v90, s[0:3], 0 offen
	ds_read_b32 v93, v89
	v_add_u32_e32 v91, 1, v91
	v_cmp_lt_u32_e32 vcc, 7, v91
	v_add_u32_e32 v89, 4, v89
	v_add_u32_e32 v90, 4, v90
	s_or_b64 s[10:11], vcc, s[10:11]
	s_waitcnt vmcnt(0) lgkmcnt(0)
	v_fmac_f32_e32 v88, v92, v93
	s_andn2_b64 exec, exec, s[10:11]
	s_cbranch_execnz .LBB41_485
; %bb.486:
	s_or_b64 exec, exec, s[10:11]
.LBB41_487:
	s_or_b64 exec, exec, s[8:9]
	v_mov_b32_e32 v89, 0
	ds_read_b32 v89, v89 offset:36
	s_waitcnt lgkmcnt(0)
	v_mul_f32_e32 v88, v88, v89
	buffer_store_dword v88, off, s[0:3], 0 offset:36
.LBB41_488:
	s_or_b64 exec, exec, s[6:7]
	buffer_load_dword v88, off, s[0:3], 0 offset:40
	v_cmp_gt_u32_e32 vcc, 10, v0
	s_waitcnt vmcnt(0)
	ds_write_b32 v86, v88
	s_waitcnt lgkmcnt(0)
	; wave barrier
	s_and_saveexec_b64 s[6:7], vcc
	s_cbranch_execz .LBB41_498
; %bb.489:
	s_and_b64 vcc, exec, s[4:5]
	s_cbranch_vccnz .LBB41_491
; %bb.490:
	buffer_load_dword v88, v87, s[0:3], 0 offen
	ds_read_b32 v89, v86
	s_waitcnt vmcnt(0) lgkmcnt(0)
	v_mul_f32_e32 v88, v88, v89
	s_cbranch_execz .LBB41_492
	s_branch .LBB41_493
.LBB41_491:
                                        ; implicit-def: $vgpr88
.LBB41_492:
	ds_read_b32 v88, v86
.LBB41_493:
	v_cmp_ne_u32_e32 vcc, 9, v0
	s_and_saveexec_b64 s[8:9], vcc
	s_cbranch_execz .LBB41_497
; %bb.494:
	s_mov_b32 s10, 0
	v_add_u32_e32 v89, 0xb4, v85
	v_add3_u32 v90, v85, s10, 4
	s_mov_b64 s[10:11], 0
	v_mov_b32_e32 v91, v0
.LBB41_495:                             ; =>This Inner Loop Header: Depth=1
	buffer_load_dword v92, v90, s[0:3], 0 offen
	ds_read_b32 v93, v89
	v_add_u32_e32 v91, 1, v91
	v_cmp_lt_u32_e32 vcc, 8, v91
	v_add_u32_e32 v89, 4, v89
	v_add_u32_e32 v90, 4, v90
	s_or_b64 s[10:11], vcc, s[10:11]
	s_waitcnt vmcnt(0) lgkmcnt(0)
	v_fmac_f32_e32 v88, v92, v93
	s_andn2_b64 exec, exec, s[10:11]
	s_cbranch_execnz .LBB41_495
; %bb.496:
	s_or_b64 exec, exec, s[10:11]
.LBB41_497:
	s_or_b64 exec, exec, s[8:9]
	v_mov_b32_e32 v89, 0
	ds_read_b32 v89, v89 offset:40
	s_waitcnt lgkmcnt(0)
	v_mul_f32_e32 v88, v88, v89
	buffer_store_dword v88, off, s[0:3], 0 offset:40
.LBB41_498:
	s_or_b64 exec, exec, s[6:7]
	buffer_load_dword v88, off, s[0:3], 0 offset:44
	v_cmp_gt_u32_e32 vcc, 11, v0
	s_waitcnt vmcnt(0)
	ds_write_b32 v86, v88
	s_waitcnt lgkmcnt(0)
	; wave barrier
	s_and_saveexec_b64 s[6:7], vcc
	s_cbranch_execz .LBB41_508
; %bb.499:
	s_and_b64 vcc, exec, s[4:5]
	s_cbranch_vccnz .LBB41_501
; %bb.500:
	buffer_load_dword v88, v87, s[0:3], 0 offen
	ds_read_b32 v89, v86
	s_waitcnt vmcnt(0) lgkmcnt(0)
	v_mul_f32_e32 v88, v88, v89
	s_cbranch_execz .LBB41_502
	s_branch .LBB41_503
.LBB41_501:
                                        ; implicit-def: $vgpr88
.LBB41_502:
	ds_read_b32 v88, v86
.LBB41_503:
	v_cmp_ne_u32_e32 vcc, 10, v0
	s_and_saveexec_b64 s[8:9], vcc
	s_cbranch_execz .LBB41_507
; %bb.504:
	s_mov_b32 s10, 0
	v_add_u32_e32 v89, 0xb4, v85
	v_add3_u32 v90, v85, s10, 4
	s_mov_b64 s[10:11], 0
	v_mov_b32_e32 v91, v0
.LBB41_505:                             ; =>This Inner Loop Header: Depth=1
	buffer_load_dword v92, v90, s[0:3], 0 offen
	ds_read_b32 v93, v89
	v_add_u32_e32 v91, 1, v91
	v_cmp_lt_u32_e32 vcc, 9, v91
	v_add_u32_e32 v89, 4, v89
	v_add_u32_e32 v90, 4, v90
	s_or_b64 s[10:11], vcc, s[10:11]
	s_waitcnt vmcnt(0) lgkmcnt(0)
	v_fmac_f32_e32 v88, v92, v93
	s_andn2_b64 exec, exec, s[10:11]
	s_cbranch_execnz .LBB41_505
; %bb.506:
	s_or_b64 exec, exec, s[10:11]
.LBB41_507:
	s_or_b64 exec, exec, s[8:9]
	v_mov_b32_e32 v89, 0
	ds_read_b32 v89, v89 offset:44
	s_waitcnt lgkmcnt(0)
	v_mul_f32_e32 v88, v88, v89
	buffer_store_dword v88, off, s[0:3], 0 offset:44
.LBB41_508:
	s_or_b64 exec, exec, s[6:7]
	buffer_load_dword v88, off, s[0:3], 0 offset:48
	v_cmp_gt_u32_e32 vcc, 12, v0
	s_waitcnt vmcnt(0)
	ds_write_b32 v86, v88
	s_waitcnt lgkmcnt(0)
	; wave barrier
	s_and_saveexec_b64 s[6:7], vcc
	s_cbranch_execz .LBB41_518
; %bb.509:
	s_and_b64 vcc, exec, s[4:5]
	s_cbranch_vccnz .LBB41_511
; %bb.510:
	buffer_load_dword v88, v87, s[0:3], 0 offen
	ds_read_b32 v89, v86
	s_waitcnt vmcnt(0) lgkmcnt(0)
	v_mul_f32_e32 v88, v88, v89
	s_cbranch_execz .LBB41_512
	s_branch .LBB41_513
.LBB41_511:
                                        ; implicit-def: $vgpr88
.LBB41_512:
	ds_read_b32 v88, v86
.LBB41_513:
	v_cmp_ne_u32_e32 vcc, 11, v0
	s_and_saveexec_b64 s[8:9], vcc
	s_cbranch_execz .LBB41_517
; %bb.514:
	s_mov_b32 s10, 0
	v_add_u32_e32 v89, 0xb4, v85
	v_add3_u32 v90, v85, s10, 4
	s_mov_b64 s[10:11], 0
	v_mov_b32_e32 v91, v0
.LBB41_515:                             ; =>This Inner Loop Header: Depth=1
	buffer_load_dword v92, v90, s[0:3], 0 offen
	ds_read_b32 v93, v89
	v_add_u32_e32 v91, 1, v91
	v_cmp_lt_u32_e32 vcc, 10, v91
	v_add_u32_e32 v89, 4, v89
	v_add_u32_e32 v90, 4, v90
	s_or_b64 s[10:11], vcc, s[10:11]
	s_waitcnt vmcnt(0) lgkmcnt(0)
	v_fmac_f32_e32 v88, v92, v93
	s_andn2_b64 exec, exec, s[10:11]
	s_cbranch_execnz .LBB41_515
; %bb.516:
	s_or_b64 exec, exec, s[10:11]
.LBB41_517:
	s_or_b64 exec, exec, s[8:9]
	v_mov_b32_e32 v89, 0
	ds_read_b32 v89, v89 offset:48
	s_waitcnt lgkmcnt(0)
	v_mul_f32_e32 v88, v88, v89
	buffer_store_dword v88, off, s[0:3], 0 offset:48
.LBB41_518:
	s_or_b64 exec, exec, s[6:7]
	buffer_load_dword v88, off, s[0:3], 0 offset:52
	v_cmp_gt_u32_e32 vcc, 13, v0
	s_waitcnt vmcnt(0)
	ds_write_b32 v86, v88
	s_waitcnt lgkmcnt(0)
	; wave barrier
	s_and_saveexec_b64 s[6:7], vcc
	s_cbranch_execz .LBB41_528
; %bb.519:
	s_and_b64 vcc, exec, s[4:5]
	s_cbranch_vccnz .LBB41_521
; %bb.520:
	buffer_load_dword v88, v87, s[0:3], 0 offen
	ds_read_b32 v89, v86
	s_waitcnt vmcnt(0) lgkmcnt(0)
	v_mul_f32_e32 v88, v88, v89
	s_cbranch_execz .LBB41_522
	s_branch .LBB41_523
.LBB41_521:
                                        ; implicit-def: $vgpr88
.LBB41_522:
	ds_read_b32 v88, v86
.LBB41_523:
	v_cmp_ne_u32_e32 vcc, 12, v0
	s_and_saveexec_b64 s[8:9], vcc
	s_cbranch_execz .LBB41_527
; %bb.524:
	s_mov_b32 s10, 0
	v_add_u32_e32 v89, 0xb4, v85
	v_add3_u32 v90, v85, s10, 4
	s_mov_b64 s[10:11], 0
	v_mov_b32_e32 v91, v0
.LBB41_525:                             ; =>This Inner Loop Header: Depth=1
	buffer_load_dword v92, v90, s[0:3], 0 offen
	ds_read_b32 v93, v89
	v_add_u32_e32 v91, 1, v91
	v_cmp_lt_u32_e32 vcc, 11, v91
	v_add_u32_e32 v89, 4, v89
	v_add_u32_e32 v90, 4, v90
	s_or_b64 s[10:11], vcc, s[10:11]
	s_waitcnt vmcnt(0) lgkmcnt(0)
	v_fmac_f32_e32 v88, v92, v93
	s_andn2_b64 exec, exec, s[10:11]
	s_cbranch_execnz .LBB41_525
; %bb.526:
	s_or_b64 exec, exec, s[10:11]
.LBB41_527:
	s_or_b64 exec, exec, s[8:9]
	v_mov_b32_e32 v89, 0
	ds_read_b32 v89, v89 offset:52
	s_waitcnt lgkmcnt(0)
	v_mul_f32_e32 v88, v88, v89
	buffer_store_dword v88, off, s[0:3], 0 offset:52
.LBB41_528:
	s_or_b64 exec, exec, s[6:7]
	buffer_load_dword v88, off, s[0:3], 0 offset:56
	v_cmp_gt_u32_e32 vcc, 14, v0
	s_waitcnt vmcnt(0)
	ds_write_b32 v86, v88
	s_waitcnt lgkmcnt(0)
	; wave barrier
	s_and_saveexec_b64 s[6:7], vcc
	s_cbranch_execz .LBB41_538
; %bb.529:
	s_and_b64 vcc, exec, s[4:5]
	s_cbranch_vccnz .LBB41_531
; %bb.530:
	buffer_load_dword v88, v87, s[0:3], 0 offen
	ds_read_b32 v89, v86
	s_waitcnt vmcnt(0) lgkmcnt(0)
	v_mul_f32_e32 v88, v88, v89
	s_cbranch_execz .LBB41_532
	s_branch .LBB41_533
.LBB41_531:
                                        ; implicit-def: $vgpr88
.LBB41_532:
	ds_read_b32 v88, v86
.LBB41_533:
	v_cmp_ne_u32_e32 vcc, 13, v0
	s_and_saveexec_b64 s[8:9], vcc
	s_cbranch_execz .LBB41_537
; %bb.534:
	s_mov_b32 s10, 0
	v_add_u32_e32 v89, 0xb4, v85
	v_add3_u32 v90, v85, s10, 4
	s_mov_b64 s[10:11], 0
	v_mov_b32_e32 v91, v0
.LBB41_535:                             ; =>This Inner Loop Header: Depth=1
	buffer_load_dword v92, v90, s[0:3], 0 offen
	ds_read_b32 v93, v89
	v_add_u32_e32 v91, 1, v91
	v_cmp_lt_u32_e32 vcc, 12, v91
	v_add_u32_e32 v89, 4, v89
	v_add_u32_e32 v90, 4, v90
	s_or_b64 s[10:11], vcc, s[10:11]
	s_waitcnt vmcnt(0) lgkmcnt(0)
	v_fmac_f32_e32 v88, v92, v93
	s_andn2_b64 exec, exec, s[10:11]
	s_cbranch_execnz .LBB41_535
; %bb.536:
	s_or_b64 exec, exec, s[10:11]
.LBB41_537:
	s_or_b64 exec, exec, s[8:9]
	v_mov_b32_e32 v89, 0
	ds_read_b32 v89, v89 offset:56
	s_waitcnt lgkmcnt(0)
	v_mul_f32_e32 v88, v88, v89
	buffer_store_dword v88, off, s[0:3], 0 offset:56
.LBB41_538:
	s_or_b64 exec, exec, s[6:7]
	buffer_load_dword v88, off, s[0:3], 0 offset:60
	v_cmp_gt_u32_e32 vcc, 15, v0
	s_waitcnt vmcnt(0)
	ds_write_b32 v86, v88
	s_waitcnt lgkmcnt(0)
	; wave barrier
	s_and_saveexec_b64 s[6:7], vcc
	s_cbranch_execz .LBB41_548
; %bb.539:
	s_and_b64 vcc, exec, s[4:5]
	s_cbranch_vccnz .LBB41_541
; %bb.540:
	buffer_load_dword v88, v87, s[0:3], 0 offen
	ds_read_b32 v89, v86
	s_waitcnt vmcnt(0) lgkmcnt(0)
	v_mul_f32_e32 v88, v88, v89
	s_cbranch_execz .LBB41_542
	s_branch .LBB41_543
.LBB41_541:
                                        ; implicit-def: $vgpr88
.LBB41_542:
	ds_read_b32 v88, v86
.LBB41_543:
	v_cmp_ne_u32_e32 vcc, 14, v0
	s_and_saveexec_b64 s[8:9], vcc
	s_cbranch_execz .LBB41_547
; %bb.544:
	s_mov_b32 s10, 0
	v_add_u32_e32 v89, 0xb4, v85
	v_add3_u32 v90, v85, s10, 4
	s_mov_b64 s[10:11], 0
	v_mov_b32_e32 v91, v0
.LBB41_545:                             ; =>This Inner Loop Header: Depth=1
	buffer_load_dword v92, v90, s[0:3], 0 offen
	ds_read_b32 v93, v89
	v_add_u32_e32 v91, 1, v91
	v_cmp_lt_u32_e32 vcc, 13, v91
	v_add_u32_e32 v89, 4, v89
	v_add_u32_e32 v90, 4, v90
	s_or_b64 s[10:11], vcc, s[10:11]
	s_waitcnt vmcnt(0) lgkmcnt(0)
	v_fmac_f32_e32 v88, v92, v93
	s_andn2_b64 exec, exec, s[10:11]
	s_cbranch_execnz .LBB41_545
; %bb.546:
	s_or_b64 exec, exec, s[10:11]
.LBB41_547:
	s_or_b64 exec, exec, s[8:9]
	v_mov_b32_e32 v89, 0
	ds_read_b32 v89, v89 offset:60
	s_waitcnt lgkmcnt(0)
	v_mul_f32_e32 v88, v88, v89
	buffer_store_dword v88, off, s[0:3], 0 offset:60
.LBB41_548:
	s_or_b64 exec, exec, s[6:7]
	buffer_load_dword v88, off, s[0:3], 0 offset:64
	v_cmp_gt_u32_e32 vcc, 16, v0
	s_waitcnt vmcnt(0)
	ds_write_b32 v86, v88
	s_waitcnt lgkmcnt(0)
	; wave barrier
	s_and_saveexec_b64 s[6:7], vcc
	s_cbranch_execz .LBB41_558
; %bb.549:
	s_and_b64 vcc, exec, s[4:5]
	s_cbranch_vccnz .LBB41_551
; %bb.550:
	buffer_load_dword v88, v87, s[0:3], 0 offen
	ds_read_b32 v89, v86
	s_waitcnt vmcnt(0) lgkmcnt(0)
	v_mul_f32_e32 v88, v88, v89
	s_cbranch_execz .LBB41_552
	s_branch .LBB41_553
.LBB41_551:
                                        ; implicit-def: $vgpr88
.LBB41_552:
	ds_read_b32 v88, v86
.LBB41_553:
	v_cmp_ne_u32_e32 vcc, 15, v0
	s_and_saveexec_b64 s[8:9], vcc
	s_cbranch_execz .LBB41_557
; %bb.554:
	s_mov_b32 s10, 0
	v_add_u32_e32 v89, 0xb4, v85
	v_add3_u32 v90, v85, s10, 4
	s_mov_b64 s[10:11], 0
	v_mov_b32_e32 v91, v0
.LBB41_555:                             ; =>This Inner Loop Header: Depth=1
	buffer_load_dword v92, v90, s[0:3], 0 offen
	ds_read_b32 v93, v89
	v_add_u32_e32 v91, 1, v91
	v_cmp_lt_u32_e32 vcc, 14, v91
	v_add_u32_e32 v89, 4, v89
	v_add_u32_e32 v90, 4, v90
	s_or_b64 s[10:11], vcc, s[10:11]
	s_waitcnt vmcnt(0) lgkmcnt(0)
	v_fmac_f32_e32 v88, v92, v93
	s_andn2_b64 exec, exec, s[10:11]
	s_cbranch_execnz .LBB41_555
; %bb.556:
	s_or_b64 exec, exec, s[10:11]
.LBB41_557:
	s_or_b64 exec, exec, s[8:9]
	v_mov_b32_e32 v89, 0
	ds_read_b32 v89, v89 offset:64
	s_waitcnt lgkmcnt(0)
	v_mul_f32_e32 v88, v88, v89
	buffer_store_dword v88, off, s[0:3], 0 offset:64
.LBB41_558:
	s_or_b64 exec, exec, s[6:7]
	buffer_load_dword v88, off, s[0:3], 0 offset:68
	v_cmp_gt_u32_e32 vcc, 17, v0
	s_waitcnt vmcnt(0)
	ds_write_b32 v86, v88
	s_waitcnt lgkmcnt(0)
	; wave barrier
	s_and_saveexec_b64 s[6:7], vcc
	s_cbranch_execz .LBB41_568
; %bb.559:
	s_and_b64 vcc, exec, s[4:5]
	s_cbranch_vccnz .LBB41_561
; %bb.560:
	buffer_load_dword v88, v87, s[0:3], 0 offen
	ds_read_b32 v89, v86
	s_waitcnt vmcnt(0) lgkmcnt(0)
	v_mul_f32_e32 v88, v88, v89
	s_cbranch_execz .LBB41_562
	s_branch .LBB41_563
.LBB41_561:
                                        ; implicit-def: $vgpr88
.LBB41_562:
	ds_read_b32 v88, v86
.LBB41_563:
	v_cmp_ne_u32_e32 vcc, 16, v0
	s_and_saveexec_b64 s[8:9], vcc
	s_cbranch_execz .LBB41_567
; %bb.564:
	s_mov_b32 s10, 0
	v_add_u32_e32 v89, 0xb4, v85
	v_add3_u32 v90, v85, s10, 4
	s_mov_b64 s[10:11], 0
	v_mov_b32_e32 v91, v0
.LBB41_565:                             ; =>This Inner Loop Header: Depth=1
	buffer_load_dword v92, v90, s[0:3], 0 offen
	ds_read_b32 v93, v89
	v_add_u32_e32 v91, 1, v91
	v_cmp_lt_u32_e32 vcc, 15, v91
	v_add_u32_e32 v89, 4, v89
	v_add_u32_e32 v90, 4, v90
	s_or_b64 s[10:11], vcc, s[10:11]
	s_waitcnt vmcnt(0) lgkmcnt(0)
	v_fmac_f32_e32 v88, v92, v93
	s_andn2_b64 exec, exec, s[10:11]
	s_cbranch_execnz .LBB41_565
; %bb.566:
	s_or_b64 exec, exec, s[10:11]
.LBB41_567:
	s_or_b64 exec, exec, s[8:9]
	v_mov_b32_e32 v89, 0
	ds_read_b32 v89, v89 offset:68
	s_waitcnt lgkmcnt(0)
	v_mul_f32_e32 v88, v88, v89
	buffer_store_dword v88, off, s[0:3], 0 offset:68
.LBB41_568:
	s_or_b64 exec, exec, s[6:7]
	buffer_load_dword v88, off, s[0:3], 0 offset:72
	v_cmp_gt_u32_e32 vcc, 18, v0
	s_waitcnt vmcnt(0)
	ds_write_b32 v86, v88
	s_waitcnt lgkmcnt(0)
	; wave barrier
	s_and_saveexec_b64 s[6:7], vcc
	s_cbranch_execz .LBB41_578
; %bb.569:
	s_and_b64 vcc, exec, s[4:5]
	s_cbranch_vccnz .LBB41_571
; %bb.570:
	buffer_load_dword v88, v87, s[0:3], 0 offen
	ds_read_b32 v89, v86
	s_waitcnt vmcnt(0) lgkmcnt(0)
	v_mul_f32_e32 v88, v88, v89
	s_cbranch_execz .LBB41_572
	s_branch .LBB41_573
.LBB41_571:
                                        ; implicit-def: $vgpr88
.LBB41_572:
	ds_read_b32 v88, v86
.LBB41_573:
	v_cmp_ne_u32_e32 vcc, 17, v0
	s_and_saveexec_b64 s[8:9], vcc
	s_cbranch_execz .LBB41_577
; %bb.574:
	s_mov_b32 s10, 0
	v_add_u32_e32 v89, 0xb4, v85
	v_add3_u32 v90, v85, s10, 4
	s_mov_b64 s[10:11], 0
	v_mov_b32_e32 v91, v0
.LBB41_575:                             ; =>This Inner Loop Header: Depth=1
	buffer_load_dword v92, v90, s[0:3], 0 offen
	ds_read_b32 v93, v89
	v_add_u32_e32 v91, 1, v91
	v_cmp_lt_u32_e32 vcc, 16, v91
	v_add_u32_e32 v89, 4, v89
	v_add_u32_e32 v90, 4, v90
	s_or_b64 s[10:11], vcc, s[10:11]
	s_waitcnt vmcnt(0) lgkmcnt(0)
	v_fmac_f32_e32 v88, v92, v93
	s_andn2_b64 exec, exec, s[10:11]
	s_cbranch_execnz .LBB41_575
; %bb.576:
	s_or_b64 exec, exec, s[10:11]
.LBB41_577:
	s_or_b64 exec, exec, s[8:9]
	v_mov_b32_e32 v89, 0
	ds_read_b32 v89, v89 offset:72
	s_waitcnt lgkmcnt(0)
	v_mul_f32_e32 v88, v88, v89
	buffer_store_dword v88, off, s[0:3], 0 offset:72
.LBB41_578:
	s_or_b64 exec, exec, s[6:7]
	buffer_load_dword v88, off, s[0:3], 0 offset:76
	v_cmp_gt_u32_e32 vcc, 19, v0
	s_waitcnt vmcnt(0)
	ds_write_b32 v86, v88
	s_waitcnt lgkmcnt(0)
	; wave barrier
	s_and_saveexec_b64 s[6:7], vcc
	s_cbranch_execz .LBB41_588
; %bb.579:
	s_and_b64 vcc, exec, s[4:5]
	s_cbranch_vccnz .LBB41_581
; %bb.580:
	buffer_load_dword v88, v87, s[0:3], 0 offen
	ds_read_b32 v89, v86
	s_waitcnt vmcnt(0) lgkmcnt(0)
	v_mul_f32_e32 v88, v88, v89
	s_cbranch_execz .LBB41_582
	s_branch .LBB41_583
.LBB41_581:
                                        ; implicit-def: $vgpr88
.LBB41_582:
	ds_read_b32 v88, v86
.LBB41_583:
	v_cmp_ne_u32_e32 vcc, 18, v0
	s_and_saveexec_b64 s[8:9], vcc
	s_cbranch_execz .LBB41_587
; %bb.584:
	s_mov_b32 s10, 0
	v_add_u32_e32 v89, 0xb4, v85
	v_add3_u32 v90, v85, s10, 4
	s_mov_b64 s[10:11], 0
	v_mov_b32_e32 v91, v0
.LBB41_585:                             ; =>This Inner Loop Header: Depth=1
	buffer_load_dword v92, v90, s[0:3], 0 offen
	ds_read_b32 v93, v89
	v_add_u32_e32 v91, 1, v91
	v_cmp_lt_u32_e32 vcc, 17, v91
	v_add_u32_e32 v89, 4, v89
	v_add_u32_e32 v90, 4, v90
	s_or_b64 s[10:11], vcc, s[10:11]
	s_waitcnt vmcnt(0) lgkmcnt(0)
	v_fmac_f32_e32 v88, v92, v93
	s_andn2_b64 exec, exec, s[10:11]
	s_cbranch_execnz .LBB41_585
; %bb.586:
	s_or_b64 exec, exec, s[10:11]
.LBB41_587:
	s_or_b64 exec, exec, s[8:9]
	v_mov_b32_e32 v89, 0
	ds_read_b32 v89, v89 offset:76
	s_waitcnt lgkmcnt(0)
	v_mul_f32_e32 v88, v88, v89
	buffer_store_dword v88, off, s[0:3], 0 offset:76
.LBB41_588:
	s_or_b64 exec, exec, s[6:7]
	buffer_load_dword v88, off, s[0:3], 0 offset:80
	v_cmp_gt_u32_e32 vcc, 20, v0
	s_waitcnt vmcnt(0)
	ds_write_b32 v86, v88
	s_waitcnt lgkmcnt(0)
	; wave barrier
	s_and_saveexec_b64 s[6:7], vcc
	s_cbranch_execz .LBB41_598
; %bb.589:
	s_and_b64 vcc, exec, s[4:5]
	s_cbranch_vccnz .LBB41_591
; %bb.590:
	buffer_load_dword v88, v87, s[0:3], 0 offen
	ds_read_b32 v89, v86
	s_waitcnt vmcnt(0) lgkmcnt(0)
	v_mul_f32_e32 v88, v88, v89
	s_cbranch_execz .LBB41_592
	s_branch .LBB41_593
.LBB41_591:
                                        ; implicit-def: $vgpr88
.LBB41_592:
	ds_read_b32 v88, v86
.LBB41_593:
	v_cmp_ne_u32_e32 vcc, 19, v0
	s_and_saveexec_b64 s[8:9], vcc
	s_cbranch_execz .LBB41_597
; %bb.594:
	s_mov_b32 s10, 0
	v_add_u32_e32 v89, 0xb4, v85
	v_add3_u32 v90, v85, s10, 4
	s_mov_b64 s[10:11], 0
	v_mov_b32_e32 v91, v0
.LBB41_595:                             ; =>This Inner Loop Header: Depth=1
	buffer_load_dword v92, v90, s[0:3], 0 offen
	ds_read_b32 v93, v89
	v_add_u32_e32 v91, 1, v91
	v_cmp_lt_u32_e32 vcc, 18, v91
	v_add_u32_e32 v89, 4, v89
	v_add_u32_e32 v90, 4, v90
	s_or_b64 s[10:11], vcc, s[10:11]
	s_waitcnt vmcnt(0) lgkmcnt(0)
	v_fmac_f32_e32 v88, v92, v93
	s_andn2_b64 exec, exec, s[10:11]
	s_cbranch_execnz .LBB41_595
; %bb.596:
	s_or_b64 exec, exec, s[10:11]
.LBB41_597:
	s_or_b64 exec, exec, s[8:9]
	v_mov_b32_e32 v89, 0
	ds_read_b32 v89, v89 offset:80
	s_waitcnt lgkmcnt(0)
	v_mul_f32_e32 v88, v88, v89
	buffer_store_dword v88, off, s[0:3], 0 offset:80
.LBB41_598:
	s_or_b64 exec, exec, s[6:7]
	buffer_load_dword v88, off, s[0:3], 0 offset:84
	v_cmp_gt_u32_e32 vcc, 21, v0
	s_waitcnt vmcnt(0)
	ds_write_b32 v86, v88
	s_waitcnt lgkmcnt(0)
	; wave barrier
	s_and_saveexec_b64 s[6:7], vcc
	s_cbranch_execz .LBB41_608
; %bb.599:
	s_and_b64 vcc, exec, s[4:5]
	s_cbranch_vccnz .LBB41_601
; %bb.600:
	buffer_load_dword v88, v87, s[0:3], 0 offen
	ds_read_b32 v89, v86
	s_waitcnt vmcnt(0) lgkmcnt(0)
	v_mul_f32_e32 v88, v88, v89
	s_cbranch_execz .LBB41_602
	s_branch .LBB41_603
.LBB41_601:
                                        ; implicit-def: $vgpr88
.LBB41_602:
	ds_read_b32 v88, v86
.LBB41_603:
	v_cmp_ne_u32_e32 vcc, 20, v0
	s_and_saveexec_b64 s[8:9], vcc
	s_cbranch_execz .LBB41_607
; %bb.604:
	s_mov_b32 s10, 0
	v_add_u32_e32 v89, 0xb4, v85
	v_add3_u32 v90, v85, s10, 4
	s_mov_b64 s[10:11], 0
	v_mov_b32_e32 v91, v0
.LBB41_605:                             ; =>This Inner Loop Header: Depth=1
	buffer_load_dword v92, v90, s[0:3], 0 offen
	ds_read_b32 v93, v89
	v_add_u32_e32 v91, 1, v91
	v_cmp_lt_u32_e32 vcc, 19, v91
	v_add_u32_e32 v89, 4, v89
	v_add_u32_e32 v90, 4, v90
	s_or_b64 s[10:11], vcc, s[10:11]
	s_waitcnt vmcnt(0) lgkmcnt(0)
	v_fmac_f32_e32 v88, v92, v93
	s_andn2_b64 exec, exec, s[10:11]
	s_cbranch_execnz .LBB41_605
; %bb.606:
	s_or_b64 exec, exec, s[10:11]
.LBB41_607:
	s_or_b64 exec, exec, s[8:9]
	v_mov_b32_e32 v89, 0
	ds_read_b32 v89, v89 offset:84
	s_waitcnt lgkmcnt(0)
	v_mul_f32_e32 v88, v88, v89
	buffer_store_dword v88, off, s[0:3], 0 offset:84
.LBB41_608:
	s_or_b64 exec, exec, s[6:7]
	buffer_load_dword v88, off, s[0:3], 0 offset:88
	v_cmp_gt_u32_e32 vcc, 22, v0
	s_waitcnt vmcnt(0)
	ds_write_b32 v86, v88
	s_waitcnt lgkmcnt(0)
	; wave barrier
	s_and_saveexec_b64 s[6:7], vcc
	s_cbranch_execz .LBB41_618
; %bb.609:
	s_and_b64 vcc, exec, s[4:5]
	s_cbranch_vccnz .LBB41_611
; %bb.610:
	buffer_load_dword v88, v87, s[0:3], 0 offen
	ds_read_b32 v89, v86
	s_waitcnt vmcnt(0) lgkmcnt(0)
	v_mul_f32_e32 v88, v88, v89
	s_cbranch_execz .LBB41_612
	s_branch .LBB41_613
.LBB41_611:
                                        ; implicit-def: $vgpr88
.LBB41_612:
	ds_read_b32 v88, v86
.LBB41_613:
	v_cmp_ne_u32_e32 vcc, 21, v0
	s_and_saveexec_b64 s[8:9], vcc
	s_cbranch_execz .LBB41_617
; %bb.614:
	s_mov_b32 s10, 0
	v_add_u32_e32 v89, 0xb4, v85
	v_add3_u32 v90, v85, s10, 4
	s_mov_b64 s[10:11], 0
	v_mov_b32_e32 v91, v0
.LBB41_615:                             ; =>This Inner Loop Header: Depth=1
	buffer_load_dword v92, v90, s[0:3], 0 offen
	ds_read_b32 v93, v89
	v_add_u32_e32 v91, 1, v91
	v_cmp_lt_u32_e32 vcc, 20, v91
	v_add_u32_e32 v89, 4, v89
	v_add_u32_e32 v90, 4, v90
	s_or_b64 s[10:11], vcc, s[10:11]
	s_waitcnt vmcnt(0) lgkmcnt(0)
	v_fmac_f32_e32 v88, v92, v93
	s_andn2_b64 exec, exec, s[10:11]
	s_cbranch_execnz .LBB41_615
; %bb.616:
	s_or_b64 exec, exec, s[10:11]
.LBB41_617:
	s_or_b64 exec, exec, s[8:9]
	v_mov_b32_e32 v89, 0
	ds_read_b32 v89, v89 offset:88
	s_waitcnt lgkmcnt(0)
	v_mul_f32_e32 v88, v88, v89
	buffer_store_dword v88, off, s[0:3], 0 offset:88
.LBB41_618:
	s_or_b64 exec, exec, s[6:7]
	buffer_load_dword v88, off, s[0:3], 0 offset:92
	v_cmp_gt_u32_e32 vcc, 23, v0
	s_waitcnt vmcnt(0)
	ds_write_b32 v86, v88
	s_waitcnt lgkmcnt(0)
	; wave barrier
	s_and_saveexec_b64 s[6:7], vcc
	s_cbranch_execz .LBB41_628
; %bb.619:
	s_and_b64 vcc, exec, s[4:5]
	s_cbranch_vccnz .LBB41_621
; %bb.620:
	buffer_load_dword v88, v87, s[0:3], 0 offen
	ds_read_b32 v89, v86
	s_waitcnt vmcnt(0) lgkmcnt(0)
	v_mul_f32_e32 v88, v88, v89
	s_cbranch_execz .LBB41_622
	s_branch .LBB41_623
.LBB41_621:
                                        ; implicit-def: $vgpr88
.LBB41_622:
	ds_read_b32 v88, v86
.LBB41_623:
	v_cmp_ne_u32_e32 vcc, 22, v0
	s_and_saveexec_b64 s[8:9], vcc
	s_cbranch_execz .LBB41_627
; %bb.624:
	s_mov_b32 s10, 0
	v_add_u32_e32 v89, 0xb4, v85
	v_add3_u32 v90, v85, s10, 4
	s_mov_b64 s[10:11], 0
	v_mov_b32_e32 v91, v0
.LBB41_625:                             ; =>This Inner Loop Header: Depth=1
	buffer_load_dword v92, v90, s[0:3], 0 offen
	ds_read_b32 v93, v89
	v_add_u32_e32 v91, 1, v91
	v_cmp_lt_u32_e32 vcc, 21, v91
	v_add_u32_e32 v89, 4, v89
	v_add_u32_e32 v90, 4, v90
	s_or_b64 s[10:11], vcc, s[10:11]
	s_waitcnt vmcnt(0) lgkmcnt(0)
	v_fmac_f32_e32 v88, v92, v93
	s_andn2_b64 exec, exec, s[10:11]
	s_cbranch_execnz .LBB41_625
; %bb.626:
	s_or_b64 exec, exec, s[10:11]
.LBB41_627:
	s_or_b64 exec, exec, s[8:9]
	v_mov_b32_e32 v89, 0
	ds_read_b32 v89, v89 offset:92
	s_waitcnt lgkmcnt(0)
	v_mul_f32_e32 v88, v88, v89
	buffer_store_dword v88, off, s[0:3], 0 offset:92
.LBB41_628:
	s_or_b64 exec, exec, s[6:7]
	buffer_load_dword v88, off, s[0:3], 0 offset:96
	v_cmp_gt_u32_e32 vcc, 24, v0
	s_waitcnt vmcnt(0)
	ds_write_b32 v86, v88
	s_waitcnt lgkmcnt(0)
	; wave barrier
	s_and_saveexec_b64 s[6:7], vcc
	s_cbranch_execz .LBB41_638
; %bb.629:
	s_and_b64 vcc, exec, s[4:5]
	s_cbranch_vccnz .LBB41_631
; %bb.630:
	buffer_load_dword v88, v87, s[0:3], 0 offen
	ds_read_b32 v89, v86
	s_waitcnt vmcnt(0) lgkmcnt(0)
	v_mul_f32_e32 v88, v88, v89
	s_cbranch_execz .LBB41_632
	s_branch .LBB41_633
.LBB41_631:
                                        ; implicit-def: $vgpr88
.LBB41_632:
	ds_read_b32 v88, v86
.LBB41_633:
	v_cmp_ne_u32_e32 vcc, 23, v0
	s_and_saveexec_b64 s[8:9], vcc
	s_cbranch_execz .LBB41_637
; %bb.634:
	s_mov_b32 s10, 0
	v_add_u32_e32 v89, 0xb4, v85
	v_add3_u32 v90, v85, s10, 4
	s_mov_b64 s[10:11], 0
	v_mov_b32_e32 v91, v0
.LBB41_635:                             ; =>This Inner Loop Header: Depth=1
	buffer_load_dword v92, v90, s[0:3], 0 offen
	ds_read_b32 v93, v89
	v_add_u32_e32 v91, 1, v91
	v_cmp_lt_u32_e32 vcc, 22, v91
	v_add_u32_e32 v89, 4, v89
	v_add_u32_e32 v90, 4, v90
	s_or_b64 s[10:11], vcc, s[10:11]
	s_waitcnt vmcnt(0) lgkmcnt(0)
	v_fmac_f32_e32 v88, v92, v93
	s_andn2_b64 exec, exec, s[10:11]
	s_cbranch_execnz .LBB41_635
; %bb.636:
	s_or_b64 exec, exec, s[10:11]
.LBB41_637:
	s_or_b64 exec, exec, s[8:9]
	v_mov_b32_e32 v89, 0
	ds_read_b32 v89, v89 offset:96
	s_waitcnt lgkmcnt(0)
	v_mul_f32_e32 v88, v88, v89
	buffer_store_dword v88, off, s[0:3], 0 offset:96
.LBB41_638:
	s_or_b64 exec, exec, s[6:7]
	buffer_load_dword v88, off, s[0:3], 0 offset:100
	v_cmp_gt_u32_e32 vcc, 25, v0
	s_waitcnt vmcnt(0)
	ds_write_b32 v86, v88
	s_waitcnt lgkmcnt(0)
	; wave barrier
	s_and_saveexec_b64 s[6:7], vcc
	s_cbranch_execz .LBB41_648
; %bb.639:
	s_and_b64 vcc, exec, s[4:5]
	s_cbranch_vccnz .LBB41_641
; %bb.640:
	buffer_load_dword v88, v87, s[0:3], 0 offen
	ds_read_b32 v89, v86
	s_waitcnt vmcnt(0) lgkmcnt(0)
	v_mul_f32_e32 v88, v88, v89
	s_cbranch_execz .LBB41_642
	s_branch .LBB41_643
.LBB41_641:
                                        ; implicit-def: $vgpr88
.LBB41_642:
	ds_read_b32 v88, v86
.LBB41_643:
	v_cmp_ne_u32_e32 vcc, 24, v0
	s_and_saveexec_b64 s[8:9], vcc
	s_cbranch_execz .LBB41_647
; %bb.644:
	s_mov_b32 s10, 0
	v_add_u32_e32 v89, 0xb4, v85
	v_add3_u32 v90, v85, s10, 4
	s_mov_b64 s[10:11], 0
	v_mov_b32_e32 v91, v0
.LBB41_645:                             ; =>This Inner Loop Header: Depth=1
	buffer_load_dword v92, v90, s[0:3], 0 offen
	ds_read_b32 v93, v89
	v_add_u32_e32 v91, 1, v91
	v_cmp_lt_u32_e32 vcc, 23, v91
	v_add_u32_e32 v89, 4, v89
	v_add_u32_e32 v90, 4, v90
	s_or_b64 s[10:11], vcc, s[10:11]
	s_waitcnt vmcnt(0) lgkmcnt(0)
	v_fmac_f32_e32 v88, v92, v93
	s_andn2_b64 exec, exec, s[10:11]
	s_cbranch_execnz .LBB41_645
; %bb.646:
	s_or_b64 exec, exec, s[10:11]
.LBB41_647:
	s_or_b64 exec, exec, s[8:9]
	v_mov_b32_e32 v89, 0
	ds_read_b32 v89, v89 offset:100
	s_waitcnt lgkmcnt(0)
	v_mul_f32_e32 v88, v88, v89
	buffer_store_dword v88, off, s[0:3], 0 offset:100
.LBB41_648:
	s_or_b64 exec, exec, s[6:7]
	buffer_load_dword v88, off, s[0:3], 0 offset:104
	v_cmp_gt_u32_e32 vcc, 26, v0
	s_waitcnt vmcnt(0)
	ds_write_b32 v86, v88
	s_waitcnt lgkmcnt(0)
	; wave barrier
	s_and_saveexec_b64 s[6:7], vcc
	s_cbranch_execz .LBB41_658
; %bb.649:
	s_and_b64 vcc, exec, s[4:5]
	s_cbranch_vccnz .LBB41_651
; %bb.650:
	buffer_load_dword v88, v87, s[0:3], 0 offen
	ds_read_b32 v89, v86
	s_waitcnt vmcnt(0) lgkmcnt(0)
	v_mul_f32_e32 v88, v88, v89
	s_cbranch_execz .LBB41_652
	s_branch .LBB41_653
.LBB41_651:
                                        ; implicit-def: $vgpr88
.LBB41_652:
	ds_read_b32 v88, v86
.LBB41_653:
	v_cmp_ne_u32_e32 vcc, 25, v0
	s_and_saveexec_b64 s[8:9], vcc
	s_cbranch_execz .LBB41_657
; %bb.654:
	s_mov_b32 s10, 0
	v_add_u32_e32 v89, 0xb4, v85
	v_add3_u32 v90, v85, s10, 4
	s_mov_b64 s[10:11], 0
	v_mov_b32_e32 v91, v0
.LBB41_655:                             ; =>This Inner Loop Header: Depth=1
	buffer_load_dword v92, v90, s[0:3], 0 offen
	ds_read_b32 v93, v89
	v_add_u32_e32 v91, 1, v91
	v_cmp_lt_u32_e32 vcc, 24, v91
	v_add_u32_e32 v89, 4, v89
	v_add_u32_e32 v90, 4, v90
	s_or_b64 s[10:11], vcc, s[10:11]
	s_waitcnt vmcnt(0) lgkmcnt(0)
	v_fmac_f32_e32 v88, v92, v93
	s_andn2_b64 exec, exec, s[10:11]
	s_cbranch_execnz .LBB41_655
; %bb.656:
	s_or_b64 exec, exec, s[10:11]
.LBB41_657:
	s_or_b64 exec, exec, s[8:9]
	v_mov_b32_e32 v89, 0
	ds_read_b32 v89, v89 offset:104
	s_waitcnt lgkmcnt(0)
	v_mul_f32_e32 v88, v88, v89
	buffer_store_dword v88, off, s[0:3], 0 offset:104
.LBB41_658:
	s_or_b64 exec, exec, s[6:7]
	buffer_load_dword v88, off, s[0:3], 0 offset:108
	v_cmp_gt_u32_e32 vcc, 27, v0
	s_waitcnt vmcnt(0)
	ds_write_b32 v86, v88
	s_waitcnt lgkmcnt(0)
	; wave barrier
	s_and_saveexec_b64 s[6:7], vcc
	s_cbranch_execz .LBB41_668
; %bb.659:
	s_and_b64 vcc, exec, s[4:5]
	s_cbranch_vccnz .LBB41_661
; %bb.660:
	buffer_load_dword v88, v87, s[0:3], 0 offen
	ds_read_b32 v89, v86
	s_waitcnt vmcnt(0) lgkmcnt(0)
	v_mul_f32_e32 v88, v88, v89
	s_cbranch_execz .LBB41_662
	s_branch .LBB41_663
.LBB41_661:
                                        ; implicit-def: $vgpr88
.LBB41_662:
	ds_read_b32 v88, v86
.LBB41_663:
	v_cmp_ne_u32_e32 vcc, 26, v0
	s_and_saveexec_b64 s[8:9], vcc
	s_cbranch_execz .LBB41_667
; %bb.664:
	s_mov_b32 s10, 0
	v_add_u32_e32 v89, 0xb4, v85
	v_add3_u32 v90, v85, s10, 4
	s_mov_b64 s[10:11], 0
	v_mov_b32_e32 v91, v0
.LBB41_665:                             ; =>This Inner Loop Header: Depth=1
	buffer_load_dword v92, v90, s[0:3], 0 offen
	ds_read_b32 v93, v89
	v_add_u32_e32 v91, 1, v91
	v_cmp_lt_u32_e32 vcc, 25, v91
	v_add_u32_e32 v89, 4, v89
	v_add_u32_e32 v90, 4, v90
	s_or_b64 s[10:11], vcc, s[10:11]
	s_waitcnt vmcnt(0) lgkmcnt(0)
	v_fmac_f32_e32 v88, v92, v93
	s_andn2_b64 exec, exec, s[10:11]
	s_cbranch_execnz .LBB41_665
; %bb.666:
	s_or_b64 exec, exec, s[10:11]
.LBB41_667:
	s_or_b64 exec, exec, s[8:9]
	v_mov_b32_e32 v89, 0
	ds_read_b32 v89, v89 offset:108
	s_waitcnt lgkmcnt(0)
	v_mul_f32_e32 v88, v88, v89
	buffer_store_dword v88, off, s[0:3], 0 offset:108
.LBB41_668:
	s_or_b64 exec, exec, s[6:7]
	buffer_load_dword v88, off, s[0:3], 0 offset:112
	v_cmp_gt_u32_e32 vcc, 28, v0
	s_waitcnt vmcnt(0)
	ds_write_b32 v86, v88
	s_waitcnt lgkmcnt(0)
	; wave barrier
	s_and_saveexec_b64 s[6:7], vcc
	s_cbranch_execz .LBB41_678
; %bb.669:
	s_and_b64 vcc, exec, s[4:5]
	s_cbranch_vccnz .LBB41_671
; %bb.670:
	buffer_load_dword v88, v87, s[0:3], 0 offen
	ds_read_b32 v89, v86
	s_waitcnt vmcnt(0) lgkmcnt(0)
	v_mul_f32_e32 v88, v88, v89
	s_cbranch_execz .LBB41_672
	s_branch .LBB41_673
.LBB41_671:
                                        ; implicit-def: $vgpr88
.LBB41_672:
	ds_read_b32 v88, v86
.LBB41_673:
	v_cmp_ne_u32_e32 vcc, 27, v0
	s_and_saveexec_b64 s[8:9], vcc
	s_cbranch_execz .LBB41_677
; %bb.674:
	s_mov_b32 s10, 0
	v_add_u32_e32 v89, 0xb4, v85
	v_add3_u32 v90, v85, s10, 4
	s_mov_b64 s[10:11], 0
	v_mov_b32_e32 v91, v0
.LBB41_675:                             ; =>This Inner Loop Header: Depth=1
	buffer_load_dword v92, v90, s[0:3], 0 offen
	ds_read_b32 v93, v89
	v_add_u32_e32 v91, 1, v91
	v_cmp_lt_u32_e32 vcc, 26, v91
	v_add_u32_e32 v89, 4, v89
	v_add_u32_e32 v90, 4, v90
	s_or_b64 s[10:11], vcc, s[10:11]
	s_waitcnt vmcnt(0) lgkmcnt(0)
	v_fmac_f32_e32 v88, v92, v93
	s_andn2_b64 exec, exec, s[10:11]
	s_cbranch_execnz .LBB41_675
; %bb.676:
	s_or_b64 exec, exec, s[10:11]
.LBB41_677:
	s_or_b64 exec, exec, s[8:9]
	v_mov_b32_e32 v89, 0
	ds_read_b32 v89, v89 offset:112
	s_waitcnt lgkmcnt(0)
	v_mul_f32_e32 v88, v88, v89
	buffer_store_dword v88, off, s[0:3], 0 offset:112
.LBB41_678:
	s_or_b64 exec, exec, s[6:7]
	buffer_load_dword v88, off, s[0:3], 0 offset:116
	v_cmp_gt_u32_e32 vcc, 29, v0
	s_waitcnt vmcnt(0)
	ds_write_b32 v86, v88
	s_waitcnt lgkmcnt(0)
	; wave barrier
	s_and_saveexec_b64 s[6:7], vcc
	s_cbranch_execz .LBB41_688
; %bb.679:
	s_and_b64 vcc, exec, s[4:5]
	s_cbranch_vccnz .LBB41_681
; %bb.680:
	buffer_load_dword v88, v87, s[0:3], 0 offen
	ds_read_b32 v89, v86
	s_waitcnt vmcnt(0) lgkmcnt(0)
	v_mul_f32_e32 v88, v88, v89
	s_cbranch_execz .LBB41_682
	s_branch .LBB41_683
.LBB41_681:
                                        ; implicit-def: $vgpr88
.LBB41_682:
	ds_read_b32 v88, v86
.LBB41_683:
	v_cmp_ne_u32_e32 vcc, 28, v0
	s_and_saveexec_b64 s[8:9], vcc
	s_cbranch_execz .LBB41_687
; %bb.684:
	s_mov_b32 s10, 0
	v_add_u32_e32 v89, 0xb4, v85
	v_add3_u32 v90, v85, s10, 4
	s_mov_b64 s[10:11], 0
	v_mov_b32_e32 v91, v0
.LBB41_685:                             ; =>This Inner Loop Header: Depth=1
	buffer_load_dword v92, v90, s[0:3], 0 offen
	ds_read_b32 v93, v89
	v_add_u32_e32 v91, 1, v91
	v_cmp_lt_u32_e32 vcc, 27, v91
	v_add_u32_e32 v89, 4, v89
	v_add_u32_e32 v90, 4, v90
	s_or_b64 s[10:11], vcc, s[10:11]
	s_waitcnt vmcnt(0) lgkmcnt(0)
	v_fmac_f32_e32 v88, v92, v93
	s_andn2_b64 exec, exec, s[10:11]
	s_cbranch_execnz .LBB41_685
; %bb.686:
	s_or_b64 exec, exec, s[10:11]
.LBB41_687:
	s_or_b64 exec, exec, s[8:9]
	v_mov_b32_e32 v89, 0
	ds_read_b32 v89, v89 offset:116
	s_waitcnt lgkmcnt(0)
	v_mul_f32_e32 v88, v88, v89
	buffer_store_dword v88, off, s[0:3], 0 offset:116
.LBB41_688:
	s_or_b64 exec, exec, s[6:7]
	buffer_load_dword v88, off, s[0:3], 0 offset:120
	v_cmp_gt_u32_e32 vcc, 30, v0
	s_waitcnt vmcnt(0)
	ds_write_b32 v86, v88
	s_waitcnt lgkmcnt(0)
	; wave barrier
	s_and_saveexec_b64 s[6:7], vcc
	s_cbranch_execz .LBB41_698
; %bb.689:
	s_and_b64 vcc, exec, s[4:5]
	s_cbranch_vccnz .LBB41_691
; %bb.690:
	buffer_load_dword v88, v87, s[0:3], 0 offen
	ds_read_b32 v89, v86
	s_waitcnt vmcnt(0) lgkmcnt(0)
	v_mul_f32_e32 v88, v88, v89
	s_cbranch_execz .LBB41_692
	s_branch .LBB41_693
.LBB41_691:
                                        ; implicit-def: $vgpr88
.LBB41_692:
	ds_read_b32 v88, v86
.LBB41_693:
	v_cmp_ne_u32_e32 vcc, 29, v0
	s_and_saveexec_b64 s[8:9], vcc
	s_cbranch_execz .LBB41_697
; %bb.694:
	s_mov_b32 s10, 0
	v_add_u32_e32 v89, 0xb4, v85
	v_add3_u32 v90, v85, s10, 4
	s_mov_b64 s[10:11], 0
	v_mov_b32_e32 v91, v0
.LBB41_695:                             ; =>This Inner Loop Header: Depth=1
	buffer_load_dword v92, v90, s[0:3], 0 offen
	ds_read_b32 v93, v89
	v_add_u32_e32 v91, 1, v91
	v_cmp_lt_u32_e32 vcc, 28, v91
	v_add_u32_e32 v89, 4, v89
	v_add_u32_e32 v90, 4, v90
	s_or_b64 s[10:11], vcc, s[10:11]
	s_waitcnt vmcnt(0) lgkmcnt(0)
	v_fmac_f32_e32 v88, v92, v93
	s_andn2_b64 exec, exec, s[10:11]
	s_cbranch_execnz .LBB41_695
; %bb.696:
	s_or_b64 exec, exec, s[10:11]
.LBB41_697:
	s_or_b64 exec, exec, s[8:9]
	v_mov_b32_e32 v89, 0
	ds_read_b32 v89, v89 offset:120
	s_waitcnt lgkmcnt(0)
	v_mul_f32_e32 v88, v88, v89
	buffer_store_dword v88, off, s[0:3], 0 offset:120
.LBB41_698:
	s_or_b64 exec, exec, s[6:7]
	buffer_load_dword v88, off, s[0:3], 0 offset:124
	v_cmp_gt_u32_e32 vcc, 31, v0
	s_waitcnt vmcnt(0)
	ds_write_b32 v86, v88
	s_waitcnt lgkmcnt(0)
	; wave barrier
	s_and_saveexec_b64 s[6:7], vcc
	s_cbranch_execz .LBB41_708
; %bb.699:
	s_and_b64 vcc, exec, s[4:5]
	s_cbranch_vccnz .LBB41_701
; %bb.700:
	buffer_load_dword v88, v87, s[0:3], 0 offen
	ds_read_b32 v89, v86
	s_waitcnt vmcnt(0) lgkmcnt(0)
	v_mul_f32_e32 v88, v88, v89
	s_cbranch_execz .LBB41_702
	s_branch .LBB41_703
.LBB41_701:
                                        ; implicit-def: $vgpr88
.LBB41_702:
	ds_read_b32 v88, v86
.LBB41_703:
	v_cmp_ne_u32_e32 vcc, 30, v0
	s_and_saveexec_b64 s[8:9], vcc
	s_cbranch_execz .LBB41_707
; %bb.704:
	s_mov_b32 s10, 0
	v_add_u32_e32 v89, 0xb4, v85
	v_add3_u32 v90, v85, s10, 4
	s_mov_b64 s[10:11], 0
	v_mov_b32_e32 v91, v0
.LBB41_705:                             ; =>This Inner Loop Header: Depth=1
	buffer_load_dword v92, v90, s[0:3], 0 offen
	ds_read_b32 v93, v89
	v_add_u32_e32 v91, 1, v91
	v_cmp_lt_u32_e32 vcc, 29, v91
	v_add_u32_e32 v89, 4, v89
	v_add_u32_e32 v90, 4, v90
	s_or_b64 s[10:11], vcc, s[10:11]
	s_waitcnt vmcnt(0) lgkmcnt(0)
	v_fmac_f32_e32 v88, v92, v93
	s_andn2_b64 exec, exec, s[10:11]
	s_cbranch_execnz .LBB41_705
; %bb.706:
	s_or_b64 exec, exec, s[10:11]
.LBB41_707:
	s_or_b64 exec, exec, s[8:9]
	v_mov_b32_e32 v89, 0
	ds_read_b32 v89, v89 offset:124
	s_waitcnt lgkmcnt(0)
	v_mul_f32_e32 v88, v88, v89
	buffer_store_dword v88, off, s[0:3], 0 offset:124
.LBB41_708:
	s_or_b64 exec, exec, s[6:7]
	buffer_load_dword v88, off, s[0:3], 0 offset:128
	v_cmp_gt_u32_e32 vcc, 32, v0
	s_waitcnt vmcnt(0)
	ds_write_b32 v86, v88
	s_waitcnt lgkmcnt(0)
	; wave barrier
	s_and_saveexec_b64 s[6:7], vcc
	s_cbranch_execz .LBB41_718
; %bb.709:
	s_and_b64 vcc, exec, s[4:5]
	s_cbranch_vccnz .LBB41_711
; %bb.710:
	buffer_load_dword v88, v87, s[0:3], 0 offen
	ds_read_b32 v89, v86
	s_waitcnt vmcnt(0) lgkmcnt(0)
	v_mul_f32_e32 v88, v88, v89
	s_cbranch_execz .LBB41_712
	s_branch .LBB41_713
.LBB41_711:
                                        ; implicit-def: $vgpr88
.LBB41_712:
	ds_read_b32 v88, v86
.LBB41_713:
	v_cmp_ne_u32_e32 vcc, 31, v0
	s_and_saveexec_b64 s[8:9], vcc
	s_cbranch_execz .LBB41_717
; %bb.714:
	s_mov_b32 s10, 0
	v_add_u32_e32 v89, 0xb4, v85
	v_add3_u32 v90, v85, s10, 4
	s_mov_b64 s[10:11], 0
	v_mov_b32_e32 v91, v0
.LBB41_715:                             ; =>This Inner Loop Header: Depth=1
	buffer_load_dword v92, v90, s[0:3], 0 offen
	ds_read_b32 v93, v89
	v_add_u32_e32 v91, 1, v91
	v_cmp_lt_u32_e32 vcc, 30, v91
	v_add_u32_e32 v89, 4, v89
	v_add_u32_e32 v90, 4, v90
	s_or_b64 s[10:11], vcc, s[10:11]
	s_waitcnt vmcnt(0) lgkmcnt(0)
	v_fmac_f32_e32 v88, v92, v93
	s_andn2_b64 exec, exec, s[10:11]
	s_cbranch_execnz .LBB41_715
; %bb.716:
	s_or_b64 exec, exec, s[10:11]
.LBB41_717:
	s_or_b64 exec, exec, s[8:9]
	v_mov_b32_e32 v89, 0
	ds_read_b32 v89, v89 offset:128
	s_waitcnt lgkmcnt(0)
	v_mul_f32_e32 v88, v88, v89
	buffer_store_dword v88, off, s[0:3], 0 offset:128
.LBB41_718:
	s_or_b64 exec, exec, s[6:7]
	buffer_load_dword v88, off, s[0:3], 0 offset:132
	v_cmp_gt_u32_e32 vcc, 33, v0
	s_waitcnt vmcnt(0)
	ds_write_b32 v86, v88
	s_waitcnt lgkmcnt(0)
	; wave barrier
	s_and_saveexec_b64 s[6:7], vcc
	s_cbranch_execz .LBB41_728
; %bb.719:
	s_and_b64 vcc, exec, s[4:5]
	s_cbranch_vccnz .LBB41_721
; %bb.720:
	buffer_load_dword v88, v87, s[0:3], 0 offen
	ds_read_b32 v89, v86
	s_waitcnt vmcnt(0) lgkmcnt(0)
	v_mul_f32_e32 v88, v88, v89
	s_cbranch_execz .LBB41_722
	s_branch .LBB41_723
.LBB41_721:
                                        ; implicit-def: $vgpr88
.LBB41_722:
	ds_read_b32 v88, v86
.LBB41_723:
	v_cmp_ne_u32_e32 vcc, 32, v0
	s_and_saveexec_b64 s[8:9], vcc
	s_cbranch_execz .LBB41_727
; %bb.724:
	s_mov_b32 s10, 0
	v_add_u32_e32 v89, 0xb4, v85
	v_add3_u32 v90, v85, s10, 4
	s_mov_b64 s[10:11], 0
	v_mov_b32_e32 v91, v0
.LBB41_725:                             ; =>This Inner Loop Header: Depth=1
	buffer_load_dword v92, v90, s[0:3], 0 offen
	ds_read_b32 v93, v89
	v_add_u32_e32 v91, 1, v91
	v_cmp_lt_u32_e32 vcc, 31, v91
	v_add_u32_e32 v89, 4, v89
	v_add_u32_e32 v90, 4, v90
	s_or_b64 s[10:11], vcc, s[10:11]
	s_waitcnt vmcnt(0) lgkmcnt(0)
	v_fmac_f32_e32 v88, v92, v93
	s_andn2_b64 exec, exec, s[10:11]
	s_cbranch_execnz .LBB41_725
; %bb.726:
	s_or_b64 exec, exec, s[10:11]
.LBB41_727:
	s_or_b64 exec, exec, s[8:9]
	v_mov_b32_e32 v89, 0
	ds_read_b32 v89, v89 offset:132
	s_waitcnt lgkmcnt(0)
	v_mul_f32_e32 v88, v88, v89
	buffer_store_dword v88, off, s[0:3], 0 offset:132
.LBB41_728:
	s_or_b64 exec, exec, s[6:7]
	buffer_load_dword v88, off, s[0:3], 0 offset:136
	v_cmp_gt_u32_e32 vcc, 34, v0
	s_waitcnt vmcnt(0)
	ds_write_b32 v86, v88
	s_waitcnt lgkmcnt(0)
	; wave barrier
	s_and_saveexec_b64 s[6:7], vcc
	s_cbranch_execz .LBB41_738
; %bb.729:
	s_and_b64 vcc, exec, s[4:5]
	s_cbranch_vccnz .LBB41_731
; %bb.730:
	buffer_load_dword v88, v87, s[0:3], 0 offen
	ds_read_b32 v89, v86
	s_waitcnt vmcnt(0) lgkmcnt(0)
	v_mul_f32_e32 v88, v88, v89
	s_cbranch_execz .LBB41_732
	s_branch .LBB41_733
.LBB41_731:
                                        ; implicit-def: $vgpr88
.LBB41_732:
	ds_read_b32 v88, v86
.LBB41_733:
	v_cmp_ne_u32_e32 vcc, 33, v0
	s_and_saveexec_b64 s[8:9], vcc
	s_cbranch_execz .LBB41_737
; %bb.734:
	s_mov_b32 s10, 0
	v_add_u32_e32 v89, 0xb4, v85
	v_add3_u32 v90, v85, s10, 4
	s_mov_b64 s[10:11], 0
	v_mov_b32_e32 v91, v0
.LBB41_735:                             ; =>This Inner Loop Header: Depth=1
	buffer_load_dword v92, v90, s[0:3], 0 offen
	ds_read_b32 v93, v89
	v_add_u32_e32 v91, 1, v91
	v_cmp_lt_u32_e32 vcc, 32, v91
	v_add_u32_e32 v89, 4, v89
	v_add_u32_e32 v90, 4, v90
	s_or_b64 s[10:11], vcc, s[10:11]
	s_waitcnt vmcnt(0) lgkmcnt(0)
	v_fmac_f32_e32 v88, v92, v93
	s_andn2_b64 exec, exec, s[10:11]
	s_cbranch_execnz .LBB41_735
; %bb.736:
	s_or_b64 exec, exec, s[10:11]
.LBB41_737:
	s_or_b64 exec, exec, s[8:9]
	v_mov_b32_e32 v89, 0
	ds_read_b32 v89, v89 offset:136
	s_waitcnt lgkmcnt(0)
	v_mul_f32_e32 v88, v88, v89
	buffer_store_dword v88, off, s[0:3], 0 offset:136
.LBB41_738:
	s_or_b64 exec, exec, s[6:7]
	buffer_load_dword v88, off, s[0:3], 0 offset:140
	v_cmp_gt_u32_e32 vcc, 35, v0
	s_waitcnt vmcnt(0)
	ds_write_b32 v86, v88
	s_waitcnt lgkmcnt(0)
	; wave barrier
	s_and_saveexec_b64 s[6:7], vcc
	s_cbranch_execz .LBB41_748
; %bb.739:
	s_and_b64 vcc, exec, s[4:5]
	s_cbranch_vccnz .LBB41_741
; %bb.740:
	buffer_load_dword v88, v87, s[0:3], 0 offen
	ds_read_b32 v89, v86
	s_waitcnt vmcnt(0) lgkmcnt(0)
	v_mul_f32_e32 v88, v88, v89
	s_cbranch_execz .LBB41_742
	s_branch .LBB41_743
.LBB41_741:
                                        ; implicit-def: $vgpr88
.LBB41_742:
	ds_read_b32 v88, v86
.LBB41_743:
	v_cmp_ne_u32_e32 vcc, 34, v0
	s_and_saveexec_b64 s[8:9], vcc
	s_cbranch_execz .LBB41_747
; %bb.744:
	s_mov_b32 s10, 0
	v_add_u32_e32 v89, 0xb4, v85
	v_add3_u32 v90, v85, s10, 4
	s_mov_b64 s[10:11], 0
	v_mov_b32_e32 v91, v0
.LBB41_745:                             ; =>This Inner Loop Header: Depth=1
	buffer_load_dword v92, v90, s[0:3], 0 offen
	ds_read_b32 v93, v89
	v_add_u32_e32 v91, 1, v91
	v_cmp_lt_u32_e32 vcc, 33, v91
	v_add_u32_e32 v89, 4, v89
	v_add_u32_e32 v90, 4, v90
	s_or_b64 s[10:11], vcc, s[10:11]
	s_waitcnt vmcnt(0) lgkmcnt(0)
	v_fmac_f32_e32 v88, v92, v93
	s_andn2_b64 exec, exec, s[10:11]
	s_cbranch_execnz .LBB41_745
; %bb.746:
	s_or_b64 exec, exec, s[10:11]
.LBB41_747:
	s_or_b64 exec, exec, s[8:9]
	v_mov_b32_e32 v89, 0
	ds_read_b32 v89, v89 offset:140
	s_waitcnt lgkmcnt(0)
	v_mul_f32_e32 v88, v88, v89
	buffer_store_dword v88, off, s[0:3], 0 offset:140
.LBB41_748:
	s_or_b64 exec, exec, s[6:7]
	buffer_load_dword v88, off, s[0:3], 0 offset:144
	v_cmp_gt_u32_e32 vcc, 36, v0
	s_waitcnt vmcnt(0)
	ds_write_b32 v86, v88
	s_waitcnt lgkmcnt(0)
	; wave barrier
	s_and_saveexec_b64 s[6:7], vcc
	s_cbranch_execz .LBB41_758
; %bb.749:
	s_and_b64 vcc, exec, s[4:5]
	s_cbranch_vccnz .LBB41_751
; %bb.750:
	buffer_load_dword v88, v87, s[0:3], 0 offen
	ds_read_b32 v89, v86
	s_waitcnt vmcnt(0) lgkmcnt(0)
	v_mul_f32_e32 v88, v88, v89
	s_cbranch_execz .LBB41_752
	s_branch .LBB41_753
.LBB41_751:
                                        ; implicit-def: $vgpr88
.LBB41_752:
	ds_read_b32 v88, v86
.LBB41_753:
	v_cmp_ne_u32_e32 vcc, 35, v0
	s_and_saveexec_b64 s[8:9], vcc
	s_cbranch_execz .LBB41_757
; %bb.754:
	s_mov_b32 s10, 0
	v_add_u32_e32 v89, 0xb4, v85
	v_add3_u32 v90, v85, s10, 4
	s_mov_b64 s[10:11], 0
	v_mov_b32_e32 v91, v0
.LBB41_755:                             ; =>This Inner Loop Header: Depth=1
	buffer_load_dword v92, v90, s[0:3], 0 offen
	ds_read_b32 v93, v89
	v_add_u32_e32 v91, 1, v91
	v_cmp_lt_u32_e32 vcc, 34, v91
	v_add_u32_e32 v89, 4, v89
	v_add_u32_e32 v90, 4, v90
	s_or_b64 s[10:11], vcc, s[10:11]
	s_waitcnt vmcnt(0) lgkmcnt(0)
	v_fmac_f32_e32 v88, v92, v93
	s_andn2_b64 exec, exec, s[10:11]
	s_cbranch_execnz .LBB41_755
; %bb.756:
	s_or_b64 exec, exec, s[10:11]
.LBB41_757:
	s_or_b64 exec, exec, s[8:9]
	v_mov_b32_e32 v89, 0
	ds_read_b32 v89, v89 offset:144
	s_waitcnt lgkmcnt(0)
	v_mul_f32_e32 v88, v88, v89
	buffer_store_dword v88, off, s[0:3], 0 offset:144
.LBB41_758:
	s_or_b64 exec, exec, s[6:7]
	buffer_load_dword v88, off, s[0:3], 0 offset:148
	v_cmp_gt_u32_e32 vcc, 37, v0
	s_waitcnt vmcnt(0)
	ds_write_b32 v86, v88
	s_waitcnt lgkmcnt(0)
	; wave barrier
	s_and_saveexec_b64 s[6:7], vcc
	s_cbranch_execz .LBB41_768
; %bb.759:
	s_and_b64 vcc, exec, s[4:5]
	s_cbranch_vccnz .LBB41_761
; %bb.760:
	buffer_load_dword v88, v87, s[0:3], 0 offen
	ds_read_b32 v89, v86
	s_waitcnt vmcnt(0) lgkmcnt(0)
	v_mul_f32_e32 v88, v88, v89
	s_cbranch_execz .LBB41_762
	s_branch .LBB41_763
.LBB41_761:
                                        ; implicit-def: $vgpr88
.LBB41_762:
	ds_read_b32 v88, v86
.LBB41_763:
	v_cmp_ne_u32_e32 vcc, 36, v0
	s_and_saveexec_b64 s[8:9], vcc
	s_cbranch_execz .LBB41_767
; %bb.764:
	s_mov_b32 s10, 0
	v_add_u32_e32 v89, 0xb4, v85
	v_add3_u32 v90, v85, s10, 4
	s_mov_b64 s[10:11], 0
	v_mov_b32_e32 v91, v0
.LBB41_765:                             ; =>This Inner Loop Header: Depth=1
	buffer_load_dword v92, v90, s[0:3], 0 offen
	ds_read_b32 v93, v89
	v_add_u32_e32 v91, 1, v91
	v_cmp_lt_u32_e32 vcc, 35, v91
	v_add_u32_e32 v89, 4, v89
	v_add_u32_e32 v90, 4, v90
	s_or_b64 s[10:11], vcc, s[10:11]
	s_waitcnt vmcnt(0) lgkmcnt(0)
	v_fmac_f32_e32 v88, v92, v93
	s_andn2_b64 exec, exec, s[10:11]
	s_cbranch_execnz .LBB41_765
; %bb.766:
	s_or_b64 exec, exec, s[10:11]
.LBB41_767:
	s_or_b64 exec, exec, s[8:9]
	v_mov_b32_e32 v89, 0
	ds_read_b32 v89, v89 offset:148
	s_waitcnt lgkmcnt(0)
	v_mul_f32_e32 v88, v88, v89
	buffer_store_dword v88, off, s[0:3], 0 offset:148
.LBB41_768:
	s_or_b64 exec, exec, s[6:7]
	buffer_load_dword v88, off, s[0:3], 0 offset:152
	v_cmp_gt_u32_e32 vcc, 38, v0
	s_waitcnt vmcnt(0)
	ds_write_b32 v86, v88
	s_waitcnt lgkmcnt(0)
	; wave barrier
	s_and_saveexec_b64 s[6:7], vcc
	s_cbranch_execz .LBB41_778
; %bb.769:
	s_and_b64 vcc, exec, s[4:5]
	s_cbranch_vccnz .LBB41_771
; %bb.770:
	buffer_load_dword v88, v87, s[0:3], 0 offen
	ds_read_b32 v89, v86
	s_waitcnt vmcnt(0) lgkmcnt(0)
	v_mul_f32_e32 v88, v88, v89
	s_cbranch_execz .LBB41_772
	s_branch .LBB41_773
.LBB41_771:
                                        ; implicit-def: $vgpr88
.LBB41_772:
	ds_read_b32 v88, v86
.LBB41_773:
	v_cmp_ne_u32_e32 vcc, 37, v0
	s_and_saveexec_b64 s[8:9], vcc
	s_cbranch_execz .LBB41_777
; %bb.774:
	s_mov_b32 s10, 0
	v_add_u32_e32 v89, 0xb4, v85
	v_add3_u32 v90, v85, s10, 4
	s_mov_b64 s[10:11], 0
	v_mov_b32_e32 v91, v0
.LBB41_775:                             ; =>This Inner Loop Header: Depth=1
	buffer_load_dword v92, v90, s[0:3], 0 offen
	ds_read_b32 v93, v89
	v_add_u32_e32 v91, 1, v91
	v_cmp_lt_u32_e32 vcc, 36, v91
	v_add_u32_e32 v89, 4, v89
	v_add_u32_e32 v90, 4, v90
	s_or_b64 s[10:11], vcc, s[10:11]
	s_waitcnt vmcnt(0) lgkmcnt(0)
	v_fmac_f32_e32 v88, v92, v93
	s_andn2_b64 exec, exec, s[10:11]
	s_cbranch_execnz .LBB41_775
; %bb.776:
	s_or_b64 exec, exec, s[10:11]
.LBB41_777:
	s_or_b64 exec, exec, s[8:9]
	v_mov_b32_e32 v89, 0
	ds_read_b32 v89, v89 offset:152
	s_waitcnt lgkmcnt(0)
	v_mul_f32_e32 v88, v88, v89
	buffer_store_dword v88, off, s[0:3], 0 offset:152
.LBB41_778:
	s_or_b64 exec, exec, s[6:7]
	buffer_load_dword v88, off, s[0:3], 0 offset:156
	v_cmp_gt_u32_e32 vcc, 39, v0
	s_waitcnt vmcnt(0)
	ds_write_b32 v86, v88
	s_waitcnt lgkmcnt(0)
	; wave barrier
	s_and_saveexec_b64 s[6:7], vcc
	s_cbranch_execz .LBB41_788
; %bb.779:
	s_and_b64 vcc, exec, s[4:5]
	s_cbranch_vccnz .LBB41_781
; %bb.780:
	buffer_load_dword v88, v87, s[0:3], 0 offen
	ds_read_b32 v89, v86
	s_waitcnt vmcnt(0) lgkmcnt(0)
	v_mul_f32_e32 v88, v88, v89
	s_cbranch_execz .LBB41_782
	s_branch .LBB41_783
.LBB41_781:
                                        ; implicit-def: $vgpr88
.LBB41_782:
	ds_read_b32 v88, v86
.LBB41_783:
	v_cmp_ne_u32_e32 vcc, 38, v0
	s_and_saveexec_b64 s[8:9], vcc
	s_cbranch_execz .LBB41_787
; %bb.784:
	s_mov_b32 s10, 0
	v_add_u32_e32 v89, 0xb4, v85
	v_add3_u32 v90, v85, s10, 4
	s_mov_b64 s[10:11], 0
	v_mov_b32_e32 v91, v0
.LBB41_785:                             ; =>This Inner Loop Header: Depth=1
	buffer_load_dword v92, v90, s[0:3], 0 offen
	ds_read_b32 v93, v89
	v_add_u32_e32 v91, 1, v91
	v_cmp_lt_u32_e32 vcc, 37, v91
	v_add_u32_e32 v89, 4, v89
	v_add_u32_e32 v90, 4, v90
	s_or_b64 s[10:11], vcc, s[10:11]
	s_waitcnt vmcnt(0) lgkmcnt(0)
	v_fmac_f32_e32 v88, v92, v93
	s_andn2_b64 exec, exec, s[10:11]
	s_cbranch_execnz .LBB41_785
; %bb.786:
	s_or_b64 exec, exec, s[10:11]
.LBB41_787:
	s_or_b64 exec, exec, s[8:9]
	v_mov_b32_e32 v89, 0
	ds_read_b32 v89, v89 offset:156
	s_waitcnt lgkmcnt(0)
	v_mul_f32_e32 v88, v88, v89
	buffer_store_dword v88, off, s[0:3], 0 offset:156
.LBB41_788:
	s_or_b64 exec, exec, s[6:7]
	buffer_load_dword v88, off, s[0:3], 0 offset:160
	v_cmp_gt_u32_e64 s[6:7], 40, v0
	s_waitcnt vmcnt(0)
	ds_write_b32 v86, v88
	s_waitcnt lgkmcnt(0)
	; wave barrier
	s_and_saveexec_b64 s[8:9], s[6:7]
	s_cbranch_execz .LBB41_798
; %bb.789:
	s_and_b64 vcc, exec, s[4:5]
	s_cbranch_vccnz .LBB41_791
; %bb.790:
	buffer_load_dword v88, v87, s[0:3], 0 offen
	ds_read_b32 v89, v86
	s_waitcnt vmcnt(0) lgkmcnt(0)
	v_mul_f32_e32 v88, v88, v89
	s_cbranch_execz .LBB41_792
	s_branch .LBB41_793
.LBB41_791:
                                        ; implicit-def: $vgpr88
.LBB41_792:
	ds_read_b32 v88, v86
.LBB41_793:
	v_cmp_ne_u32_e32 vcc, 39, v0
	s_and_saveexec_b64 s[10:11], vcc
	s_cbranch_execz .LBB41_797
; %bb.794:
	s_mov_b32 s12, 0
	v_add_u32_e32 v89, 0xb4, v85
	v_add3_u32 v90, v85, s12, 4
	s_mov_b64 s[12:13], 0
	v_mov_b32_e32 v91, v0
.LBB41_795:                             ; =>This Inner Loop Header: Depth=1
	buffer_load_dword v92, v90, s[0:3], 0 offen
	ds_read_b32 v93, v89
	v_add_u32_e32 v91, 1, v91
	v_cmp_lt_u32_e32 vcc, 38, v91
	v_add_u32_e32 v89, 4, v89
	v_add_u32_e32 v90, 4, v90
	s_or_b64 s[12:13], vcc, s[12:13]
	s_waitcnt vmcnt(0) lgkmcnt(0)
	v_fmac_f32_e32 v88, v92, v93
	s_andn2_b64 exec, exec, s[12:13]
	s_cbranch_execnz .LBB41_795
; %bb.796:
	s_or_b64 exec, exec, s[12:13]
.LBB41_797:
	s_or_b64 exec, exec, s[10:11]
	v_mov_b32_e32 v89, 0
	ds_read_b32 v89, v89 offset:160
	s_waitcnt lgkmcnt(0)
	v_mul_f32_e32 v88, v88, v89
	buffer_store_dword v88, off, s[0:3], 0 offset:160
.LBB41_798:
	s_or_b64 exec, exec, s[8:9]
	buffer_load_dword v88, off, s[0:3], 0 offset:164
	v_cmp_ne_u32_e32 vcc, 41, v0
	s_waitcnt vmcnt(0)
	ds_write_b32 v86, v88
	s_waitcnt lgkmcnt(0)
	; wave barrier
	s_and_saveexec_b64 s[8:9], vcc
	s_cbranch_execz .LBB41_808
; %bb.799:
	s_and_b64 vcc, exec, s[4:5]
	s_cbranch_vccnz .LBB41_801
; %bb.800:
	buffer_load_dword v87, v87, s[0:3], 0 offen
	ds_read_b32 v88, v86
	s_waitcnt vmcnt(0) lgkmcnt(0)
	v_mul_f32_e32 v87, v87, v88
	s_cbranch_execz .LBB41_802
	s_branch .LBB41_803
.LBB41_801:
                                        ; implicit-def: $vgpr87
.LBB41_802:
	ds_read_b32 v87, v86
.LBB41_803:
	s_and_saveexec_b64 s[4:5], s[6:7]
	s_cbranch_execz .LBB41_807
; %bb.804:
	s_mov_b32 s6, 0
	v_add_u32_e32 v86, 0xb4, v85
	v_add3_u32 v85, v85, s6, 4
	s_mov_b64 s[6:7], 0
.LBB41_805:                             ; =>This Inner Loop Header: Depth=1
	buffer_load_dword v88, v85, s[0:3], 0 offen
	ds_read_b32 v89, v86
	v_add_u32_e32 v0, 1, v0
	v_cmp_lt_u32_e32 vcc, 39, v0
	v_add_u32_e32 v86, 4, v86
	v_add_u32_e32 v85, 4, v85
	s_or_b64 s[6:7], vcc, s[6:7]
	s_waitcnt vmcnt(0) lgkmcnt(0)
	v_fmac_f32_e32 v87, v88, v89
	s_andn2_b64 exec, exec, s[6:7]
	s_cbranch_execnz .LBB41_805
; %bb.806:
	s_or_b64 exec, exec, s[6:7]
.LBB41_807:
	s_or_b64 exec, exec, s[4:5]
	v_mov_b32_e32 v0, 0
	ds_read_b32 v0, v0 offset:164
	s_waitcnt lgkmcnt(0)
	v_mul_f32_e32 v0, v87, v0
	buffer_store_dword v0, off, s[0:3], 0 offset:164
.LBB41_808:
	s_or_b64 exec, exec, s[8:9]
.LBB41_809:
	buffer_load_dword v0, off, s[0:3], 0
	buffer_load_dword v85, off, s[0:3], 0 offset:4
	buffer_load_dword v86, off, s[0:3], 0 offset:8
	;; [unrolled: 1-line block ×39, first 2 shown]
	s_waitcnt vmcnt(39)
	global_store_dword v[71:72], v0, off
	buffer_load_dword v0, off, s[0:3], 0 offset:160
	s_nop 0
	buffer_load_dword v71, off, s[0:3], 0 offset:164
	s_waitcnt vmcnt(41)
	global_store_dword v[75:76], v85, off
	s_waitcnt vmcnt(41)
	global_store_dword v[1:2], v86, off
	;; [unrolled: 2-line block ×41, first 2 shown]
.LBB41_810:
	s_endpgm
	.section	.rodata,"a",@progbits
	.p2align	6, 0x0
	.amdhsa_kernel _ZN9rocsolver6v33100L18trti2_kernel_smallILi42EfPfEEv13rocblas_fill_17rocblas_diagonal_T1_iil
		.amdhsa_group_segment_fixed_size 344
		.amdhsa_private_segment_fixed_size 176
		.amdhsa_kernarg_size 32
		.amdhsa_user_sgpr_count 6
		.amdhsa_user_sgpr_private_segment_buffer 1
		.amdhsa_user_sgpr_dispatch_ptr 0
		.amdhsa_user_sgpr_queue_ptr 0
		.amdhsa_user_sgpr_kernarg_segment_ptr 1
		.amdhsa_user_sgpr_dispatch_id 0
		.amdhsa_user_sgpr_flat_scratch_init 0
		.amdhsa_user_sgpr_private_segment_size 0
		.amdhsa_uses_dynamic_stack 0
		.amdhsa_system_sgpr_private_segment_wavefront_offset 1
		.amdhsa_system_sgpr_workgroup_id_x 1
		.amdhsa_system_sgpr_workgroup_id_y 0
		.amdhsa_system_sgpr_workgroup_id_z 0
		.amdhsa_system_sgpr_workgroup_info 0
		.amdhsa_system_vgpr_workitem_id 0
		.amdhsa_next_free_vgpr 124
		.amdhsa_next_free_sgpr 55
		.amdhsa_reserve_vcc 1
		.amdhsa_reserve_flat_scratch 0
		.amdhsa_float_round_mode_32 0
		.amdhsa_float_round_mode_16_64 0
		.amdhsa_float_denorm_mode_32 3
		.amdhsa_float_denorm_mode_16_64 3
		.amdhsa_dx10_clamp 1
		.amdhsa_ieee_mode 1
		.amdhsa_fp16_overflow 0
		.amdhsa_exception_fp_ieee_invalid_op 0
		.amdhsa_exception_fp_denorm_src 0
		.amdhsa_exception_fp_ieee_div_zero 0
		.amdhsa_exception_fp_ieee_overflow 0
		.amdhsa_exception_fp_ieee_underflow 0
		.amdhsa_exception_fp_ieee_inexact 0
		.amdhsa_exception_int_div_zero 0
	.end_amdhsa_kernel
	.section	.text._ZN9rocsolver6v33100L18trti2_kernel_smallILi42EfPfEEv13rocblas_fill_17rocblas_diagonal_T1_iil,"axG",@progbits,_ZN9rocsolver6v33100L18trti2_kernel_smallILi42EfPfEEv13rocblas_fill_17rocblas_diagonal_T1_iil,comdat
.Lfunc_end41:
	.size	_ZN9rocsolver6v33100L18trti2_kernel_smallILi42EfPfEEv13rocblas_fill_17rocblas_diagonal_T1_iil, .Lfunc_end41-_ZN9rocsolver6v33100L18trti2_kernel_smallILi42EfPfEEv13rocblas_fill_17rocblas_diagonal_T1_iil
                                        ; -- End function
	.set _ZN9rocsolver6v33100L18trti2_kernel_smallILi42EfPfEEv13rocblas_fill_17rocblas_diagonal_T1_iil.num_vgpr, 124
	.set _ZN9rocsolver6v33100L18trti2_kernel_smallILi42EfPfEEv13rocblas_fill_17rocblas_diagonal_T1_iil.num_agpr, 0
	.set _ZN9rocsolver6v33100L18trti2_kernel_smallILi42EfPfEEv13rocblas_fill_17rocblas_diagonal_T1_iil.numbered_sgpr, 55
	.set _ZN9rocsolver6v33100L18trti2_kernel_smallILi42EfPfEEv13rocblas_fill_17rocblas_diagonal_T1_iil.num_named_barrier, 0
	.set _ZN9rocsolver6v33100L18trti2_kernel_smallILi42EfPfEEv13rocblas_fill_17rocblas_diagonal_T1_iil.private_seg_size, 176
	.set _ZN9rocsolver6v33100L18trti2_kernel_smallILi42EfPfEEv13rocblas_fill_17rocblas_diagonal_T1_iil.uses_vcc, 1
	.set _ZN9rocsolver6v33100L18trti2_kernel_smallILi42EfPfEEv13rocblas_fill_17rocblas_diagonal_T1_iil.uses_flat_scratch, 0
	.set _ZN9rocsolver6v33100L18trti2_kernel_smallILi42EfPfEEv13rocblas_fill_17rocblas_diagonal_T1_iil.has_dyn_sized_stack, 0
	.set _ZN9rocsolver6v33100L18trti2_kernel_smallILi42EfPfEEv13rocblas_fill_17rocblas_diagonal_T1_iil.has_recursion, 0
	.set _ZN9rocsolver6v33100L18trti2_kernel_smallILi42EfPfEEv13rocblas_fill_17rocblas_diagonal_T1_iil.has_indirect_call, 0
	.section	.AMDGPU.csdata,"",@progbits
; Kernel info:
; codeLenInByte = 20332
; TotalNumSgprs: 59
; NumVgprs: 124
; ScratchSize: 176
; MemoryBound: 0
; FloatMode: 240
; IeeeMode: 1
; LDSByteSize: 344 bytes/workgroup (compile time only)
; SGPRBlocks: 7
; VGPRBlocks: 30
; NumSGPRsForWavesPerEU: 59
; NumVGPRsForWavesPerEU: 124
; Occupancy: 2
; WaveLimiterHint : 0
; COMPUTE_PGM_RSRC2:SCRATCH_EN: 1
; COMPUTE_PGM_RSRC2:USER_SGPR: 6
; COMPUTE_PGM_RSRC2:TRAP_HANDLER: 0
; COMPUTE_PGM_RSRC2:TGID_X_EN: 1
; COMPUTE_PGM_RSRC2:TGID_Y_EN: 0
; COMPUTE_PGM_RSRC2:TGID_Z_EN: 0
; COMPUTE_PGM_RSRC2:TIDIG_COMP_CNT: 0
	.section	.text._ZN9rocsolver6v33100L18trti2_kernel_smallILi43EfPfEEv13rocblas_fill_17rocblas_diagonal_T1_iil,"axG",@progbits,_ZN9rocsolver6v33100L18trti2_kernel_smallILi43EfPfEEv13rocblas_fill_17rocblas_diagonal_T1_iil,comdat
	.globl	_ZN9rocsolver6v33100L18trti2_kernel_smallILi43EfPfEEv13rocblas_fill_17rocblas_diagonal_T1_iil ; -- Begin function _ZN9rocsolver6v33100L18trti2_kernel_smallILi43EfPfEEv13rocblas_fill_17rocblas_diagonal_T1_iil
	.p2align	8
	.type	_ZN9rocsolver6v33100L18trti2_kernel_smallILi43EfPfEEv13rocblas_fill_17rocblas_diagonal_T1_iil,@function
_ZN9rocsolver6v33100L18trti2_kernel_smallILi43EfPfEEv13rocblas_fill_17rocblas_diagonal_T1_iil: ; @_ZN9rocsolver6v33100L18trti2_kernel_smallILi43EfPfEEv13rocblas_fill_17rocblas_diagonal_T1_iil
; %bb.0:
	s_add_u32 s0, s0, s7
	s_addc_u32 s1, s1, 0
	v_cmp_gt_u32_e32 vcc, 43, v0
	s_and_saveexec_b64 s[8:9], vcc
	s_cbranch_execz .LBB42_830
; %bb.1:
	s_load_dwordx8 s[8:15], s[4:5], 0x0
	s_ashr_i32 s7, s6, 31
	v_lshlrev_b32_e32 v87, 2, v0
	s_waitcnt lgkmcnt(0)
	s_ashr_i32 s5, s12, 31
	s_mov_b32 s4, s12
	s_mul_hi_u32 s12, s14, s6
	s_mul_i32 s7, s14, s7
	s_add_i32 s7, s12, s7
	s_mul_i32 s12, s15, s6
	s_add_i32 s7, s7, s12
	s_mul_i32 s6, s14, s6
	s_lshl_b64 s[6:7], s[6:7], 2
	s_add_u32 s6, s10, s6
	s_addc_u32 s7, s11, s7
	s_lshl_b64 s[4:5], s[4:5], 2
	s_add_u32 s4, s6, s4
	s_addc_u32 s5, s7, s5
	s_add_i32 s6, s13, s13
	v_add_u32_e32 v3, s6, v0
	v_ashrrev_i32_e32 v4, 31, v3
	v_lshlrev_b64 v[1:2], 2, v[3:4]
	v_add_u32_e32 v5, s13, v3
	v_mov_b32_e32 v4, s5
	v_add_co_u32_e32 v1, vcc, s4, v1
	v_ashrrev_i32_e32 v6, 31, v5
	v_addc_co_u32_e32 v2, vcc, v4, v2, vcc
	v_lshlrev_b64 v[3:4], 2, v[5:6]
	v_add_u32_e32 v7, s13, v5
	v_mov_b32_e32 v6, s5
	v_add_co_u32_e32 v3, vcc, s4, v3
	v_ashrrev_i32_e32 v8, 31, v7
	v_addc_co_u32_e32 v4, vcc, v6, v4, vcc
	;; [unrolled: 6-line block ×8, first 2 shown]
	v_lshlrev_b64 v[17:18], 2, v[19:20]
	v_mov_b32_e32 v21, s5
	v_add_co_u32_e32 v17, vcc, s4, v17
	v_addc_co_u32_e32 v18, vcc, v21, v18, vcc
	v_add_u32_e32 v21, s13, v19
	v_ashrrev_i32_e32 v22, 31, v21
	v_lshlrev_b64 v[19:20], 2, v[21:22]
	v_mov_b32_e32 v23, s5
	v_add_co_u32_e32 v19, vcc, s4, v19
	v_addc_co_u32_e32 v20, vcc, v23, v20, vcc
	v_add_u32_e32 v23, s13, v21
	v_ashrrev_i32_e32 v24, 31, v23
	;; [unrolled: 6-line block ×23, first 2 shown]
	v_lshlrev_b64 v[63:64], 2, v[65:66]
	v_mov_b32_e32 v67, s5
	v_add_co_u32_e32 v63, vcc, s4, v63
	v_addc_co_u32_e32 v64, vcc, v67, v64, vcc
	v_add_u32_e32 v67, s13, v65
	v_mov_b32_e32 v65, s5
	v_add_co_u32_e32 v81, vcc, s4, v87
	s_ashr_i32 s7, s13, 31
	s_mov_b32 s6, s13
	v_addc_co_u32_e32 v82, vcc, 0, v65, vcc
	s_lshl_b64 s[6:7], s[6:7], 2
	v_mov_b32_e32 v65, s7
	v_add_co_u32_e32 v77, vcc, s6, v81
	global_load_dword v88, v87, s[4:5]
	v_addc_co_u32_e32 v78, vcc, v82, v65, vcc
	global_load_dword v89, v[77:78], off
	global_load_dword v90, v[1:2], off
	;; [unrolled: 1-line block ×6, first 2 shown]
	v_ashrrev_i32_e32 v68, 31, v67
	v_lshlrev_b64 v[65:66], 2, v[67:68]
	v_mov_b32_e32 v69, s5
	v_add_co_u32_e32 v65, vcc, s4, v65
	v_addc_co_u32_e32 v66, vcc, v69, v66, vcc
	v_add_u32_e32 v69, s13, v67
	v_ashrrev_i32_e32 v70, 31, v69
	v_lshlrev_b64 v[67:68], 2, v[69:70]
	v_mov_b32_e32 v71, s5
	v_add_co_u32_e32 v67, vcc, s4, v67
	v_addc_co_u32_e32 v68, vcc, v71, v68, vcc
	v_add_u32_e32 v71, s13, v69
	v_ashrrev_i32_e32 v72, 31, v71
	v_lshlrev_b64 v[69:70], 2, v[71:72]
	v_mov_b32_e32 v73, s5
	v_add_co_u32_e32 v69, vcc, s4, v69
	v_addc_co_u32_e32 v70, vcc, v73, v70, vcc
	v_add_u32_e32 v73, s13, v71
	v_ashrrev_i32_e32 v74, 31, v73
	v_lshlrev_b64 v[71:72], 2, v[73:74]
	v_mov_b32_e32 v75, s5
	v_add_co_u32_e32 v71, vcc, s4, v71
	v_addc_co_u32_e32 v72, vcc, v75, v72, vcc
	v_add_u32_e32 v75, s13, v73
	v_ashrrev_i32_e32 v76, 31, v75
	v_lshlrev_b64 v[73:74], 2, v[75:76]
	v_mov_b32_e32 v79, s5
	v_add_co_u32_e32 v73, vcc, s4, v73
	v_addc_co_u32_e32 v74, vcc, v79, v74, vcc
	v_add_u32_e32 v79, s13, v75
	v_ashrrev_i32_e32 v80, 31, v79
	v_lshlrev_b64 v[75:76], 2, v[79:80]
	v_mov_b32_e32 v83, s5
	v_add_co_u32_e32 v75, vcc, s4, v75
	v_addc_co_u32_e32 v76, vcc, v83, v76, vcc
	v_add_u32_e32 v83, s13, v79
	v_ashrrev_i32_e32 v84, 31, v83
	v_lshlrev_b64 v[79:80], 2, v[83:84]
	v_mov_b32_e32 v85, s5
	v_add_co_u32_e32 v79, vcc, s4, v79
	v_addc_co_u32_e32 v80, vcc, v85, v80, vcc
	v_add_u32_e32 v85, s13, v83
	v_ashrrev_i32_e32 v86, 31, v85
	v_lshlrev_b64 v[83:84], 2, v[85:86]
	v_add_u32_e32 v85, s13, v85
	v_ashrrev_i32_e32 v86, 31, v85
	v_mov_b32_e32 v95, s5
	v_add_co_u32_e32 v83, vcc, s4, v83
	v_lshlrev_b64 v[85:86], 2, v[85:86]
	v_addc_co_u32_e32 v84, vcc, v95, v84, vcc
	v_add_co_u32_e32 v85, vcc, s4, v85
	v_addc_co_u32_e32 v86, vcc, v95, v86, vcc
	global_load_dword v95, v[85:86], off
	s_cmpk_lg_i32 s9, 0x84
	s_movk_i32 s12, 0x84
	s_cselect_b64 s[10:11], -1, 0
	s_cmpk_eq_i32 s9, 0x84
	s_waitcnt vmcnt(7)
	buffer_store_dword v88, off, s[0:3], 0
	global_load_dword v88, v[11:12], off
	s_nop 0
	global_load_dword v96, v[13:14], off
	s_waitcnt vmcnt(9)
	buffer_store_dword v89, off, s[0:3], 0 offset:4
	s_waitcnt vmcnt(9)
	buffer_store_dword v90, off, s[0:3], 0 offset:8
	;; [unrolled: 2-line block ×6, first 2 shown]
	global_load_dword v89, v[15:16], off
	global_load_dword v90, v[17:18], off
	;; [unrolled: 1-line block ×33, first 2 shown]
	s_waitcnt vmcnt(40)
	buffer_store_dword v88, off, s[0:3], 0 offset:28
	s_waitcnt vmcnt(40)
	buffer_store_dword v96, off, s[0:3], 0 offset:32
	;; [unrolled: 2-line block ×35, first 2 shown]
	buffer_store_dword v95, off, s[0:3], 0 offset:168
	v_mov_b32_e32 v88, -1.0
	s_cbranch_scc1 .LBB42_3
; %bb.2:
	v_mov_b32_e32 v88, 0
	v_lshl_add_u32 v88, v0, 2, v88
	buffer_load_dword v89, v88, s[0:3], 0 offen
	s_waitcnt vmcnt(0)
	v_div_scale_f32 v90, s[4:5], v89, v89, 1.0
	v_div_scale_f32 v91, vcc, 1.0, v89, 1.0
	v_rcp_f32_e32 v92, v90
	v_fma_f32 v93, -v90, v92, 1.0
	v_fmac_f32_e32 v92, v93, v92
	v_mul_f32_e32 v93, v91, v92
	v_fma_f32 v94, -v90, v93, v91
	v_fmac_f32_e32 v93, v94, v92
	v_fma_f32 v90, -v90, v93, v91
	v_div_fmas_f32 v90, v90, v92, v93
	v_div_fixup_f32 v89, v90, v89, 1.0
	buffer_store_dword v89, v88, s[0:3], 0 offen
	v_xor_b32_e32 v88, 0x80000000, v89
.LBB42_3:
	ds_write_b32 v87, v88
	s_cmpk_eq_i32 s8, 0x79
	v_add_u32_e32 v88, 0xb0, v87
	v_mov_b32_e32 v89, v87
	s_mov_b64 s[4:5], -1
	s_cbranch_scc1 .LBB42_417
; %bb.4:
	buffer_load_dword v90, off, s[0:3], 0 offset:164
	s_movk_i32 s30, 0x44
	s_movk_i32 s31, 0x48
	;; [unrolled: 1-line block ×23, first 2 shown]
	v_cmp_eq_u32_e64 s[4:5], 42, v0
	s_waitcnt vmcnt(0)
	ds_write_b32 v88, v90
	s_waitcnt lgkmcnt(0)
	; wave barrier
	s_and_saveexec_b64 s[6:7], s[4:5]
	s_cbranch_execz .LBB42_10
; %bb.5:
	s_and_b64 vcc, exec, s[10:11]
	s_cbranch_vccz .LBB42_7
; %bb.6:
	buffer_load_dword v90, v89, s[0:3], 0 offen
	ds_read_b32 v91, v88
	s_waitcnt vmcnt(0) lgkmcnt(0)
	v_mul_f32_e32 v90, v90, v91
	s_cbranch_execz .LBB42_8
	s_branch .LBB42_9
.LBB42_7:
                                        ; implicit-def: $vgpr90
.LBB42_8:
	ds_read_b32 v90, v88
.LBB42_9:
	v_mov_b32_e32 v91, 0
	ds_read_b32 v91, v91 offset:164
	s_waitcnt lgkmcnt(0)
	v_mul_f32_e32 v90, v90, v91
	buffer_store_dword v90, off, s[0:3], 0 offset:164
.LBB42_10:
	s_or_b64 exec, exec, s[6:7]
	buffer_load_dword v90, off, s[0:3], 0 offset:160
	s_or_b32 s14, 0, 4
	s_or_b32 s15, 0, 8
	;; [unrolled: 1-line block ×3, first 2 shown]
	s_mov_b32 s17, 16
	s_mov_b32 s18, 20
	;; [unrolled: 1-line block ×15, first 2 shown]
	v_cmp_lt_u32_e64 s[6:7], 40, v0
	s_waitcnt vmcnt(0)
	ds_write_b32 v88, v90
	s_waitcnt lgkmcnt(0)
	; wave barrier
	s_and_saveexec_b64 s[8:9], s[6:7]
	s_cbranch_execz .LBB42_16
; %bb.11:
	s_andn2_b64 vcc, exec, s[10:11]
	s_cbranch_vccnz .LBB42_13
; %bb.12:
	buffer_load_dword v90, v89, s[0:3], 0 offen
	ds_read_b32 v91, v88
	s_waitcnt vmcnt(0) lgkmcnt(0)
	v_mul_f32_e32 v90, v90, v91
	s_cbranch_execz .LBB42_14
	s_branch .LBB42_15
.LBB42_13:
                                        ; implicit-def: $vgpr90
.LBB42_14:
	ds_read_b32 v90, v88
.LBB42_15:
	buffer_load_dword v93, off, s[0:3], 0 offset:164
	v_mov_b32_e32 v91, 0
	ds_read2_b32 v[91:92], v91 offset0:40 offset1:85
	s_waitcnt vmcnt(0) lgkmcnt(0)
	v_fma_f32 v92, v93, v92, v90
	v_cndmask_b32_e64 v90, v90, v92, s[4:5]
	v_mul_f32_e32 v90, v90, v91
	buffer_store_dword v90, off, s[0:3], 0 offset:160
.LBB42_16:
	s_or_b64 exec, exec, s[8:9]
	buffer_load_dword v90, off, s[0:3], 0 offset:156
	v_cmp_lt_u32_e64 s[4:5], 39, v0
	s_waitcnt vmcnt(0)
	ds_write_b32 v88, v90
	s_waitcnt lgkmcnt(0)
	; wave barrier
	s_and_saveexec_b64 s[8:9], s[4:5]
	s_cbranch_execz .LBB42_26
; %bb.17:
	s_andn2_b64 vcc, exec, s[10:11]
	s_cbranch_vccnz .LBB42_19
; %bb.18:
	buffer_load_dword v90, v89, s[0:3], 0 offen
	ds_read_b32 v91, v88
	s_waitcnt vmcnt(0) lgkmcnt(0)
	v_mul_f32_e32 v90, v90, v91
	s_cbranch_execz .LBB42_20
	s_branch .LBB42_21
.LBB42_19:
                                        ; implicit-def: $vgpr90
.LBB42_20:
	ds_read_b32 v90, v88
.LBB42_21:
	s_and_saveexec_b64 s[12:13], s[6:7]
	s_cbranch_execz .LBB42_25
; %bb.22:
	v_subrev_u32_e32 v91, 40, v0
	s_movk_i32 s55, 0x150
	s_mov_b64 s[6:7], 0
.LBB42_23:                              ; =>This Inner Loop Header: Depth=1
	v_mov_b32_e32 v92, s54
	buffer_load_dword v92, v92, s[0:3], 0 offen
	v_mov_b32_e32 v93, s55
	ds_read_b32 v93, v93
	v_add_u32_e32 v91, -1, v91
	s_add_i32 s55, s55, 4
	s_add_i32 s54, s54, 4
	v_cmp_eq_u32_e32 vcc, 0, v91
	s_or_b64 s[6:7], vcc, s[6:7]
	s_waitcnt vmcnt(0) lgkmcnt(0)
	v_fmac_f32_e32 v90, v92, v93
	s_andn2_b64 exec, exec, s[6:7]
	s_cbranch_execnz .LBB42_23
; %bb.24:
	s_or_b64 exec, exec, s[6:7]
.LBB42_25:
	s_or_b64 exec, exec, s[12:13]
	v_mov_b32_e32 v91, 0
	ds_read_b32 v91, v91 offset:156
	s_waitcnt lgkmcnt(0)
	v_mul_f32_e32 v90, v90, v91
	buffer_store_dword v90, off, s[0:3], 0 offset:156
.LBB42_26:
	s_or_b64 exec, exec, s[8:9]
	buffer_load_dword v90, off, s[0:3], 0 offset:152
	v_cmp_lt_u32_e64 s[6:7], 38, v0
	s_waitcnt vmcnt(0)
	ds_write_b32 v88, v90
	s_waitcnt lgkmcnt(0)
	; wave barrier
	s_and_saveexec_b64 s[8:9], s[6:7]
	s_cbranch_execz .LBB42_36
; %bb.27:
	s_andn2_b64 vcc, exec, s[10:11]
	s_cbranch_vccnz .LBB42_29
; %bb.28:
	buffer_load_dword v90, v89, s[0:3], 0 offen
	ds_read_b32 v91, v88
	s_waitcnt vmcnt(0) lgkmcnt(0)
	v_mul_f32_e32 v90, v90, v91
	s_cbranch_execz .LBB42_30
	s_branch .LBB42_31
.LBB42_29:
                                        ; implicit-def: $vgpr90
.LBB42_30:
	ds_read_b32 v90, v88
.LBB42_31:
	s_and_saveexec_b64 s[12:13], s[4:5]
	s_cbranch_execz .LBB42_35
; %bb.32:
	v_subrev_u32_e32 v91, 39, v0
	s_movk_i32 s54, 0x14c
	s_mov_b64 s[4:5], 0
.LBB42_33:                              ; =>This Inner Loop Header: Depth=1
	v_mov_b32_e32 v92, s53
	buffer_load_dword v92, v92, s[0:3], 0 offen
	v_mov_b32_e32 v93, s54
	ds_read_b32 v93, v93
	v_add_u32_e32 v91, -1, v91
	s_add_i32 s54, s54, 4
	s_add_i32 s53, s53, 4
	v_cmp_eq_u32_e32 vcc, 0, v91
	s_or_b64 s[4:5], vcc, s[4:5]
	s_waitcnt vmcnt(0) lgkmcnt(0)
	v_fmac_f32_e32 v90, v92, v93
	s_andn2_b64 exec, exec, s[4:5]
	s_cbranch_execnz .LBB42_33
; %bb.34:
	s_or_b64 exec, exec, s[4:5]
.LBB42_35:
	s_or_b64 exec, exec, s[12:13]
	v_mov_b32_e32 v91, 0
	ds_read_b32 v91, v91 offset:152
	s_waitcnt lgkmcnt(0)
	v_mul_f32_e32 v90, v90, v91
	buffer_store_dword v90, off, s[0:3], 0 offset:152
.LBB42_36:
	s_or_b64 exec, exec, s[8:9]
	buffer_load_dword v90, off, s[0:3], 0 offset:148
	v_cmp_lt_u32_e64 s[4:5], 37, v0
	s_waitcnt vmcnt(0)
	ds_write_b32 v88, v90
	s_waitcnt lgkmcnt(0)
	; wave barrier
	s_and_saveexec_b64 s[8:9], s[4:5]
	s_cbranch_execz .LBB42_46
; %bb.37:
	s_andn2_b64 vcc, exec, s[10:11]
	s_cbranch_vccnz .LBB42_39
; %bb.38:
	buffer_load_dword v90, v89, s[0:3], 0 offen
	ds_read_b32 v91, v88
	s_waitcnt vmcnt(0) lgkmcnt(0)
	v_mul_f32_e32 v90, v90, v91
	s_cbranch_execz .LBB42_40
	s_branch .LBB42_41
.LBB42_39:
                                        ; implicit-def: $vgpr90
.LBB42_40:
	ds_read_b32 v90, v88
.LBB42_41:
	s_and_saveexec_b64 s[12:13], s[6:7]
	s_cbranch_execz .LBB42_45
; %bb.42:
	v_subrev_u32_e32 v91, 38, v0
	s_movk_i32 s53, 0x148
	s_mov_b64 s[6:7], 0
.LBB42_43:                              ; =>This Inner Loop Header: Depth=1
	v_mov_b32_e32 v92, s52
	buffer_load_dword v92, v92, s[0:3], 0 offen
	v_mov_b32_e32 v93, s53
	ds_read_b32 v93, v93
	v_add_u32_e32 v91, -1, v91
	s_add_i32 s53, s53, 4
	s_add_i32 s52, s52, 4
	v_cmp_eq_u32_e32 vcc, 0, v91
	s_or_b64 s[6:7], vcc, s[6:7]
	s_waitcnt vmcnt(0) lgkmcnt(0)
	v_fmac_f32_e32 v90, v92, v93
	s_andn2_b64 exec, exec, s[6:7]
	s_cbranch_execnz .LBB42_43
; %bb.44:
	s_or_b64 exec, exec, s[6:7]
.LBB42_45:
	s_or_b64 exec, exec, s[12:13]
	v_mov_b32_e32 v91, 0
	ds_read_b32 v91, v91 offset:148
	s_waitcnt lgkmcnt(0)
	v_mul_f32_e32 v90, v90, v91
	buffer_store_dword v90, off, s[0:3], 0 offset:148
.LBB42_46:
	s_or_b64 exec, exec, s[8:9]
	buffer_load_dword v90, off, s[0:3], 0 offset:144
	v_cmp_lt_u32_e64 s[6:7], 36, v0
	s_waitcnt vmcnt(0)
	ds_write_b32 v88, v90
	s_waitcnt lgkmcnt(0)
	; wave barrier
	s_and_saveexec_b64 s[8:9], s[6:7]
	s_cbranch_execz .LBB42_56
; %bb.47:
	s_andn2_b64 vcc, exec, s[10:11]
	s_cbranch_vccnz .LBB42_49
; %bb.48:
	buffer_load_dword v90, v89, s[0:3], 0 offen
	ds_read_b32 v91, v88
	s_waitcnt vmcnt(0) lgkmcnt(0)
	v_mul_f32_e32 v90, v90, v91
	s_cbranch_execz .LBB42_50
	s_branch .LBB42_51
.LBB42_49:
                                        ; implicit-def: $vgpr90
.LBB42_50:
	ds_read_b32 v90, v88
.LBB42_51:
	s_and_saveexec_b64 s[12:13], s[4:5]
	s_cbranch_execz .LBB42_55
; %bb.52:
	v_subrev_u32_e32 v91, 37, v0
	s_movk_i32 s52, 0x144
	s_mov_b64 s[4:5], 0
.LBB42_53:                              ; =>This Inner Loop Header: Depth=1
	v_mov_b32_e32 v92, s51
	buffer_load_dword v92, v92, s[0:3], 0 offen
	v_mov_b32_e32 v93, s52
	ds_read_b32 v93, v93
	v_add_u32_e32 v91, -1, v91
	s_add_i32 s52, s52, 4
	s_add_i32 s51, s51, 4
	v_cmp_eq_u32_e32 vcc, 0, v91
	s_or_b64 s[4:5], vcc, s[4:5]
	s_waitcnt vmcnt(0) lgkmcnt(0)
	v_fmac_f32_e32 v90, v92, v93
	s_andn2_b64 exec, exec, s[4:5]
	s_cbranch_execnz .LBB42_53
; %bb.54:
	s_or_b64 exec, exec, s[4:5]
.LBB42_55:
	s_or_b64 exec, exec, s[12:13]
	v_mov_b32_e32 v91, 0
	ds_read_b32 v91, v91 offset:144
	s_waitcnt lgkmcnt(0)
	v_mul_f32_e32 v90, v90, v91
	buffer_store_dword v90, off, s[0:3], 0 offset:144
.LBB42_56:
	s_or_b64 exec, exec, s[8:9]
	buffer_load_dword v90, off, s[0:3], 0 offset:140
	v_cmp_lt_u32_e64 s[4:5], 35, v0
	s_waitcnt vmcnt(0)
	ds_write_b32 v88, v90
	s_waitcnt lgkmcnt(0)
	; wave barrier
	s_and_saveexec_b64 s[8:9], s[4:5]
	s_cbranch_execz .LBB42_66
; %bb.57:
	s_andn2_b64 vcc, exec, s[10:11]
	s_cbranch_vccnz .LBB42_59
; %bb.58:
	buffer_load_dword v90, v89, s[0:3], 0 offen
	ds_read_b32 v91, v88
	s_waitcnt vmcnt(0) lgkmcnt(0)
	v_mul_f32_e32 v90, v90, v91
	s_cbranch_execz .LBB42_60
	s_branch .LBB42_61
.LBB42_59:
                                        ; implicit-def: $vgpr90
.LBB42_60:
	ds_read_b32 v90, v88
.LBB42_61:
	s_and_saveexec_b64 s[12:13], s[6:7]
	s_cbranch_execz .LBB42_65
; %bb.62:
	v_subrev_u32_e32 v91, 36, v0
	s_movk_i32 s51, 0x140
	s_mov_b64 s[6:7], 0
.LBB42_63:                              ; =>This Inner Loop Header: Depth=1
	v_mov_b32_e32 v92, s50
	buffer_load_dword v92, v92, s[0:3], 0 offen
	v_mov_b32_e32 v93, s51
	ds_read_b32 v93, v93
	v_add_u32_e32 v91, -1, v91
	s_add_i32 s51, s51, 4
	s_add_i32 s50, s50, 4
	v_cmp_eq_u32_e32 vcc, 0, v91
	s_or_b64 s[6:7], vcc, s[6:7]
	s_waitcnt vmcnt(0) lgkmcnt(0)
	v_fmac_f32_e32 v90, v92, v93
	s_andn2_b64 exec, exec, s[6:7]
	s_cbranch_execnz .LBB42_63
; %bb.64:
	s_or_b64 exec, exec, s[6:7]
.LBB42_65:
	s_or_b64 exec, exec, s[12:13]
	v_mov_b32_e32 v91, 0
	ds_read_b32 v91, v91 offset:140
	s_waitcnt lgkmcnt(0)
	v_mul_f32_e32 v90, v90, v91
	buffer_store_dword v90, off, s[0:3], 0 offset:140
.LBB42_66:
	s_or_b64 exec, exec, s[8:9]
	buffer_load_dword v90, off, s[0:3], 0 offset:136
	v_cmp_lt_u32_e64 s[6:7], 34, v0
	s_waitcnt vmcnt(0)
	ds_write_b32 v88, v90
	s_waitcnt lgkmcnt(0)
	; wave barrier
	s_and_saveexec_b64 s[8:9], s[6:7]
	s_cbranch_execz .LBB42_76
; %bb.67:
	s_andn2_b64 vcc, exec, s[10:11]
	s_cbranch_vccnz .LBB42_69
; %bb.68:
	buffer_load_dword v90, v89, s[0:3], 0 offen
	ds_read_b32 v91, v88
	s_waitcnt vmcnt(0) lgkmcnt(0)
	v_mul_f32_e32 v90, v90, v91
	s_cbranch_execz .LBB42_70
	s_branch .LBB42_71
.LBB42_69:
                                        ; implicit-def: $vgpr90
.LBB42_70:
	ds_read_b32 v90, v88
.LBB42_71:
	s_and_saveexec_b64 s[12:13], s[4:5]
	s_cbranch_execz .LBB42_75
; %bb.72:
	v_subrev_u32_e32 v91, 35, v0
	s_movk_i32 s50, 0x13c
	s_mov_b64 s[4:5], 0
.LBB42_73:                              ; =>This Inner Loop Header: Depth=1
	v_mov_b32_e32 v92, s49
	buffer_load_dword v92, v92, s[0:3], 0 offen
	v_mov_b32_e32 v93, s50
	ds_read_b32 v93, v93
	v_add_u32_e32 v91, -1, v91
	s_add_i32 s50, s50, 4
	s_add_i32 s49, s49, 4
	v_cmp_eq_u32_e32 vcc, 0, v91
	s_or_b64 s[4:5], vcc, s[4:5]
	s_waitcnt vmcnt(0) lgkmcnt(0)
	v_fmac_f32_e32 v90, v92, v93
	s_andn2_b64 exec, exec, s[4:5]
	s_cbranch_execnz .LBB42_73
; %bb.74:
	s_or_b64 exec, exec, s[4:5]
.LBB42_75:
	s_or_b64 exec, exec, s[12:13]
	v_mov_b32_e32 v91, 0
	ds_read_b32 v91, v91 offset:136
	s_waitcnt lgkmcnt(0)
	v_mul_f32_e32 v90, v90, v91
	buffer_store_dword v90, off, s[0:3], 0 offset:136
.LBB42_76:
	s_or_b64 exec, exec, s[8:9]
	buffer_load_dword v90, off, s[0:3], 0 offset:132
	v_cmp_lt_u32_e64 s[4:5], 33, v0
	s_waitcnt vmcnt(0)
	ds_write_b32 v88, v90
	s_waitcnt lgkmcnt(0)
	; wave barrier
	s_and_saveexec_b64 s[8:9], s[4:5]
	s_cbranch_execz .LBB42_86
; %bb.77:
	s_andn2_b64 vcc, exec, s[10:11]
	s_cbranch_vccnz .LBB42_79
; %bb.78:
	buffer_load_dword v90, v89, s[0:3], 0 offen
	ds_read_b32 v91, v88
	s_waitcnt vmcnt(0) lgkmcnt(0)
	v_mul_f32_e32 v90, v90, v91
	s_cbranch_execz .LBB42_80
	s_branch .LBB42_81
.LBB42_79:
                                        ; implicit-def: $vgpr90
.LBB42_80:
	ds_read_b32 v90, v88
.LBB42_81:
	s_and_saveexec_b64 s[12:13], s[6:7]
	s_cbranch_execz .LBB42_85
; %bb.82:
	v_subrev_u32_e32 v91, 34, v0
	s_movk_i32 s49, 0x138
	s_mov_b64 s[6:7], 0
.LBB42_83:                              ; =>This Inner Loop Header: Depth=1
	v_mov_b32_e32 v92, s48
	buffer_load_dword v92, v92, s[0:3], 0 offen
	v_mov_b32_e32 v93, s49
	ds_read_b32 v93, v93
	v_add_u32_e32 v91, -1, v91
	s_add_i32 s49, s49, 4
	s_add_i32 s48, s48, 4
	v_cmp_eq_u32_e32 vcc, 0, v91
	s_or_b64 s[6:7], vcc, s[6:7]
	s_waitcnt vmcnt(0) lgkmcnt(0)
	v_fmac_f32_e32 v90, v92, v93
	s_andn2_b64 exec, exec, s[6:7]
	s_cbranch_execnz .LBB42_83
; %bb.84:
	s_or_b64 exec, exec, s[6:7]
.LBB42_85:
	s_or_b64 exec, exec, s[12:13]
	v_mov_b32_e32 v91, 0
	ds_read_b32 v91, v91 offset:132
	s_waitcnt lgkmcnt(0)
	v_mul_f32_e32 v90, v90, v91
	buffer_store_dword v90, off, s[0:3], 0 offset:132
.LBB42_86:
	s_or_b64 exec, exec, s[8:9]
	buffer_load_dword v90, off, s[0:3], 0 offset:128
	v_cmp_lt_u32_e64 s[6:7], 32, v0
	s_waitcnt vmcnt(0)
	ds_write_b32 v88, v90
	s_waitcnt lgkmcnt(0)
	; wave barrier
	s_and_saveexec_b64 s[8:9], s[6:7]
	s_cbranch_execz .LBB42_96
; %bb.87:
	s_andn2_b64 vcc, exec, s[10:11]
	s_cbranch_vccnz .LBB42_89
; %bb.88:
	buffer_load_dword v90, v89, s[0:3], 0 offen
	ds_read_b32 v91, v88
	s_waitcnt vmcnt(0) lgkmcnt(0)
	v_mul_f32_e32 v90, v90, v91
	s_cbranch_execz .LBB42_90
	s_branch .LBB42_91
.LBB42_89:
                                        ; implicit-def: $vgpr90
.LBB42_90:
	ds_read_b32 v90, v88
.LBB42_91:
	s_and_saveexec_b64 s[12:13], s[4:5]
	s_cbranch_execz .LBB42_95
; %bb.92:
	v_subrev_u32_e32 v91, 33, v0
	s_movk_i32 s48, 0x134
	s_mov_b64 s[4:5], 0
.LBB42_93:                              ; =>This Inner Loop Header: Depth=1
	v_mov_b32_e32 v92, s47
	buffer_load_dword v92, v92, s[0:3], 0 offen
	v_mov_b32_e32 v93, s48
	ds_read_b32 v93, v93
	v_add_u32_e32 v91, -1, v91
	s_add_i32 s48, s48, 4
	s_add_i32 s47, s47, 4
	v_cmp_eq_u32_e32 vcc, 0, v91
	s_or_b64 s[4:5], vcc, s[4:5]
	s_waitcnt vmcnt(0) lgkmcnt(0)
	v_fmac_f32_e32 v90, v92, v93
	s_andn2_b64 exec, exec, s[4:5]
	s_cbranch_execnz .LBB42_93
; %bb.94:
	s_or_b64 exec, exec, s[4:5]
.LBB42_95:
	s_or_b64 exec, exec, s[12:13]
	v_mov_b32_e32 v91, 0
	ds_read_b32 v91, v91 offset:128
	s_waitcnt lgkmcnt(0)
	v_mul_f32_e32 v90, v90, v91
	buffer_store_dword v90, off, s[0:3], 0 offset:128
.LBB42_96:
	s_or_b64 exec, exec, s[8:9]
	buffer_load_dword v90, off, s[0:3], 0 offset:124
	v_cmp_lt_u32_e64 s[4:5], 31, v0
	s_waitcnt vmcnt(0)
	ds_write_b32 v88, v90
	s_waitcnt lgkmcnt(0)
	; wave barrier
	s_and_saveexec_b64 s[8:9], s[4:5]
	s_cbranch_execz .LBB42_106
; %bb.97:
	s_andn2_b64 vcc, exec, s[10:11]
	s_cbranch_vccnz .LBB42_99
; %bb.98:
	buffer_load_dword v90, v89, s[0:3], 0 offen
	ds_read_b32 v91, v88
	s_waitcnt vmcnt(0) lgkmcnt(0)
	v_mul_f32_e32 v90, v90, v91
	s_cbranch_execz .LBB42_100
	s_branch .LBB42_101
.LBB42_99:
                                        ; implicit-def: $vgpr90
.LBB42_100:
	ds_read_b32 v90, v88
.LBB42_101:
	s_and_saveexec_b64 s[12:13], s[6:7]
	s_cbranch_execz .LBB42_105
; %bb.102:
	v_subrev_u32_e32 v91, 32, v0
	s_movk_i32 s47, 0x130
	s_mov_b64 s[6:7], 0
.LBB42_103:                             ; =>This Inner Loop Header: Depth=1
	v_mov_b32_e32 v92, s46
	buffer_load_dword v92, v92, s[0:3], 0 offen
	v_mov_b32_e32 v93, s47
	ds_read_b32 v93, v93
	v_add_u32_e32 v91, -1, v91
	s_add_i32 s47, s47, 4
	s_add_i32 s46, s46, 4
	v_cmp_eq_u32_e32 vcc, 0, v91
	s_or_b64 s[6:7], vcc, s[6:7]
	s_waitcnt vmcnt(0) lgkmcnt(0)
	v_fmac_f32_e32 v90, v92, v93
	s_andn2_b64 exec, exec, s[6:7]
	s_cbranch_execnz .LBB42_103
; %bb.104:
	s_or_b64 exec, exec, s[6:7]
.LBB42_105:
	s_or_b64 exec, exec, s[12:13]
	v_mov_b32_e32 v91, 0
	ds_read_b32 v91, v91 offset:124
	s_waitcnt lgkmcnt(0)
	v_mul_f32_e32 v90, v90, v91
	buffer_store_dword v90, off, s[0:3], 0 offset:124
.LBB42_106:
	s_or_b64 exec, exec, s[8:9]
	buffer_load_dword v90, off, s[0:3], 0 offset:120
	v_cmp_lt_u32_e64 s[6:7], 30, v0
	s_waitcnt vmcnt(0)
	ds_write_b32 v88, v90
	s_waitcnt lgkmcnt(0)
	; wave barrier
	s_and_saveexec_b64 s[8:9], s[6:7]
	s_cbranch_execz .LBB42_116
; %bb.107:
	s_andn2_b64 vcc, exec, s[10:11]
	s_cbranch_vccnz .LBB42_109
; %bb.108:
	buffer_load_dword v90, v89, s[0:3], 0 offen
	ds_read_b32 v91, v88
	s_waitcnt vmcnt(0) lgkmcnt(0)
	v_mul_f32_e32 v90, v90, v91
	s_cbranch_execz .LBB42_110
	s_branch .LBB42_111
.LBB42_109:
                                        ; implicit-def: $vgpr90
.LBB42_110:
	ds_read_b32 v90, v88
.LBB42_111:
	s_and_saveexec_b64 s[12:13], s[4:5]
	s_cbranch_execz .LBB42_115
; %bb.112:
	v_subrev_u32_e32 v91, 31, v0
	s_movk_i32 s46, 0x12c
	s_mov_b64 s[4:5], 0
.LBB42_113:                             ; =>This Inner Loop Header: Depth=1
	v_mov_b32_e32 v92, s45
	buffer_load_dword v92, v92, s[0:3], 0 offen
	v_mov_b32_e32 v93, s46
	ds_read_b32 v93, v93
	v_add_u32_e32 v91, -1, v91
	s_add_i32 s46, s46, 4
	s_add_i32 s45, s45, 4
	v_cmp_eq_u32_e32 vcc, 0, v91
	s_or_b64 s[4:5], vcc, s[4:5]
	s_waitcnt vmcnt(0) lgkmcnt(0)
	v_fmac_f32_e32 v90, v92, v93
	s_andn2_b64 exec, exec, s[4:5]
	s_cbranch_execnz .LBB42_113
; %bb.114:
	s_or_b64 exec, exec, s[4:5]
.LBB42_115:
	s_or_b64 exec, exec, s[12:13]
	v_mov_b32_e32 v91, 0
	ds_read_b32 v91, v91 offset:120
	s_waitcnt lgkmcnt(0)
	v_mul_f32_e32 v90, v90, v91
	buffer_store_dword v90, off, s[0:3], 0 offset:120
.LBB42_116:
	;; [unrolled: 54-line block ×16, first 2 shown]
	s_or_b64 exec, exec, s[8:9]
	buffer_load_dword v90, off, s[0:3], 0 offset:60
	v_cmp_lt_u32_e64 s[4:5], 15, v0
	s_waitcnt vmcnt(0)
	ds_write_b32 v88, v90
	s_waitcnt lgkmcnt(0)
	; wave barrier
	s_and_saveexec_b64 s[8:9], s[4:5]
	s_cbranch_execz .LBB42_266
; %bb.257:
	s_andn2_b64 vcc, exec, s[10:11]
	s_cbranch_vccnz .LBB42_259
; %bb.258:
	buffer_load_dword v90, v89, s[0:3], 0 offen
	ds_read_b32 v91, v88
	s_waitcnt vmcnt(0) lgkmcnt(0)
	v_mul_f32_e32 v90, v90, v91
	s_cbranch_execz .LBB42_260
	s_branch .LBB42_261
.LBB42_259:
                                        ; implicit-def: $vgpr90
.LBB42_260:
	ds_read_b32 v90, v88
.LBB42_261:
	s_and_saveexec_b64 s[12:13], s[6:7]
	s_cbranch_execz .LBB42_265
; %bb.262:
	v_add_u32_e32 v91, -16, v0
	s_movk_i32 s30, 0xf0
	s_mov_b64 s[6:7], 0
.LBB42_263:                             ; =>This Inner Loop Header: Depth=1
	v_mov_b32_e32 v92, s29
	buffer_load_dword v92, v92, s[0:3], 0 offen
	v_mov_b32_e32 v93, s30
	ds_read_b32 v93, v93
	v_add_u32_e32 v91, -1, v91
	s_add_i32 s30, s30, 4
	s_add_i32 s29, s29, 4
	v_cmp_eq_u32_e32 vcc, 0, v91
	s_or_b64 s[6:7], vcc, s[6:7]
	s_waitcnt vmcnt(0) lgkmcnt(0)
	v_fmac_f32_e32 v90, v92, v93
	s_andn2_b64 exec, exec, s[6:7]
	s_cbranch_execnz .LBB42_263
; %bb.264:
	s_or_b64 exec, exec, s[6:7]
.LBB42_265:
	s_or_b64 exec, exec, s[12:13]
	v_mov_b32_e32 v91, 0
	ds_read_b32 v91, v91 offset:60
	s_waitcnt lgkmcnt(0)
	v_mul_f32_e32 v90, v90, v91
	buffer_store_dword v90, off, s[0:3], 0 offset:60
.LBB42_266:
	s_or_b64 exec, exec, s[8:9]
	buffer_load_dword v90, off, s[0:3], 0 offset:56
	v_cmp_lt_u32_e64 s[6:7], 14, v0
	s_waitcnt vmcnt(0)
	ds_write_b32 v88, v90
	s_waitcnt lgkmcnt(0)
	; wave barrier
	s_and_saveexec_b64 s[8:9], s[6:7]
	s_cbranch_execz .LBB42_276
; %bb.267:
	s_andn2_b64 vcc, exec, s[10:11]
	s_cbranch_vccnz .LBB42_269
; %bb.268:
	buffer_load_dword v90, v89, s[0:3], 0 offen
	ds_read_b32 v91, v88
	s_waitcnt vmcnt(0) lgkmcnt(0)
	v_mul_f32_e32 v90, v90, v91
	s_cbranch_execz .LBB42_270
	s_branch .LBB42_271
.LBB42_269:
                                        ; implicit-def: $vgpr90
.LBB42_270:
	ds_read_b32 v90, v88
.LBB42_271:
	s_and_saveexec_b64 s[12:13], s[4:5]
	s_cbranch_execz .LBB42_275
; %bb.272:
	v_add_u32_e32 v91, -15, v0
	s_movk_i32 s29, 0xec
	s_mov_b64 s[4:5], 0
.LBB42_273:                             ; =>This Inner Loop Header: Depth=1
	v_mov_b32_e32 v92, s28
	buffer_load_dword v92, v92, s[0:3], 0 offen
	v_mov_b32_e32 v93, s29
	ds_read_b32 v93, v93
	v_add_u32_e32 v91, -1, v91
	s_add_i32 s29, s29, 4
	s_add_i32 s28, s28, 4
	v_cmp_eq_u32_e32 vcc, 0, v91
	s_or_b64 s[4:5], vcc, s[4:5]
	s_waitcnt vmcnt(0) lgkmcnt(0)
	v_fmac_f32_e32 v90, v92, v93
	s_andn2_b64 exec, exec, s[4:5]
	s_cbranch_execnz .LBB42_273
; %bb.274:
	s_or_b64 exec, exec, s[4:5]
.LBB42_275:
	s_or_b64 exec, exec, s[12:13]
	v_mov_b32_e32 v91, 0
	ds_read_b32 v91, v91 offset:56
	s_waitcnt lgkmcnt(0)
	v_mul_f32_e32 v90, v90, v91
	buffer_store_dword v90, off, s[0:3], 0 offset:56
.LBB42_276:
	;; [unrolled: 54-line block ×15, first 2 shown]
	s_or_b64 exec, exec, s[8:9]
	buffer_load_dword v90, off, s[0:3], 0
	v_cmp_ne_u32_e32 vcc, 0, v0
	s_waitcnt vmcnt(0)
	ds_write_b32 v88, v90
	s_waitcnt lgkmcnt(0)
	; wave barrier
	s_and_saveexec_b64 s[6:7], vcc
	s_cbranch_execz .LBB42_416
; %bb.407:
	s_andn2_b64 vcc, exec, s[10:11]
	s_cbranch_vccnz .LBB42_409
; %bb.408:
	buffer_load_dword v90, v89, s[0:3], 0 offen
	ds_read_b32 v91, v88
	s_waitcnt vmcnt(0) lgkmcnt(0)
	v_mul_f32_e32 v90, v90, v91
	s_cbranch_execz .LBB42_410
	s_branch .LBB42_411
.LBB42_409:
                                        ; implicit-def: $vgpr90
.LBB42_410:
	ds_read_b32 v90, v88
.LBB42_411:
	s_and_saveexec_b64 s[8:9], s[4:5]
	s_cbranch_execz .LBB42_415
; %bb.412:
	v_add_u32_e32 v91, -1, v0
	s_movk_i32 s12, 0xb4
	s_mov_b64 s[4:5], 0
.LBB42_413:                             ; =>This Inner Loop Header: Depth=1
	v_mov_b32_e32 v92, s14
	buffer_load_dword v92, v92, s[0:3], 0 offen
	v_mov_b32_e32 v93, s12
	ds_read_b32 v93, v93
	v_add_u32_e32 v91, -1, v91
	s_add_i32 s12, s12, 4
	s_add_i32 s14, s14, 4
	v_cmp_eq_u32_e32 vcc, 0, v91
	s_or_b64 s[4:5], vcc, s[4:5]
	s_waitcnt vmcnt(0) lgkmcnt(0)
	v_fmac_f32_e32 v90, v92, v93
	s_andn2_b64 exec, exec, s[4:5]
	s_cbranch_execnz .LBB42_413
; %bb.414:
	s_or_b64 exec, exec, s[4:5]
.LBB42_415:
	s_or_b64 exec, exec, s[8:9]
	v_mov_b32_e32 v91, 0
	ds_read_b32 v91, v91
	s_waitcnt lgkmcnt(0)
	v_mul_f32_e32 v90, v90, v91
	buffer_store_dword v90, off, s[0:3], 0
.LBB42_416:
	s_or_b64 exec, exec, s[6:7]
	s_mov_b64 s[4:5], 0
.LBB42_417:
	s_and_b64 vcc, exec, s[4:5]
	s_cbranch_vccz .LBB42_829
; %bb.418:
	buffer_load_dword v90, off, s[0:3], 0 offset:4
	v_cmp_eq_u32_e64 s[6:7], 0, v0
	s_waitcnt vmcnt(0)
	ds_write_b32 v88, v90
	s_waitcnt lgkmcnt(0)
	; wave barrier
	s_and_saveexec_b64 s[4:5], s[6:7]
	s_cbranch_execz .LBB42_424
; %bb.419:
	s_and_b64 vcc, exec, s[10:11]
	s_cbranch_vccz .LBB42_421
; %bb.420:
	buffer_load_dword v90, v89, s[0:3], 0 offen
	ds_read_b32 v91, v88
	s_waitcnt vmcnt(0) lgkmcnt(0)
	v_mul_f32_e32 v90, v90, v91
	s_cbranch_execz .LBB42_422
	s_branch .LBB42_423
.LBB42_421:
                                        ; implicit-def: $vgpr90
.LBB42_422:
	ds_read_b32 v90, v88
.LBB42_423:
	v_mov_b32_e32 v91, 0
	ds_read_b32 v91, v91 offset:4
	s_waitcnt lgkmcnt(0)
	v_mul_f32_e32 v90, v90, v91
	buffer_store_dword v90, off, s[0:3], 0 offset:4
.LBB42_424:
	s_or_b64 exec, exec, s[4:5]
	buffer_load_dword v90, off, s[0:3], 0 offset:8
	v_cndmask_b32_e64 v91, 0, 1, s[10:11]
	v_cmp_gt_u32_e32 vcc, 2, v0
	v_cmp_ne_u32_e64 s[4:5], 1, v91
	s_waitcnt vmcnt(0)
	ds_write_b32 v88, v90
	s_waitcnt lgkmcnt(0)
	; wave barrier
	s_and_saveexec_b64 s[8:9], vcc
	s_cbranch_execz .LBB42_430
; %bb.425:
	s_and_b64 vcc, exec, s[4:5]
	s_cbranch_vccnz .LBB42_427
; %bb.426:
	buffer_load_dword v90, v89, s[0:3], 0 offen
	ds_read_b32 v91, v88
	s_waitcnt vmcnt(0) lgkmcnt(0)
	v_mul_f32_e32 v90, v90, v91
	s_cbranch_execz .LBB42_428
	s_branch .LBB42_429
.LBB42_427:
                                        ; implicit-def: $vgpr90
.LBB42_428:
	ds_read_b32 v90, v88
.LBB42_429:
	buffer_load_dword v93, off, s[0:3], 0 offset:4
	v_mov_b32_e32 v91, 0
	ds_read2_b32 v[91:92], v91 offset0:2 offset1:45
	s_waitcnt vmcnt(0) lgkmcnt(0)
	v_fma_f32 v92, v93, v92, v90
	v_cndmask_b32_e64 v90, v90, v92, s[6:7]
	v_mul_f32_e32 v90, v90, v91
	buffer_store_dword v90, off, s[0:3], 0 offset:8
.LBB42_430:
	s_or_b64 exec, exec, s[8:9]
	buffer_load_dword v90, off, s[0:3], 0 offset:12
	v_cmp_gt_u32_e32 vcc, 3, v0
	s_waitcnt vmcnt(0)
	ds_write_b32 v88, v90
	s_waitcnt lgkmcnt(0)
	; wave barrier
	s_and_saveexec_b64 s[8:9], vcc
	s_cbranch_execz .LBB42_438
; %bb.431:
	s_and_b64 vcc, exec, s[4:5]
	s_cbranch_vccnz .LBB42_433
; %bb.432:
	buffer_load_dword v90, v89, s[0:3], 0 offen
	ds_read_b32 v91, v88
	s_waitcnt vmcnt(0) lgkmcnt(0)
	v_mul_f32_e32 v90, v90, v91
	s_cbranch_execz .LBB42_434
	s_branch .LBB42_435
.LBB42_433:
                                        ; implicit-def: $vgpr90
.LBB42_434:
	ds_read_b32 v90, v88
.LBB42_435:
	v_cmp_ne_u32_e32 vcc, 2, v0
	s_and_saveexec_b64 s[10:11], vcc
	s_cbranch_execz .LBB42_437
; %bb.436:
	buffer_load_dword v91, v89, s[0:3], 0 offen offset:4
	buffer_load_dword v92, off, s[0:3], 0 offset:8
	v_mov_b32_e32 v93, 0
	ds_read_b32 v94, v88 offset:4
	ds_read_b32 v93, v93 offset:184
	s_waitcnt vmcnt(1) lgkmcnt(1)
	v_fmac_f32_e32 v90, v91, v94
	s_waitcnt vmcnt(0) lgkmcnt(0)
	v_fma_f32 v91, v92, v93, v90
	v_cndmask_b32_e64 v90, v90, v91, s[6:7]
.LBB42_437:
	s_or_b64 exec, exec, s[10:11]
	v_mov_b32_e32 v91, 0
	ds_read_b32 v91, v91 offset:12
	s_waitcnt lgkmcnt(0)
	v_mul_f32_e32 v90, v90, v91
	buffer_store_dword v90, off, s[0:3], 0 offset:12
.LBB42_438:
	s_or_b64 exec, exec, s[8:9]
	buffer_load_dword v90, off, s[0:3], 0 offset:16
	v_cmp_gt_u32_e32 vcc, 4, v0
	s_waitcnt vmcnt(0)
	ds_write_b32 v88, v90
	s_waitcnt lgkmcnt(0)
	; wave barrier
	s_and_saveexec_b64 s[6:7], vcc
	s_cbranch_execz .LBB42_448
; %bb.439:
	s_and_b64 vcc, exec, s[4:5]
	s_cbranch_vccnz .LBB42_441
; %bb.440:
	buffer_load_dword v90, v89, s[0:3], 0 offen
	ds_read_b32 v91, v88
	s_waitcnt vmcnt(0) lgkmcnt(0)
	v_mul_f32_e32 v90, v90, v91
	s_cbranch_execz .LBB42_442
	s_branch .LBB42_443
.LBB42_441:
                                        ; implicit-def: $vgpr90
.LBB42_442:
	ds_read_b32 v90, v88
.LBB42_443:
	v_cmp_ne_u32_e32 vcc, 3, v0
	s_and_saveexec_b64 s[8:9], vcc
	s_cbranch_execz .LBB42_447
; %bb.444:
	s_mov_b32 s10, 0
	v_add_u32_e32 v91, 0xb4, v87
	v_add3_u32 v92, v87, s10, 4
	s_mov_b64 s[10:11], 0
	v_mov_b32_e32 v93, v0
.LBB42_445:                             ; =>This Inner Loop Header: Depth=1
	buffer_load_dword v94, v92, s[0:3], 0 offen
	ds_read_b32 v95, v91
	v_add_u32_e32 v93, 1, v93
	v_cmp_lt_u32_e32 vcc, 2, v93
	v_add_u32_e32 v91, 4, v91
	v_add_u32_e32 v92, 4, v92
	s_or_b64 s[10:11], vcc, s[10:11]
	s_waitcnt vmcnt(0) lgkmcnt(0)
	v_fmac_f32_e32 v90, v94, v95
	s_andn2_b64 exec, exec, s[10:11]
	s_cbranch_execnz .LBB42_445
; %bb.446:
	s_or_b64 exec, exec, s[10:11]
.LBB42_447:
	s_or_b64 exec, exec, s[8:9]
	v_mov_b32_e32 v91, 0
	ds_read_b32 v91, v91 offset:16
	s_waitcnt lgkmcnt(0)
	v_mul_f32_e32 v90, v90, v91
	buffer_store_dword v90, off, s[0:3], 0 offset:16
.LBB42_448:
	s_or_b64 exec, exec, s[6:7]
	buffer_load_dword v90, off, s[0:3], 0 offset:20
	v_cmp_gt_u32_e32 vcc, 5, v0
	s_waitcnt vmcnt(0)
	ds_write_b32 v88, v90
	s_waitcnt lgkmcnt(0)
	; wave barrier
	s_and_saveexec_b64 s[6:7], vcc
	s_cbranch_execz .LBB42_458
; %bb.449:
	s_and_b64 vcc, exec, s[4:5]
	s_cbranch_vccnz .LBB42_451
; %bb.450:
	buffer_load_dword v90, v89, s[0:3], 0 offen
	ds_read_b32 v91, v88
	s_waitcnt vmcnt(0) lgkmcnt(0)
	v_mul_f32_e32 v90, v90, v91
	s_cbranch_execz .LBB42_452
	s_branch .LBB42_453
.LBB42_451:
                                        ; implicit-def: $vgpr90
.LBB42_452:
	ds_read_b32 v90, v88
.LBB42_453:
	v_cmp_ne_u32_e32 vcc, 4, v0
	s_and_saveexec_b64 s[8:9], vcc
	s_cbranch_execz .LBB42_457
; %bb.454:
	s_mov_b32 s10, 0
	v_add_u32_e32 v91, 0xb4, v87
	v_add3_u32 v92, v87, s10, 4
	s_mov_b64 s[10:11], 0
	v_mov_b32_e32 v93, v0
.LBB42_455:                             ; =>This Inner Loop Header: Depth=1
	buffer_load_dword v94, v92, s[0:3], 0 offen
	ds_read_b32 v95, v91
	v_add_u32_e32 v93, 1, v93
	v_cmp_lt_u32_e32 vcc, 3, v93
	v_add_u32_e32 v91, 4, v91
	v_add_u32_e32 v92, 4, v92
	s_or_b64 s[10:11], vcc, s[10:11]
	s_waitcnt vmcnt(0) lgkmcnt(0)
	v_fmac_f32_e32 v90, v94, v95
	s_andn2_b64 exec, exec, s[10:11]
	s_cbranch_execnz .LBB42_455
; %bb.456:
	s_or_b64 exec, exec, s[10:11]
.LBB42_457:
	s_or_b64 exec, exec, s[8:9]
	v_mov_b32_e32 v91, 0
	ds_read_b32 v91, v91 offset:20
	s_waitcnt lgkmcnt(0)
	v_mul_f32_e32 v90, v90, v91
	buffer_store_dword v90, off, s[0:3], 0 offset:20
.LBB42_458:
	;; [unrolled: 55-line block ×37, first 2 shown]
	s_or_b64 exec, exec, s[6:7]
	buffer_load_dword v90, off, s[0:3], 0 offset:164
	v_cmp_gt_u32_e64 s[6:7], 41, v0
	s_waitcnt vmcnt(0)
	ds_write_b32 v88, v90
	s_waitcnt lgkmcnt(0)
	; wave barrier
	s_and_saveexec_b64 s[8:9], s[6:7]
	s_cbranch_execz .LBB42_818
; %bb.809:
	s_and_b64 vcc, exec, s[4:5]
	s_cbranch_vccnz .LBB42_811
; %bb.810:
	buffer_load_dword v90, v89, s[0:3], 0 offen
	ds_read_b32 v91, v88
	s_waitcnt vmcnt(0) lgkmcnt(0)
	v_mul_f32_e32 v90, v90, v91
	s_cbranch_execz .LBB42_812
	s_branch .LBB42_813
.LBB42_811:
                                        ; implicit-def: $vgpr90
.LBB42_812:
	ds_read_b32 v90, v88
.LBB42_813:
	v_cmp_ne_u32_e32 vcc, 40, v0
	s_and_saveexec_b64 s[10:11], vcc
	s_cbranch_execz .LBB42_817
; %bb.814:
	s_mov_b32 s12, 0
	v_add_u32_e32 v91, 0xb4, v87
	v_add3_u32 v92, v87, s12, 4
	s_mov_b64 s[12:13], 0
	v_mov_b32_e32 v93, v0
.LBB42_815:                             ; =>This Inner Loop Header: Depth=1
	buffer_load_dword v94, v92, s[0:3], 0 offen
	ds_read_b32 v95, v91
	v_add_u32_e32 v93, 1, v93
	v_cmp_lt_u32_e32 vcc, 39, v93
	v_add_u32_e32 v91, 4, v91
	v_add_u32_e32 v92, 4, v92
	s_or_b64 s[12:13], vcc, s[12:13]
	s_waitcnt vmcnt(0) lgkmcnt(0)
	v_fmac_f32_e32 v90, v94, v95
	s_andn2_b64 exec, exec, s[12:13]
	s_cbranch_execnz .LBB42_815
; %bb.816:
	s_or_b64 exec, exec, s[12:13]
.LBB42_817:
	s_or_b64 exec, exec, s[10:11]
	v_mov_b32_e32 v91, 0
	ds_read_b32 v91, v91 offset:164
	s_waitcnt lgkmcnt(0)
	v_mul_f32_e32 v90, v90, v91
	buffer_store_dword v90, off, s[0:3], 0 offset:164
.LBB42_818:
	s_or_b64 exec, exec, s[8:9]
	buffer_load_dword v90, off, s[0:3], 0 offset:168
	v_cmp_ne_u32_e32 vcc, 42, v0
	s_waitcnt vmcnt(0)
	ds_write_b32 v88, v90
	s_waitcnt lgkmcnt(0)
	; wave barrier
	s_and_saveexec_b64 s[8:9], vcc
	s_cbranch_execz .LBB42_828
; %bb.819:
	s_and_b64 vcc, exec, s[4:5]
	s_cbranch_vccnz .LBB42_821
; %bb.820:
	buffer_load_dword v89, v89, s[0:3], 0 offen
	ds_read_b32 v90, v88
	s_waitcnt vmcnt(0) lgkmcnt(0)
	v_mul_f32_e32 v89, v89, v90
	s_cbranch_execz .LBB42_822
	s_branch .LBB42_823
.LBB42_821:
                                        ; implicit-def: $vgpr89
.LBB42_822:
	ds_read_b32 v89, v88
.LBB42_823:
	s_and_saveexec_b64 s[4:5], s[6:7]
	s_cbranch_execz .LBB42_827
; %bb.824:
	s_mov_b32 s6, 0
	v_add_u32_e32 v88, 0xb4, v87
	v_add3_u32 v87, v87, s6, 4
	s_mov_b64 s[6:7], 0
.LBB42_825:                             ; =>This Inner Loop Header: Depth=1
	buffer_load_dword v90, v87, s[0:3], 0 offen
	ds_read_b32 v91, v88
	v_add_u32_e32 v0, 1, v0
	v_cmp_lt_u32_e32 vcc, 40, v0
	v_add_u32_e32 v88, 4, v88
	v_add_u32_e32 v87, 4, v87
	s_or_b64 s[6:7], vcc, s[6:7]
	s_waitcnt vmcnt(0) lgkmcnt(0)
	v_fmac_f32_e32 v89, v90, v91
	s_andn2_b64 exec, exec, s[6:7]
	s_cbranch_execnz .LBB42_825
; %bb.826:
	s_or_b64 exec, exec, s[6:7]
.LBB42_827:
	s_or_b64 exec, exec, s[4:5]
	v_mov_b32_e32 v0, 0
	ds_read_b32 v0, v0 offset:168
	s_waitcnt lgkmcnt(0)
	v_mul_f32_e32 v0, v89, v0
	buffer_store_dword v0, off, s[0:3], 0 offset:168
.LBB42_828:
	s_or_b64 exec, exec, s[8:9]
.LBB42_829:
	buffer_load_dword v0, off, s[0:3], 0
	buffer_load_dword v87, off, s[0:3], 0 offset:4
	buffer_load_dword v88, off, s[0:3], 0 offset:8
	;; [unrolled: 1-line block ×31, first 2 shown]
	s_waitcnt vmcnt(31)
	global_store_dword v[81:82], v0, off
	buffer_load_dword v0, off, s[0:3], 0 offset:128
	s_nop 0
	buffer_load_dword v81, off, s[0:3], 0 offset:132
	buffer_load_dword v82, off, s[0:3], 0 offset:136
	;; [unrolled: 1-line block ×7, first 2 shown]
	s_waitcnt vmcnt(39)
	global_store_dword v[77:78], v87, off
	buffer_load_dword v77, off, s[0:3], 0 offset:160
	s_nop 0
	buffer_load_dword v78, off, s[0:3], 0 offset:164
	buffer_load_dword v87, off, s[0:3], 0 offset:168
	s_waitcnt vmcnt(42)
	global_store_dword v[1:2], v88, off
	s_waitcnt vmcnt(42)
	global_store_dword v[3:4], v89, off
	;; [unrolled: 2-line block ×41, first 2 shown]
.LBB42_830:
	s_endpgm
	.section	.rodata,"a",@progbits
	.p2align	6, 0x0
	.amdhsa_kernel _ZN9rocsolver6v33100L18trti2_kernel_smallILi43EfPfEEv13rocblas_fill_17rocblas_diagonal_T1_iil
		.amdhsa_group_segment_fixed_size 348
		.amdhsa_private_segment_fixed_size 176
		.amdhsa_kernarg_size 32
		.amdhsa_user_sgpr_count 6
		.amdhsa_user_sgpr_private_segment_buffer 1
		.amdhsa_user_sgpr_dispatch_ptr 0
		.amdhsa_user_sgpr_queue_ptr 0
		.amdhsa_user_sgpr_kernarg_segment_ptr 1
		.amdhsa_user_sgpr_dispatch_id 0
		.amdhsa_user_sgpr_flat_scratch_init 0
		.amdhsa_user_sgpr_private_segment_size 0
		.amdhsa_uses_dynamic_stack 0
		.amdhsa_system_sgpr_private_segment_wavefront_offset 1
		.amdhsa_system_sgpr_workgroup_id_x 1
		.amdhsa_system_sgpr_workgroup_id_y 0
		.amdhsa_system_sgpr_workgroup_id_z 0
		.amdhsa_system_sgpr_workgroup_info 0
		.amdhsa_system_vgpr_workitem_id 0
		.amdhsa_next_free_vgpr 124
		.amdhsa_next_free_sgpr 56
		.amdhsa_reserve_vcc 1
		.amdhsa_reserve_flat_scratch 0
		.amdhsa_float_round_mode_32 0
		.amdhsa_float_round_mode_16_64 0
		.amdhsa_float_denorm_mode_32 3
		.amdhsa_float_denorm_mode_16_64 3
		.amdhsa_dx10_clamp 1
		.amdhsa_ieee_mode 1
		.amdhsa_fp16_overflow 0
		.amdhsa_exception_fp_ieee_invalid_op 0
		.amdhsa_exception_fp_denorm_src 0
		.amdhsa_exception_fp_ieee_div_zero 0
		.amdhsa_exception_fp_ieee_overflow 0
		.amdhsa_exception_fp_ieee_underflow 0
		.amdhsa_exception_fp_ieee_inexact 0
		.amdhsa_exception_int_div_zero 0
	.end_amdhsa_kernel
	.section	.text._ZN9rocsolver6v33100L18trti2_kernel_smallILi43EfPfEEv13rocblas_fill_17rocblas_diagonal_T1_iil,"axG",@progbits,_ZN9rocsolver6v33100L18trti2_kernel_smallILi43EfPfEEv13rocblas_fill_17rocblas_diagonal_T1_iil,comdat
.Lfunc_end42:
	.size	_ZN9rocsolver6v33100L18trti2_kernel_smallILi43EfPfEEv13rocblas_fill_17rocblas_diagonal_T1_iil, .Lfunc_end42-_ZN9rocsolver6v33100L18trti2_kernel_smallILi43EfPfEEv13rocblas_fill_17rocblas_diagonal_T1_iil
                                        ; -- End function
	.set _ZN9rocsolver6v33100L18trti2_kernel_smallILi43EfPfEEv13rocblas_fill_17rocblas_diagonal_T1_iil.num_vgpr, 124
	.set _ZN9rocsolver6v33100L18trti2_kernel_smallILi43EfPfEEv13rocblas_fill_17rocblas_diagonal_T1_iil.num_agpr, 0
	.set _ZN9rocsolver6v33100L18trti2_kernel_smallILi43EfPfEEv13rocblas_fill_17rocblas_diagonal_T1_iil.numbered_sgpr, 56
	.set _ZN9rocsolver6v33100L18trti2_kernel_smallILi43EfPfEEv13rocblas_fill_17rocblas_diagonal_T1_iil.num_named_barrier, 0
	.set _ZN9rocsolver6v33100L18trti2_kernel_smallILi43EfPfEEv13rocblas_fill_17rocblas_diagonal_T1_iil.private_seg_size, 176
	.set _ZN9rocsolver6v33100L18trti2_kernel_smallILi43EfPfEEv13rocblas_fill_17rocblas_diagonal_T1_iil.uses_vcc, 1
	.set _ZN9rocsolver6v33100L18trti2_kernel_smallILi43EfPfEEv13rocblas_fill_17rocblas_diagonal_T1_iil.uses_flat_scratch, 0
	.set _ZN9rocsolver6v33100L18trti2_kernel_smallILi43EfPfEEv13rocblas_fill_17rocblas_diagonal_T1_iil.has_dyn_sized_stack, 0
	.set _ZN9rocsolver6v33100L18trti2_kernel_smallILi43EfPfEEv13rocblas_fill_17rocblas_diagonal_T1_iil.has_recursion, 0
	.set _ZN9rocsolver6v33100L18trti2_kernel_smallILi43EfPfEEv13rocblas_fill_17rocblas_diagonal_T1_iil.has_indirect_call, 0
	.section	.AMDGPU.csdata,"",@progbits
; Kernel info:
; codeLenInByte = 20828
; TotalNumSgprs: 60
; NumVgprs: 124
; ScratchSize: 176
; MemoryBound: 0
; FloatMode: 240
; IeeeMode: 1
; LDSByteSize: 348 bytes/workgroup (compile time only)
; SGPRBlocks: 7
; VGPRBlocks: 30
; NumSGPRsForWavesPerEU: 60
; NumVGPRsForWavesPerEU: 124
; Occupancy: 2
; WaveLimiterHint : 0
; COMPUTE_PGM_RSRC2:SCRATCH_EN: 1
; COMPUTE_PGM_RSRC2:USER_SGPR: 6
; COMPUTE_PGM_RSRC2:TRAP_HANDLER: 0
; COMPUTE_PGM_RSRC2:TGID_X_EN: 1
; COMPUTE_PGM_RSRC2:TGID_Y_EN: 0
; COMPUTE_PGM_RSRC2:TGID_Z_EN: 0
; COMPUTE_PGM_RSRC2:TIDIG_COMP_CNT: 0
	.section	.text._ZN9rocsolver6v33100L18trti2_kernel_smallILi44EfPfEEv13rocblas_fill_17rocblas_diagonal_T1_iil,"axG",@progbits,_ZN9rocsolver6v33100L18trti2_kernel_smallILi44EfPfEEv13rocblas_fill_17rocblas_diagonal_T1_iil,comdat
	.globl	_ZN9rocsolver6v33100L18trti2_kernel_smallILi44EfPfEEv13rocblas_fill_17rocblas_diagonal_T1_iil ; -- Begin function _ZN9rocsolver6v33100L18trti2_kernel_smallILi44EfPfEEv13rocblas_fill_17rocblas_diagonal_T1_iil
	.p2align	8
	.type	_ZN9rocsolver6v33100L18trti2_kernel_smallILi44EfPfEEv13rocblas_fill_17rocblas_diagonal_T1_iil,@function
_ZN9rocsolver6v33100L18trti2_kernel_smallILi44EfPfEEv13rocblas_fill_17rocblas_diagonal_T1_iil: ; @_ZN9rocsolver6v33100L18trti2_kernel_smallILi44EfPfEEv13rocblas_fill_17rocblas_diagonal_T1_iil
; %bb.0:
	s_add_u32 s0, s0, s7
	s_addc_u32 s1, s1, 0
	v_cmp_gt_u32_e32 vcc, 44, v0
	s_and_saveexec_b64 s[8:9], vcc
	s_cbranch_execz .LBB43_850
; %bb.1:
	s_load_dwordx8 s[8:15], s[4:5], 0x0
	s_ashr_i32 s7, s6, 31
	v_lshlrev_b32_e32 v89, 2, v0
	s_waitcnt lgkmcnt(0)
	s_ashr_i32 s5, s12, 31
	s_mov_b32 s4, s12
	s_mul_hi_u32 s12, s14, s6
	s_mul_i32 s7, s14, s7
	s_add_i32 s7, s12, s7
	s_mul_i32 s12, s15, s6
	s_add_i32 s7, s7, s12
	s_mul_i32 s6, s14, s6
	s_lshl_b64 s[6:7], s[6:7], 2
	s_add_u32 s6, s10, s6
	s_addc_u32 s7, s11, s7
	s_lshl_b64 s[4:5], s[4:5], 2
	s_add_u32 s4, s6, s4
	s_addc_u32 s5, s7, s5
	s_add_i32 s6, s13, s13
	v_add_u32_e32 v3, s6, v0
	v_ashrrev_i32_e32 v4, 31, v3
	v_lshlrev_b64 v[1:2], 2, v[3:4]
	v_add_u32_e32 v5, s13, v3
	v_mov_b32_e32 v4, s5
	v_add_co_u32_e32 v1, vcc, s4, v1
	v_ashrrev_i32_e32 v6, 31, v5
	v_addc_co_u32_e32 v2, vcc, v4, v2, vcc
	v_lshlrev_b64 v[3:4], 2, v[5:6]
	v_add_u32_e32 v7, s13, v5
	v_mov_b32_e32 v6, s5
	v_add_co_u32_e32 v3, vcc, s4, v3
	v_ashrrev_i32_e32 v8, 31, v7
	v_addc_co_u32_e32 v4, vcc, v6, v4, vcc
	;; [unrolled: 6-line block ×8, first 2 shown]
	v_lshlrev_b64 v[17:18], 2, v[19:20]
	v_mov_b32_e32 v21, s5
	v_add_co_u32_e32 v17, vcc, s4, v17
	v_addc_co_u32_e32 v18, vcc, v21, v18, vcc
	v_add_u32_e32 v21, s13, v19
	v_ashrrev_i32_e32 v22, 31, v21
	v_lshlrev_b64 v[19:20], 2, v[21:22]
	v_mov_b32_e32 v23, s5
	v_add_co_u32_e32 v19, vcc, s4, v19
	v_addc_co_u32_e32 v20, vcc, v23, v20, vcc
	v_add_u32_e32 v23, s13, v21
	v_ashrrev_i32_e32 v24, 31, v23
	;; [unrolled: 6-line block ×24, first 2 shown]
	v_lshlrev_b64 v[65:66], 2, v[67:68]
	v_mov_b32_e32 v69, s5
	v_add_co_u32_e32 v65, vcc, s4, v65
	v_addc_co_u32_e32 v66, vcc, v69, v66, vcc
	v_add_u32_e32 v69, s13, v67
	v_mov_b32_e32 v67, s5
	v_add_co_u32_e32 v73, vcc, s4, v89
	s_ashr_i32 s7, s13, 31
	s_mov_b32 s6, s13
	v_addc_co_u32_e32 v74, vcc, 0, v67, vcc
	s_lshl_b64 s[6:7], s[6:7], 2
	v_mov_b32_e32 v67, s7
	v_add_co_u32_e32 v79, vcc, s6, v73
	v_addc_co_u32_e32 v80, vcc, v74, v67, vcc
	global_load_dword v90, v89, s[4:5]
	global_load_dword v91, v[79:80], off
	global_load_dword v92, v[1:2], off
	;; [unrolled: 1-line block ×9, first 2 shown]
	v_ashrrev_i32_e32 v70, 31, v69
	v_lshlrev_b64 v[67:68], 2, v[69:70]
	v_mov_b32_e32 v71, s5
	v_add_co_u32_e32 v67, vcc, s4, v67
	v_addc_co_u32_e32 v68, vcc, v71, v68, vcc
	v_add_u32_e32 v71, s13, v69
	v_ashrrev_i32_e32 v72, 31, v71
	v_lshlrev_b64 v[69:70], 2, v[71:72]
	v_mov_b32_e32 v75, s5
	v_add_co_u32_e32 v69, vcc, s4, v69
	v_addc_co_u32_e32 v70, vcc, v75, v70, vcc
	v_add_u32_e32 v75, s13, v71
	;; [unrolled: 6-line block ×7, first 2 shown]
	v_ashrrev_i32_e32 v88, 31, v87
	v_lshlrev_b64 v[85:86], 2, v[87:88]
	v_add_u32_e32 v87, s13, v87
	v_ashrrev_i32_e32 v88, 31, v87
	v_mov_b32_e32 v100, s5
	v_add_co_u32_e32 v85, vcc, s4, v85
	v_lshlrev_b64 v[87:88], 2, v[87:88]
	v_addc_co_u32_e32 v86, vcc, v100, v86, vcc
	v_add_co_u32_e32 v87, vcc, s4, v87
	v_addc_co_u32_e32 v88, vcc, v100, v88, vcc
	global_load_dword v100, v[87:88], off
	s_waitcnt vmcnt(10)
	buffer_store_dword v90, off, s[0:3], 0
	s_waitcnt vmcnt(10)
	buffer_store_dword v91, off, s[0:3], 0 offset:4
	s_waitcnt vmcnt(10)
	buffer_store_dword v92, off, s[0:3], 0 offset:8
	;; [unrolled: 2-line block ×8, first 2 shown]
	global_load_dword v90, v[17:18], off
	global_load_dword v91, v[19:20], off
	;; [unrolled: 1-line block ×7, first 2 shown]
	s_cmpk_lg_i32 s9, 0x84
	s_waitcnt vmcnt(17)
	buffer_store_dword v99, off, s[0:3], 0 offset:36
	global_load_dword v97, v[31:32], off
	global_load_dword v98, v[33:34], off
	s_nop 0
	global_load_dword v99, v[35:36], off
	global_load_dword v101, v[37:38], off
	;; [unrolled: 1-line block ×24, first 2 shown]
	s_waitcnt vmcnt(33)
	buffer_store_dword v90, off, s[0:3], 0 offset:40
	s_waitcnt vmcnt(33)
	buffer_store_dword v91, off, s[0:3], 0 offset:44
	;; [unrolled: 2-line block ×33, first 2 shown]
	buffer_store_dword v100, off, s[0:3], 0 offset:172
	s_movk_i32 s12, 0x84
	s_cselect_b64 s[10:11], -1, 0
	s_cmpk_eq_i32 s9, 0x84
	v_mov_b32_e32 v90, -1.0
	s_cbranch_scc1 .LBB43_3
; %bb.2:
	v_mov_b32_e32 v90, 0
	v_lshl_add_u32 v90, v0, 2, v90
	buffer_load_dword v91, v90, s[0:3], 0 offen
	s_waitcnt vmcnt(0)
	v_div_scale_f32 v92, s[4:5], v91, v91, 1.0
	v_div_scale_f32 v93, vcc, 1.0, v91, 1.0
	v_rcp_f32_e32 v94, v92
	v_fma_f32 v95, -v92, v94, 1.0
	v_fmac_f32_e32 v94, v95, v94
	v_mul_f32_e32 v95, v93, v94
	v_fma_f32 v96, -v92, v95, v93
	v_fmac_f32_e32 v95, v96, v94
	v_fma_f32 v92, -v92, v95, v93
	v_div_fmas_f32 v92, v92, v94, v95
	v_div_fixup_f32 v91, v92, v91, 1.0
	buffer_store_dword v91, v90, s[0:3], 0 offen
	v_xor_b32_e32 v90, 0x80000000, v91
.LBB43_3:
	ds_write_b32 v89, v90
	s_cmpk_eq_i32 s8, 0x79
	v_add_u32_e32 v90, 0xb0, v89
	v_mov_b32_e32 v91, v89
	s_mov_b64 s[4:5], -1
	s_cbranch_scc1 .LBB43_427
; %bb.4:
	buffer_load_dword v92, off, s[0:3], 0 offset:168
	s_movk_i32 s30, 0x44
	s_movk_i32 s31, 0x48
	;; [unrolled: 1-line block ×24, first 2 shown]
	v_cmp_eq_u32_e64 s[4:5], 43, v0
	s_waitcnt vmcnt(0)
	ds_write_b32 v90, v92
	s_waitcnt lgkmcnt(0)
	; wave barrier
	s_and_saveexec_b64 s[6:7], s[4:5]
	s_cbranch_execz .LBB43_10
; %bb.5:
	s_and_b64 vcc, exec, s[10:11]
	s_cbranch_vccz .LBB43_7
; %bb.6:
	buffer_load_dword v92, v91, s[0:3], 0 offen
	ds_read_b32 v93, v90
	s_waitcnt vmcnt(0) lgkmcnt(0)
	v_mul_f32_e32 v92, v92, v93
	s_cbranch_execz .LBB43_8
	s_branch .LBB43_9
.LBB43_7:
                                        ; implicit-def: $vgpr92
.LBB43_8:
	ds_read_b32 v92, v90
.LBB43_9:
	v_mov_b32_e32 v93, 0
	ds_read_b32 v93, v93 offset:168
	s_waitcnt lgkmcnt(0)
	v_mul_f32_e32 v92, v92, v93
	buffer_store_dword v92, off, s[0:3], 0 offset:168
.LBB43_10:
	s_or_b64 exec, exec, s[6:7]
	buffer_load_dword v92, off, s[0:3], 0 offset:164
	s_or_b32 s14, 0, 4
	s_or_b32 s15, 0, 8
	;; [unrolled: 1-line block ×3, first 2 shown]
	s_mov_b32 s17, 16
	s_mov_b32 s18, 20
	;; [unrolled: 1-line block ×15, first 2 shown]
	v_cmp_lt_u32_e64 s[6:7], 41, v0
	s_waitcnt vmcnt(0)
	ds_write_b32 v90, v92
	s_waitcnt lgkmcnt(0)
	; wave barrier
	s_and_saveexec_b64 s[8:9], s[6:7]
	s_cbranch_execz .LBB43_16
; %bb.11:
	s_andn2_b64 vcc, exec, s[10:11]
	s_cbranch_vccnz .LBB43_13
; %bb.12:
	buffer_load_dword v92, v91, s[0:3], 0 offen
	ds_read_b32 v93, v90
	s_waitcnt vmcnt(0) lgkmcnt(0)
	v_mul_f32_e32 v92, v92, v93
	s_cbranch_execz .LBB43_14
	s_branch .LBB43_15
.LBB43_13:
                                        ; implicit-def: $vgpr92
.LBB43_14:
	ds_read_b32 v92, v90
.LBB43_15:
	buffer_load_dword v95, off, s[0:3], 0 offset:168
	v_mov_b32_e32 v93, 0
	ds_read2_b32 v[93:94], v93 offset0:41 offset1:86
	s_waitcnt vmcnt(0) lgkmcnt(0)
	v_fma_f32 v94, v95, v94, v92
	v_cndmask_b32_e64 v92, v92, v94, s[4:5]
	v_mul_f32_e32 v92, v92, v93
	buffer_store_dword v92, off, s[0:3], 0 offset:164
.LBB43_16:
	s_or_b64 exec, exec, s[8:9]
	buffer_load_dword v92, off, s[0:3], 0 offset:160
	v_cmp_lt_u32_e64 s[4:5], 40, v0
	s_waitcnt vmcnt(0)
	ds_write_b32 v90, v92
	s_waitcnt lgkmcnt(0)
	; wave barrier
	s_and_saveexec_b64 s[8:9], s[4:5]
	s_cbranch_execz .LBB43_26
; %bb.17:
	s_andn2_b64 vcc, exec, s[10:11]
	s_cbranch_vccnz .LBB43_19
; %bb.18:
	buffer_load_dword v92, v91, s[0:3], 0 offen
	ds_read_b32 v93, v90
	s_waitcnt vmcnt(0) lgkmcnt(0)
	v_mul_f32_e32 v92, v92, v93
	s_cbranch_execz .LBB43_20
	s_branch .LBB43_21
.LBB43_19:
                                        ; implicit-def: $vgpr92
.LBB43_20:
	ds_read_b32 v92, v90
.LBB43_21:
	s_and_saveexec_b64 s[12:13], s[6:7]
	s_cbranch_execz .LBB43_25
; %bb.22:
	v_subrev_u32_e32 v93, 41, v0
	s_movk_i32 s56, 0x154
	s_mov_b64 s[6:7], 0
.LBB43_23:                              ; =>This Inner Loop Header: Depth=1
	v_mov_b32_e32 v94, s55
	buffer_load_dword v94, v94, s[0:3], 0 offen
	v_mov_b32_e32 v95, s56
	ds_read_b32 v95, v95
	v_add_u32_e32 v93, -1, v93
	s_add_i32 s56, s56, 4
	s_add_i32 s55, s55, 4
	v_cmp_eq_u32_e32 vcc, 0, v93
	s_or_b64 s[6:7], vcc, s[6:7]
	s_waitcnt vmcnt(0) lgkmcnt(0)
	v_fmac_f32_e32 v92, v94, v95
	s_andn2_b64 exec, exec, s[6:7]
	s_cbranch_execnz .LBB43_23
; %bb.24:
	s_or_b64 exec, exec, s[6:7]
.LBB43_25:
	s_or_b64 exec, exec, s[12:13]
	v_mov_b32_e32 v93, 0
	ds_read_b32 v93, v93 offset:160
	s_waitcnt lgkmcnt(0)
	v_mul_f32_e32 v92, v92, v93
	buffer_store_dword v92, off, s[0:3], 0 offset:160
.LBB43_26:
	s_or_b64 exec, exec, s[8:9]
	buffer_load_dword v92, off, s[0:3], 0 offset:156
	v_cmp_lt_u32_e64 s[6:7], 39, v0
	s_waitcnt vmcnt(0)
	ds_write_b32 v90, v92
	s_waitcnt lgkmcnt(0)
	; wave barrier
	s_and_saveexec_b64 s[8:9], s[6:7]
	s_cbranch_execz .LBB43_36
; %bb.27:
	s_andn2_b64 vcc, exec, s[10:11]
	s_cbranch_vccnz .LBB43_29
; %bb.28:
	buffer_load_dword v92, v91, s[0:3], 0 offen
	ds_read_b32 v93, v90
	s_waitcnt vmcnt(0) lgkmcnt(0)
	v_mul_f32_e32 v92, v92, v93
	s_cbranch_execz .LBB43_30
	s_branch .LBB43_31
.LBB43_29:
                                        ; implicit-def: $vgpr92
.LBB43_30:
	ds_read_b32 v92, v90
.LBB43_31:
	s_and_saveexec_b64 s[12:13], s[4:5]
	s_cbranch_execz .LBB43_35
; %bb.32:
	v_subrev_u32_e32 v93, 40, v0
	s_movk_i32 s55, 0x150
	s_mov_b64 s[4:5], 0
.LBB43_33:                              ; =>This Inner Loop Header: Depth=1
	v_mov_b32_e32 v94, s54
	buffer_load_dword v94, v94, s[0:3], 0 offen
	v_mov_b32_e32 v95, s55
	ds_read_b32 v95, v95
	v_add_u32_e32 v93, -1, v93
	s_add_i32 s55, s55, 4
	s_add_i32 s54, s54, 4
	v_cmp_eq_u32_e32 vcc, 0, v93
	s_or_b64 s[4:5], vcc, s[4:5]
	s_waitcnt vmcnt(0) lgkmcnt(0)
	v_fmac_f32_e32 v92, v94, v95
	s_andn2_b64 exec, exec, s[4:5]
	s_cbranch_execnz .LBB43_33
; %bb.34:
	s_or_b64 exec, exec, s[4:5]
.LBB43_35:
	s_or_b64 exec, exec, s[12:13]
	v_mov_b32_e32 v93, 0
	ds_read_b32 v93, v93 offset:156
	s_waitcnt lgkmcnt(0)
	v_mul_f32_e32 v92, v92, v93
	buffer_store_dword v92, off, s[0:3], 0 offset:156
.LBB43_36:
	;; [unrolled: 54-line block ×8, first 2 shown]
	s_or_b64 exec, exec, s[8:9]
	buffer_load_dword v92, off, s[0:3], 0 offset:128
	v_cmp_lt_u32_e64 s[4:5], 32, v0
	s_waitcnt vmcnt(0)
	ds_write_b32 v90, v92
	s_waitcnt lgkmcnt(0)
	; wave barrier
	s_and_saveexec_b64 s[8:9], s[4:5]
	s_cbranch_execz .LBB43_106
; %bb.97:
	s_andn2_b64 vcc, exec, s[10:11]
	s_cbranch_vccnz .LBB43_99
; %bb.98:
	buffer_load_dword v92, v91, s[0:3], 0 offen
	ds_read_b32 v93, v90
	s_waitcnt vmcnt(0) lgkmcnt(0)
	v_mul_f32_e32 v92, v92, v93
	s_cbranch_execz .LBB43_100
	s_branch .LBB43_101
.LBB43_99:
                                        ; implicit-def: $vgpr92
.LBB43_100:
	ds_read_b32 v92, v90
.LBB43_101:
	s_and_saveexec_b64 s[12:13], s[6:7]
	s_cbranch_execz .LBB43_105
; %bb.102:
	v_subrev_u32_e32 v93, 33, v0
	s_movk_i32 s48, 0x134
	s_mov_b64 s[6:7], 0
.LBB43_103:                             ; =>This Inner Loop Header: Depth=1
	v_mov_b32_e32 v94, s47
	buffer_load_dword v94, v94, s[0:3], 0 offen
	v_mov_b32_e32 v95, s48
	ds_read_b32 v95, v95
	v_add_u32_e32 v93, -1, v93
	s_add_i32 s48, s48, 4
	s_add_i32 s47, s47, 4
	v_cmp_eq_u32_e32 vcc, 0, v93
	s_or_b64 s[6:7], vcc, s[6:7]
	s_waitcnt vmcnt(0) lgkmcnt(0)
	v_fmac_f32_e32 v92, v94, v95
	s_andn2_b64 exec, exec, s[6:7]
	s_cbranch_execnz .LBB43_103
; %bb.104:
	s_or_b64 exec, exec, s[6:7]
.LBB43_105:
	s_or_b64 exec, exec, s[12:13]
	v_mov_b32_e32 v93, 0
	ds_read_b32 v93, v93 offset:128
	s_waitcnt lgkmcnt(0)
	v_mul_f32_e32 v92, v92, v93
	buffer_store_dword v92, off, s[0:3], 0 offset:128
.LBB43_106:
	s_or_b64 exec, exec, s[8:9]
	buffer_load_dword v92, off, s[0:3], 0 offset:124
	v_cmp_lt_u32_e64 s[6:7], 31, v0
	s_waitcnt vmcnt(0)
	ds_write_b32 v90, v92
	s_waitcnt lgkmcnt(0)
	; wave barrier
	s_and_saveexec_b64 s[8:9], s[6:7]
	s_cbranch_execz .LBB43_116
; %bb.107:
	s_andn2_b64 vcc, exec, s[10:11]
	s_cbranch_vccnz .LBB43_109
; %bb.108:
	buffer_load_dword v92, v91, s[0:3], 0 offen
	ds_read_b32 v93, v90
	s_waitcnt vmcnt(0) lgkmcnt(0)
	v_mul_f32_e32 v92, v92, v93
	s_cbranch_execz .LBB43_110
	s_branch .LBB43_111
.LBB43_109:
                                        ; implicit-def: $vgpr92
.LBB43_110:
	ds_read_b32 v92, v90
.LBB43_111:
	s_and_saveexec_b64 s[12:13], s[4:5]
	s_cbranch_execz .LBB43_115
; %bb.112:
	v_subrev_u32_e32 v93, 32, v0
	s_movk_i32 s47, 0x130
	s_mov_b64 s[4:5], 0
.LBB43_113:                             ; =>This Inner Loop Header: Depth=1
	v_mov_b32_e32 v94, s46
	buffer_load_dword v94, v94, s[0:3], 0 offen
	v_mov_b32_e32 v95, s47
	ds_read_b32 v95, v95
	v_add_u32_e32 v93, -1, v93
	s_add_i32 s47, s47, 4
	s_add_i32 s46, s46, 4
	v_cmp_eq_u32_e32 vcc, 0, v93
	s_or_b64 s[4:5], vcc, s[4:5]
	s_waitcnt vmcnt(0) lgkmcnt(0)
	v_fmac_f32_e32 v92, v94, v95
	s_andn2_b64 exec, exec, s[4:5]
	s_cbranch_execnz .LBB43_113
; %bb.114:
	s_or_b64 exec, exec, s[4:5]
.LBB43_115:
	s_or_b64 exec, exec, s[12:13]
	v_mov_b32_e32 v93, 0
	ds_read_b32 v93, v93 offset:124
	s_waitcnt lgkmcnt(0)
	v_mul_f32_e32 v92, v92, v93
	buffer_store_dword v92, off, s[0:3], 0 offset:124
.LBB43_116:
	;; [unrolled: 54-line block ×17, first 2 shown]
	s_or_b64 exec, exec, s[8:9]
	buffer_load_dword v92, off, s[0:3], 0 offset:60
	v_cmp_lt_u32_e64 s[6:7], 15, v0
	s_waitcnt vmcnt(0)
	ds_write_b32 v90, v92
	s_waitcnt lgkmcnt(0)
	; wave barrier
	s_and_saveexec_b64 s[8:9], s[6:7]
	s_cbranch_execz .LBB43_276
; %bb.267:
	s_andn2_b64 vcc, exec, s[10:11]
	s_cbranch_vccnz .LBB43_269
; %bb.268:
	buffer_load_dword v92, v91, s[0:3], 0 offen
	ds_read_b32 v93, v90
	s_waitcnt vmcnt(0) lgkmcnt(0)
	v_mul_f32_e32 v92, v92, v93
	s_cbranch_execz .LBB43_270
	s_branch .LBB43_271
.LBB43_269:
                                        ; implicit-def: $vgpr92
.LBB43_270:
	ds_read_b32 v92, v90
.LBB43_271:
	s_and_saveexec_b64 s[12:13], s[4:5]
	s_cbranch_execz .LBB43_275
; %bb.272:
	v_add_u32_e32 v93, -16, v0
	s_movk_i32 s30, 0xf0
	s_mov_b64 s[4:5], 0
.LBB43_273:                             ; =>This Inner Loop Header: Depth=1
	v_mov_b32_e32 v94, s29
	buffer_load_dword v94, v94, s[0:3], 0 offen
	v_mov_b32_e32 v95, s30
	ds_read_b32 v95, v95
	v_add_u32_e32 v93, -1, v93
	s_add_i32 s30, s30, 4
	s_add_i32 s29, s29, 4
	v_cmp_eq_u32_e32 vcc, 0, v93
	s_or_b64 s[4:5], vcc, s[4:5]
	s_waitcnt vmcnt(0) lgkmcnt(0)
	v_fmac_f32_e32 v92, v94, v95
	s_andn2_b64 exec, exec, s[4:5]
	s_cbranch_execnz .LBB43_273
; %bb.274:
	s_or_b64 exec, exec, s[4:5]
.LBB43_275:
	s_or_b64 exec, exec, s[12:13]
	v_mov_b32_e32 v93, 0
	ds_read_b32 v93, v93 offset:60
	s_waitcnt lgkmcnt(0)
	v_mul_f32_e32 v92, v92, v93
	buffer_store_dword v92, off, s[0:3], 0 offset:60
.LBB43_276:
	s_or_b64 exec, exec, s[8:9]
	buffer_load_dword v92, off, s[0:3], 0 offset:56
	v_cmp_lt_u32_e64 s[4:5], 14, v0
	s_waitcnt vmcnt(0)
	ds_write_b32 v90, v92
	s_waitcnt lgkmcnt(0)
	; wave barrier
	s_and_saveexec_b64 s[8:9], s[4:5]
	s_cbranch_execz .LBB43_286
; %bb.277:
	s_andn2_b64 vcc, exec, s[10:11]
	s_cbranch_vccnz .LBB43_279
; %bb.278:
	buffer_load_dword v92, v91, s[0:3], 0 offen
	ds_read_b32 v93, v90
	s_waitcnt vmcnt(0) lgkmcnt(0)
	v_mul_f32_e32 v92, v92, v93
	s_cbranch_execz .LBB43_280
	s_branch .LBB43_281
.LBB43_279:
                                        ; implicit-def: $vgpr92
.LBB43_280:
	ds_read_b32 v92, v90
.LBB43_281:
	s_and_saveexec_b64 s[12:13], s[6:7]
	s_cbranch_execz .LBB43_285
; %bb.282:
	v_add_u32_e32 v93, -15, v0
	s_movk_i32 s29, 0xec
	s_mov_b64 s[6:7], 0
.LBB43_283:                             ; =>This Inner Loop Header: Depth=1
	v_mov_b32_e32 v94, s28
	buffer_load_dword v94, v94, s[0:3], 0 offen
	v_mov_b32_e32 v95, s29
	ds_read_b32 v95, v95
	v_add_u32_e32 v93, -1, v93
	s_add_i32 s29, s29, 4
	s_add_i32 s28, s28, 4
	v_cmp_eq_u32_e32 vcc, 0, v93
	s_or_b64 s[6:7], vcc, s[6:7]
	s_waitcnt vmcnt(0) lgkmcnt(0)
	v_fmac_f32_e32 v92, v94, v95
	s_andn2_b64 exec, exec, s[6:7]
	s_cbranch_execnz .LBB43_283
; %bb.284:
	s_or_b64 exec, exec, s[6:7]
.LBB43_285:
	s_or_b64 exec, exec, s[12:13]
	v_mov_b32_e32 v93, 0
	ds_read_b32 v93, v93 offset:56
	s_waitcnt lgkmcnt(0)
	v_mul_f32_e32 v92, v92, v93
	buffer_store_dword v92, off, s[0:3], 0 offset:56
.LBB43_286:
	;; [unrolled: 54-line block ×15, first 2 shown]
	s_or_b64 exec, exec, s[8:9]
	buffer_load_dword v92, off, s[0:3], 0
	v_cmp_ne_u32_e32 vcc, 0, v0
	s_waitcnt vmcnt(0)
	ds_write_b32 v90, v92
	s_waitcnt lgkmcnt(0)
	; wave barrier
	s_and_saveexec_b64 s[4:5], vcc
	s_cbranch_execz .LBB43_426
; %bb.417:
	s_andn2_b64 vcc, exec, s[10:11]
	s_cbranch_vccnz .LBB43_419
; %bb.418:
	buffer_load_dword v92, v91, s[0:3], 0 offen
	ds_read_b32 v93, v90
	s_waitcnt vmcnt(0) lgkmcnt(0)
	v_mul_f32_e32 v92, v92, v93
	s_cbranch_execz .LBB43_420
	s_branch .LBB43_421
.LBB43_419:
                                        ; implicit-def: $vgpr92
.LBB43_420:
	ds_read_b32 v92, v90
.LBB43_421:
	s_and_saveexec_b64 s[8:9], s[6:7]
	s_cbranch_execz .LBB43_425
; %bb.422:
	v_add_u32_e32 v93, -1, v0
	s_movk_i32 s12, 0xb4
	s_mov_b64 s[6:7], 0
.LBB43_423:                             ; =>This Inner Loop Header: Depth=1
	v_mov_b32_e32 v94, s14
	buffer_load_dword v94, v94, s[0:3], 0 offen
	v_mov_b32_e32 v95, s12
	ds_read_b32 v95, v95
	v_add_u32_e32 v93, -1, v93
	s_add_i32 s12, s12, 4
	s_add_i32 s14, s14, 4
	v_cmp_eq_u32_e32 vcc, 0, v93
	s_or_b64 s[6:7], vcc, s[6:7]
	s_waitcnt vmcnt(0) lgkmcnt(0)
	v_fmac_f32_e32 v92, v94, v95
	s_andn2_b64 exec, exec, s[6:7]
	s_cbranch_execnz .LBB43_423
; %bb.424:
	s_or_b64 exec, exec, s[6:7]
.LBB43_425:
	s_or_b64 exec, exec, s[8:9]
	v_mov_b32_e32 v93, 0
	ds_read_b32 v93, v93
	s_waitcnt lgkmcnt(0)
	v_mul_f32_e32 v92, v92, v93
	buffer_store_dword v92, off, s[0:3], 0
.LBB43_426:
	s_or_b64 exec, exec, s[4:5]
	s_mov_b64 s[4:5], 0
.LBB43_427:
	s_and_b64 vcc, exec, s[4:5]
	s_cbranch_vccz .LBB43_849
; %bb.428:
	buffer_load_dword v92, off, s[0:3], 0 offset:4
	v_cmp_eq_u32_e64 s[6:7], 0, v0
	s_waitcnt vmcnt(0)
	ds_write_b32 v90, v92
	s_waitcnt lgkmcnt(0)
	; wave barrier
	s_and_saveexec_b64 s[4:5], s[6:7]
	s_cbranch_execz .LBB43_434
; %bb.429:
	s_and_b64 vcc, exec, s[10:11]
	s_cbranch_vccz .LBB43_431
; %bb.430:
	buffer_load_dword v92, v91, s[0:3], 0 offen
	ds_read_b32 v93, v90
	s_waitcnt vmcnt(0) lgkmcnt(0)
	v_mul_f32_e32 v92, v92, v93
	s_cbranch_execz .LBB43_432
	s_branch .LBB43_433
.LBB43_431:
                                        ; implicit-def: $vgpr92
.LBB43_432:
	ds_read_b32 v92, v90
.LBB43_433:
	v_mov_b32_e32 v93, 0
	ds_read_b32 v93, v93 offset:4
	s_waitcnt lgkmcnt(0)
	v_mul_f32_e32 v92, v92, v93
	buffer_store_dword v92, off, s[0:3], 0 offset:4
.LBB43_434:
	s_or_b64 exec, exec, s[4:5]
	buffer_load_dword v92, off, s[0:3], 0 offset:8
	v_cndmask_b32_e64 v93, 0, 1, s[10:11]
	v_cmp_gt_u32_e32 vcc, 2, v0
	v_cmp_ne_u32_e64 s[4:5], 1, v93
	s_waitcnt vmcnt(0)
	ds_write_b32 v90, v92
	s_waitcnt lgkmcnt(0)
	; wave barrier
	s_and_saveexec_b64 s[8:9], vcc
	s_cbranch_execz .LBB43_440
; %bb.435:
	s_and_b64 vcc, exec, s[4:5]
	s_cbranch_vccnz .LBB43_437
; %bb.436:
	buffer_load_dword v92, v91, s[0:3], 0 offen
	ds_read_b32 v93, v90
	s_waitcnt vmcnt(0) lgkmcnt(0)
	v_mul_f32_e32 v92, v92, v93
	s_cbranch_execz .LBB43_438
	s_branch .LBB43_439
.LBB43_437:
                                        ; implicit-def: $vgpr92
.LBB43_438:
	ds_read_b32 v92, v90
.LBB43_439:
	buffer_load_dword v95, off, s[0:3], 0 offset:4
	v_mov_b32_e32 v93, 0
	ds_read2_b32 v[93:94], v93 offset0:2 offset1:45
	s_waitcnt vmcnt(0) lgkmcnt(0)
	v_fma_f32 v94, v95, v94, v92
	v_cndmask_b32_e64 v92, v92, v94, s[6:7]
	v_mul_f32_e32 v92, v92, v93
	buffer_store_dword v92, off, s[0:3], 0 offset:8
.LBB43_440:
	s_or_b64 exec, exec, s[8:9]
	buffer_load_dword v92, off, s[0:3], 0 offset:12
	v_cmp_gt_u32_e32 vcc, 3, v0
	s_waitcnt vmcnt(0)
	ds_write_b32 v90, v92
	s_waitcnt lgkmcnt(0)
	; wave barrier
	s_and_saveexec_b64 s[8:9], vcc
	s_cbranch_execz .LBB43_448
; %bb.441:
	s_and_b64 vcc, exec, s[4:5]
	s_cbranch_vccnz .LBB43_443
; %bb.442:
	buffer_load_dword v92, v91, s[0:3], 0 offen
	ds_read_b32 v93, v90
	s_waitcnt vmcnt(0) lgkmcnt(0)
	v_mul_f32_e32 v92, v92, v93
	s_cbranch_execz .LBB43_444
	s_branch .LBB43_445
.LBB43_443:
                                        ; implicit-def: $vgpr92
.LBB43_444:
	ds_read_b32 v92, v90
.LBB43_445:
	v_cmp_ne_u32_e32 vcc, 2, v0
	s_and_saveexec_b64 s[10:11], vcc
	s_cbranch_execz .LBB43_447
; %bb.446:
	buffer_load_dword v93, v91, s[0:3], 0 offen offset:4
	buffer_load_dword v94, off, s[0:3], 0 offset:8
	v_mov_b32_e32 v95, 0
	ds_read_b32 v96, v90 offset:4
	ds_read_b32 v95, v95 offset:184
	s_waitcnt vmcnt(1) lgkmcnt(1)
	v_fmac_f32_e32 v92, v93, v96
	s_waitcnt vmcnt(0) lgkmcnt(0)
	v_fma_f32 v93, v94, v95, v92
	v_cndmask_b32_e64 v92, v92, v93, s[6:7]
.LBB43_447:
	s_or_b64 exec, exec, s[10:11]
	v_mov_b32_e32 v93, 0
	ds_read_b32 v93, v93 offset:12
	s_waitcnt lgkmcnt(0)
	v_mul_f32_e32 v92, v92, v93
	buffer_store_dword v92, off, s[0:3], 0 offset:12
.LBB43_448:
	s_or_b64 exec, exec, s[8:9]
	buffer_load_dword v92, off, s[0:3], 0 offset:16
	v_cmp_gt_u32_e32 vcc, 4, v0
	s_waitcnt vmcnt(0)
	ds_write_b32 v90, v92
	s_waitcnt lgkmcnt(0)
	; wave barrier
	s_and_saveexec_b64 s[6:7], vcc
	s_cbranch_execz .LBB43_458
; %bb.449:
	s_and_b64 vcc, exec, s[4:5]
	s_cbranch_vccnz .LBB43_451
; %bb.450:
	buffer_load_dword v92, v91, s[0:3], 0 offen
	ds_read_b32 v93, v90
	s_waitcnt vmcnt(0) lgkmcnt(0)
	v_mul_f32_e32 v92, v92, v93
	s_cbranch_execz .LBB43_452
	s_branch .LBB43_453
.LBB43_451:
                                        ; implicit-def: $vgpr92
.LBB43_452:
	ds_read_b32 v92, v90
.LBB43_453:
	v_cmp_ne_u32_e32 vcc, 3, v0
	s_and_saveexec_b64 s[8:9], vcc
	s_cbranch_execz .LBB43_457
; %bb.454:
	s_mov_b32 s10, 0
	v_add_u32_e32 v93, 0xb4, v89
	v_add3_u32 v94, v89, s10, 4
	s_mov_b64 s[10:11], 0
	v_mov_b32_e32 v95, v0
.LBB43_455:                             ; =>This Inner Loop Header: Depth=1
	buffer_load_dword v96, v94, s[0:3], 0 offen
	ds_read_b32 v97, v93
	v_add_u32_e32 v95, 1, v95
	v_cmp_lt_u32_e32 vcc, 2, v95
	v_add_u32_e32 v93, 4, v93
	v_add_u32_e32 v94, 4, v94
	s_or_b64 s[10:11], vcc, s[10:11]
	s_waitcnt vmcnt(0) lgkmcnt(0)
	v_fmac_f32_e32 v92, v96, v97
	s_andn2_b64 exec, exec, s[10:11]
	s_cbranch_execnz .LBB43_455
; %bb.456:
	s_or_b64 exec, exec, s[10:11]
.LBB43_457:
	s_or_b64 exec, exec, s[8:9]
	v_mov_b32_e32 v93, 0
	ds_read_b32 v93, v93 offset:16
	s_waitcnt lgkmcnt(0)
	v_mul_f32_e32 v92, v92, v93
	buffer_store_dword v92, off, s[0:3], 0 offset:16
.LBB43_458:
	s_or_b64 exec, exec, s[6:7]
	buffer_load_dword v92, off, s[0:3], 0 offset:20
	v_cmp_gt_u32_e32 vcc, 5, v0
	s_waitcnt vmcnt(0)
	ds_write_b32 v90, v92
	s_waitcnt lgkmcnt(0)
	; wave barrier
	s_and_saveexec_b64 s[6:7], vcc
	s_cbranch_execz .LBB43_468
; %bb.459:
	s_and_b64 vcc, exec, s[4:5]
	s_cbranch_vccnz .LBB43_461
; %bb.460:
	buffer_load_dword v92, v91, s[0:3], 0 offen
	ds_read_b32 v93, v90
	s_waitcnt vmcnt(0) lgkmcnt(0)
	v_mul_f32_e32 v92, v92, v93
	s_cbranch_execz .LBB43_462
	s_branch .LBB43_463
.LBB43_461:
                                        ; implicit-def: $vgpr92
.LBB43_462:
	ds_read_b32 v92, v90
.LBB43_463:
	v_cmp_ne_u32_e32 vcc, 4, v0
	s_and_saveexec_b64 s[8:9], vcc
	s_cbranch_execz .LBB43_467
; %bb.464:
	s_mov_b32 s10, 0
	v_add_u32_e32 v93, 0xb4, v89
	v_add3_u32 v94, v89, s10, 4
	s_mov_b64 s[10:11], 0
	v_mov_b32_e32 v95, v0
.LBB43_465:                             ; =>This Inner Loop Header: Depth=1
	buffer_load_dword v96, v94, s[0:3], 0 offen
	ds_read_b32 v97, v93
	v_add_u32_e32 v95, 1, v95
	v_cmp_lt_u32_e32 vcc, 3, v95
	v_add_u32_e32 v93, 4, v93
	v_add_u32_e32 v94, 4, v94
	s_or_b64 s[10:11], vcc, s[10:11]
	s_waitcnt vmcnt(0) lgkmcnt(0)
	v_fmac_f32_e32 v92, v96, v97
	s_andn2_b64 exec, exec, s[10:11]
	s_cbranch_execnz .LBB43_465
; %bb.466:
	s_or_b64 exec, exec, s[10:11]
.LBB43_467:
	s_or_b64 exec, exec, s[8:9]
	v_mov_b32_e32 v93, 0
	ds_read_b32 v93, v93 offset:20
	s_waitcnt lgkmcnt(0)
	v_mul_f32_e32 v92, v92, v93
	buffer_store_dword v92, off, s[0:3], 0 offset:20
.LBB43_468:
	;; [unrolled: 55-line block ×38, first 2 shown]
	s_or_b64 exec, exec, s[6:7]
	buffer_load_dword v92, off, s[0:3], 0 offset:168
	v_cmp_gt_u32_e64 s[6:7], 42, v0
	s_waitcnt vmcnt(0)
	ds_write_b32 v90, v92
	s_waitcnt lgkmcnt(0)
	; wave barrier
	s_and_saveexec_b64 s[8:9], s[6:7]
	s_cbranch_execz .LBB43_838
; %bb.829:
	s_and_b64 vcc, exec, s[4:5]
	s_cbranch_vccnz .LBB43_831
; %bb.830:
	buffer_load_dword v92, v91, s[0:3], 0 offen
	ds_read_b32 v93, v90
	s_waitcnt vmcnt(0) lgkmcnt(0)
	v_mul_f32_e32 v92, v92, v93
	s_cbranch_execz .LBB43_832
	s_branch .LBB43_833
.LBB43_831:
                                        ; implicit-def: $vgpr92
.LBB43_832:
	ds_read_b32 v92, v90
.LBB43_833:
	v_cmp_ne_u32_e32 vcc, 41, v0
	s_and_saveexec_b64 s[10:11], vcc
	s_cbranch_execz .LBB43_837
; %bb.834:
	s_mov_b32 s12, 0
	v_add_u32_e32 v93, 0xb4, v89
	v_add3_u32 v94, v89, s12, 4
	s_mov_b64 s[12:13], 0
	v_mov_b32_e32 v95, v0
.LBB43_835:                             ; =>This Inner Loop Header: Depth=1
	buffer_load_dword v96, v94, s[0:3], 0 offen
	ds_read_b32 v97, v93
	v_add_u32_e32 v95, 1, v95
	v_cmp_lt_u32_e32 vcc, 40, v95
	v_add_u32_e32 v93, 4, v93
	v_add_u32_e32 v94, 4, v94
	s_or_b64 s[12:13], vcc, s[12:13]
	s_waitcnt vmcnt(0) lgkmcnt(0)
	v_fmac_f32_e32 v92, v96, v97
	s_andn2_b64 exec, exec, s[12:13]
	s_cbranch_execnz .LBB43_835
; %bb.836:
	s_or_b64 exec, exec, s[12:13]
.LBB43_837:
	s_or_b64 exec, exec, s[10:11]
	v_mov_b32_e32 v93, 0
	ds_read_b32 v93, v93 offset:168
	s_waitcnt lgkmcnt(0)
	v_mul_f32_e32 v92, v92, v93
	buffer_store_dword v92, off, s[0:3], 0 offset:168
.LBB43_838:
	s_or_b64 exec, exec, s[8:9]
	buffer_load_dword v92, off, s[0:3], 0 offset:172
	v_cmp_ne_u32_e32 vcc, 43, v0
	s_waitcnt vmcnt(0)
	ds_write_b32 v90, v92
	s_waitcnt lgkmcnt(0)
	; wave barrier
	s_and_saveexec_b64 s[8:9], vcc
	s_cbranch_execz .LBB43_848
; %bb.839:
	s_and_b64 vcc, exec, s[4:5]
	s_cbranch_vccnz .LBB43_841
; %bb.840:
	buffer_load_dword v91, v91, s[0:3], 0 offen
	ds_read_b32 v92, v90
	s_waitcnt vmcnt(0) lgkmcnt(0)
	v_mul_f32_e32 v91, v91, v92
	s_cbranch_execz .LBB43_842
	s_branch .LBB43_843
.LBB43_841:
                                        ; implicit-def: $vgpr91
.LBB43_842:
	ds_read_b32 v91, v90
.LBB43_843:
	s_and_saveexec_b64 s[4:5], s[6:7]
	s_cbranch_execz .LBB43_847
; %bb.844:
	s_mov_b32 s6, 0
	v_add_u32_e32 v90, 0xb4, v89
	v_add3_u32 v89, v89, s6, 4
	s_mov_b64 s[6:7], 0
.LBB43_845:                             ; =>This Inner Loop Header: Depth=1
	buffer_load_dword v92, v89, s[0:3], 0 offen
	ds_read_b32 v93, v90
	v_add_u32_e32 v0, 1, v0
	v_cmp_lt_u32_e32 vcc, 41, v0
	v_add_u32_e32 v90, 4, v90
	v_add_u32_e32 v89, 4, v89
	s_or_b64 s[6:7], vcc, s[6:7]
	s_waitcnt vmcnt(0) lgkmcnt(0)
	v_fmac_f32_e32 v91, v92, v93
	s_andn2_b64 exec, exec, s[6:7]
	s_cbranch_execnz .LBB43_845
; %bb.846:
	s_or_b64 exec, exec, s[6:7]
.LBB43_847:
	s_or_b64 exec, exec, s[4:5]
	v_mov_b32_e32 v0, 0
	ds_read_b32 v0, v0 offset:172
	s_waitcnt lgkmcnt(0)
	v_mul_f32_e32 v0, v91, v0
	buffer_store_dword v0, off, s[0:3], 0 offset:172
.LBB43_848:
	s_or_b64 exec, exec, s[8:9]
.LBB43_849:
	buffer_load_dword v0, off, s[0:3], 0
	buffer_load_dword v89, off, s[0:3], 0 offset:4
	buffer_load_dword v90, off, s[0:3], 0 offset:8
	;; [unrolled: 1-line block ×31, first 2 shown]
	s_waitcnt vmcnt(31)
	global_store_dword v[73:74], v0, off
	s_waitcnt vmcnt(31)
	global_store_dword v[79:80], v89, off
	buffer_load_dword v0, off, s[0:3], 0 offset:128
	buffer_load_dword v73, off, s[0:3], 0 offset:132
	;; [unrolled: 1-line block ×3, first 2 shown]
	s_nop 0
	buffer_load_dword v79, off, s[0:3], 0 offset:140
	buffer_load_dword v80, off, s[0:3], 0 offset:144
	;; [unrolled: 1-line block ×5, first 2 shown]
	s_waitcnt vmcnt(39)
	global_store_dword v[1:2], v90, off
	buffer_load_dword v1, off, s[0:3], 0 offset:160
	s_nop 0
	buffer_load_dword v2, off, s[0:3], 0 offset:164
	buffer_load_dword v90, off, s[0:3], 0 offset:168
	;; [unrolled: 1-line block ×3, first 2 shown]
	s_waitcnt vmcnt(43)
	global_store_dword v[3:4], v91, off
	s_waitcnt vmcnt(43)
	global_store_dword v[5:6], v92, off
	;; [unrolled: 2-line block ×41, first 2 shown]
.LBB43_850:
	s_endpgm
	.section	.rodata,"a",@progbits
	.p2align	6, 0x0
	.amdhsa_kernel _ZN9rocsolver6v33100L18trti2_kernel_smallILi44EfPfEEv13rocblas_fill_17rocblas_diagonal_T1_iil
		.amdhsa_group_segment_fixed_size 352
		.amdhsa_private_segment_fixed_size 192
		.amdhsa_kernarg_size 32
		.amdhsa_user_sgpr_count 6
		.amdhsa_user_sgpr_private_segment_buffer 1
		.amdhsa_user_sgpr_dispatch_ptr 0
		.amdhsa_user_sgpr_queue_ptr 0
		.amdhsa_user_sgpr_kernarg_segment_ptr 1
		.amdhsa_user_sgpr_dispatch_id 0
		.amdhsa_user_sgpr_flat_scratch_init 0
		.amdhsa_user_sgpr_private_segment_size 0
		.amdhsa_uses_dynamic_stack 0
		.amdhsa_system_sgpr_private_segment_wavefront_offset 1
		.amdhsa_system_sgpr_workgroup_id_x 1
		.amdhsa_system_sgpr_workgroup_id_y 0
		.amdhsa_system_sgpr_workgroup_id_z 0
		.amdhsa_system_sgpr_workgroup_info 0
		.amdhsa_system_vgpr_workitem_id 0
		.amdhsa_next_free_vgpr 124
		.amdhsa_next_free_sgpr 57
		.amdhsa_reserve_vcc 1
		.amdhsa_reserve_flat_scratch 0
		.amdhsa_float_round_mode_32 0
		.amdhsa_float_round_mode_16_64 0
		.amdhsa_float_denorm_mode_32 3
		.amdhsa_float_denorm_mode_16_64 3
		.amdhsa_dx10_clamp 1
		.amdhsa_ieee_mode 1
		.amdhsa_fp16_overflow 0
		.amdhsa_exception_fp_ieee_invalid_op 0
		.amdhsa_exception_fp_denorm_src 0
		.amdhsa_exception_fp_ieee_div_zero 0
		.amdhsa_exception_fp_ieee_overflow 0
		.amdhsa_exception_fp_ieee_underflow 0
		.amdhsa_exception_fp_ieee_inexact 0
		.amdhsa_exception_int_div_zero 0
	.end_amdhsa_kernel
	.section	.text._ZN9rocsolver6v33100L18trti2_kernel_smallILi44EfPfEEv13rocblas_fill_17rocblas_diagonal_T1_iil,"axG",@progbits,_ZN9rocsolver6v33100L18trti2_kernel_smallILi44EfPfEEv13rocblas_fill_17rocblas_diagonal_T1_iil,comdat
.Lfunc_end43:
	.size	_ZN9rocsolver6v33100L18trti2_kernel_smallILi44EfPfEEv13rocblas_fill_17rocblas_diagonal_T1_iil, .Lfunc_end43-_ZN9rocsolver6v33100L18trti2_kernel_smallILi44EfPfEEv13rocblas_fill_17rocblas_diagonal_T1_iil
                                        ; -- End function
	.set _ZN9rocsolver6v33100L18trti2_kernel_smallILi44EfPfEEv13rocblas_fill_17rocblas_diagonal_T1_iil.num_vgpr, 124
	.set _ZN9rocsolver6v33100L18trti2_kernel_smallILi44EfPfEEv13rocblas_fill_17rocblas_diagonal_T1_iil.num_agpr, 0
	.set _ZN9rocsolver6v33100L18trti2_kernel_smallILi44EfPfEEv13rocblas_fill_17rocblas_diagonal_T1_iil.numbered_sgpr, 57
	.set _ZN9rocsolver6v33100L18trti2_kernel_smallILi44EfPfEEv13rocblas_fill_17rocblas_diagonal_T1_iil.num_named_barrier, 0
	.set _ZN9rocsolver6v33100L18trti2_kernel_smallILi44EfPfEEv13rocblas_fill_17rocblas_diagonal_T1_iil.private_seg_size, 192
	.set _ZN9rocsolver6v33100L18trti2_kernel_smallILi44EfPfEEv13rocblas_fill_17rocblas_diagonal_T1_iil.uses_vcc, 1
	.set _ZN9rocsolver6v33100L18trti2_kernel_smallILi44EfPfEEv13rocblas_fill_17rocblas_diagonal_T1_iil.uses_flat_scratch, 0
	.set _ZN9rocsolver6v33100L18trti2_kernel_smallILi44EfPfEEv13rocblas_fill_17rocblas_diagonal_T1_iil.has_dyn_sized_stack, 0
	.set _ZN9rocsolver6v33100L18trti2_kernel_smallILi44EfPfEEv13rocblas_fill_17rocblas_diagonal_T1_iil.has_recursion, 0
	.set _ZN9rocsolver6v33100L18trti2_kernel_smallILi44EfPfEEv13rocblas_fill_17rocblas_diagonal_T1_iil.has_indirect_call, 0
	.section	.AMDGPU.csdata,"",@progbits
; Kernel info:
; codeLenInByte = 21324
; TotalNumSgprs: 61
; NumVgprs: 124
; ScratchSize: 192
; MemoryBound: 0
; FloatMode: 240
; IeeeMode: 1
; LDSByteSize: 352 bytes/workgroup (compile time only)
; SGPRBlocks: 7
; VGPRBlocks: 30
; NumSGPRsForWavesPerEU: 61
; NumVGPRsForWavesPerEU: 124
; Occupancy: 2
; WaveLimiterHint : 0
; COMPUTE_PGM_RSRC2:SCRATCH_EN: 1
; COMPUTE_PGM_RSRC2:USER_SGPR: 6
; COMPUTE_PGM_RSRC2:TRAP_HANDLER: 0
; COMPUTE_PGM_RSRC2:TGID_X_EN: 1
; COMPUTE_PGM_RSRC2:TGID_Y_EN: 0
; COMPUTE_PGM_RSRC2:TGID_Z_EN: 0
; COMPUTE_PGM_RSRC2:TIDIG_COMP_CNT: 0
	.section	.text._ZN9rocsolver6v33100L18trti2_kernel_smallILi45EfPfEEv13rocblas_fill_17rocblas_diagonal_T1_iil,"axG",@progbits,_ZN9rocsolver6v33100L18trti2_kernel_smallILi45EfPfEEv13rocblas_fill_17rocblas_diagonal_T1_iil,comdat
	.globl	_ZN9rocsolver6v33100L18trti2_kernel_smallILi45EfPfEEv13rocblas_fill_17rocblas_diagonal_T1_iil ; -- Begin function _ZN9rocsolver6v33100L18trti2_kernel_smallILi45EfPfEEv13rocblas_fill_17rocblas_diagonal_T1_iil
	.p2align	8
	.type	_ZN9rocsolver6v33100L18trti2_kernel_smallILi45EfPfEEv13rocblas_fill_17rocblas_diagonal_T1_iil,@function
_ZN9rocsolver6v33100L18trti2_kernel_smallILi45EfPfEEv13rocblas_fill_17rocblas_diagonal_T1_iil: ; @_ZN9rocsolver6v33100L18trti2_kernel_smallILi45EfPfEEv13rocblas_fill_17rocblas_diagonal_T1_iil
; %bb.0:
	s_add_u32 s0, s0, s7
	s_addc_u32 s1, s1, 0
	v_cmp_gt_u32_e32 vcc, 45, v0
	s_and_saveexec_b64 s[8:9], vcc
	s_cbranch_execz .LBB44_870
; %bb.1:
	s_load_dwordx8 s[8:15], s[4:5], 0x0
	s_ashr_i32 s7, s6, 31
	v_lshlrev_b32_e32 v91, 2, v0
	s_waitcnt lgkmcnt(0)
	s_ashr_i32 s5, s12, 31
	s_mov_b32 s4, s12
	s_mul_hi_u32 s12, s14, s6
	s_mul_i32 s7, s14, s7
	s_add_i32 s7, s12, s7
	s_mul_i32 s12, s15, s6
	s_add_i32 s7, s7, s12
	s_mul_i32 s6, s14, s6
	s_lshl_b64 s[6:7], s[6:7], 2
	s_add_u32 s6, s10, s6
	s_addc_u32 s7, s11, s7
	s_lshl_b64 s[4:5], s[4:5], 2
	s_add_u32 s4, s6, s4
	s_addc_u32 s5, s7, s5
	s_add_i32 s6, s13, s13
	v_add_u32_e32 v3, s6, v0
	v_ashrrev_i32_e32 v4, 31, v3
	v_lshlrev_b64 v[1:2], 2, v[3:4]
	v_add_u32_e32 v5, s13, v3
	v_mov_b32_e32 v4, s5
	v_add_co_u32_e32 v1, vcc, s4, v1
	v_ashrrev_i32_e32 v6, 31, v5
	v_addc_co_u32_e32 v2, vcc, v4, v2, vcc
	v_lshlrev_b64 v[3:4], 2, v[5:6]
	v_add_u32_e32 v7, s13, v5
	v_mov_b32_e32 v6, s5
	v_add_co_u32_e32 v3, vcc, s4, v3
	v_ashrrev_i32_e32 v8, 31, v7
	v_addc_co_u32_e32 v4, vcc, v6, v4, vcc
	;; [unrolled: 6-line block ×8, first 2 shown]
	v_lshlrev_b64 v[17:18], 2, v[19:20]
	v_mov_b32_e32 v21, s5
	v_add_co_u32_e32 v17, vcc, s4, v17
	v_addc_co_u32_e32 v18, vcc, v21, v18, vcc
	v_add_u32_e32 v21, s13, v19
	v_ashrrev_i32_e32 v22, 31, v21
	v_lshlrev_b64 v[19:20], 2, v[21:22]
	v_mov_b32_e32 v23, s5
	v_add_co_u32_e32 v19, vcc, s4, v19
	v_addc_co_u32_e32 v20, vcc, v23, v20, vcc
	v_add_u32_e32 v23, s13, v21
	v_ashrrev_i32_e32 v24, 31, v23
	;; [unrolled: 6-line block ×26, first 2 shown]
	v_lshlrev_b64 v[69:70], 2, v[71:72]
	v_mov_b32_e32 v72, s5
	v_add_co_u32_e32 v75, vcc, s4, v91
	s_ashr_i32 s7, s13, 31
	s_mov_b32 s6, s13
	v_addc_co_u32_e32 v76, vcc, 0, v72, vcc
	s_lshl_b64 s[6:7], s[6:7], 2
	v_mov_b32_e32 v72, s7
	v_add_co_u32_e32 v81, vcc, s6, v75
	v_addc_co_u32_e32 v82, vcc, v76, v72, vcc
	global_load_dword v92, v91, s[4:5]
	global_load_dword v93, v[81:82], off
	global_load_dword v94, v[1:2], off
	;; [unrolled: 1-line block ×12, first 2 shown]
	v_mov_b32_e32 v73, s5
	v_add_co_u32_e32 v69, vcc, s4, v69
	v_addc_co_u32_e32 v70, vcc, v73, v70, vcc
	v_add_u32_e32 v73, s13, v71
	v_ashrrev_i32_e32 v74, 31, v73
	v_lshlrev_b64 v[71:72], 2, v[73:74]
	v_mov_b32_e32 v77, s5
	v_add_co_u32_e32 v71, vcc, s4, v71
	v_addc_co_u32_e32 v72, vcc, v77, v72, vcc
	v_add_u32_e32 v77, s13, v73
	v_ashrrev_i32_e32 v78, 31, v77
	v_lshlrev_b64 v[73:74], 2, v[77:78]
	;; [unrolled: 6-line block ×7, first 2 shown]
	v_add_u32_e32 v89, s13, v89
	v_ashrrev_i32_e32 v90, 31, v89
	v_mov_b32_e32 v105, s5
	v_add_co_u32_e32 v87, vcc, s4, v87
	v_lshlrev_b64 v[89:90], 2, v[89:90]
	v_addc_co_u32_e32 v88, vcc, v105, v88, vcc
	v_add_co_u32_e32 v89, vcc, s4, v89
	v_addc_co_u32_e32 v90, vcc, v105, v90, vcc
	global_load_dword v105, v[89:90], off
	s_waitcnt vmcnt(13)
	buffer_store_dword v92, off, s[0:3], 0
	s_waitcnt vmcnt(13)
	buffer_store_dword v93, off, s[0:3], 0 offset:4
	s_waitcnt vmcnt(13)
	buffer_store_dword v94, off, s[0:3], 0 offset:8
	;; [unrolled: 2-line block ×8, first 2 shown]
	global_load_dword v92, v[23:24], off
	global_load_dword v93, v[25:26], off
	;; [unrolled: 1-line block ×4, first 2 shown]
	s_waitcnt vmcnt(17)
	buffer_store_dword v101, off, s[0:3], 0 offset:36
	s_waitcnt vmcnt(17)
	buffer_store_dword v102, off, s[0:3], 0 offset:40
	;; [unrolled: 2-line block ×4, first 2 shown]
	global_load_dword v96, v[31:32], off
	global_load_dword v97, v[33:34], off
	;; [unrolled: 1-line block ×27, first 2 shown]
	s_cmpk_lg_i32 s9, 0x84
	s_waitcnt vmcnt(34)
	buffer_store_dword v92, off, s[0:3], 0 offset:52
	s_waitcnt vmcnt(34)
	buffer_store_dword v93, off, s[0:3], 0 offset:56
	;; [unrolled: 2-line block ×31, first 2 shown]
	buffer_store_dword v105, off, s[0:3], 0 offset:176
	s_movk_i32 s12, 0x84
	s_cselect_b64 s[10:11], -1, 0
	s_cmpk_eq_i32 s9, 0x84
	v_mov_b32_e32 v92, -1.0
	s_cbranch_scc1 .LBB44_3
; %bb.2:
	v_mov_b32_e32 v92, 0
	v_lshl_add_u32 v92, v0, 2, v92
	buffer_load_dword v93, v92, s[0:3], 0 offen
	s_waitcnt vmcnt(0)
	v_div_scale_f32 v94, s[4:5], v93, v93, 1.0
	v_div_scale_f32 v95, vcc, 1.0, v93, 1.0
	v_rcp_f32_e32 v96, v94
	v_fma_f32 v97, -v94, v96, 1.0
	v_fmac_f32_e32 v96, v97, v96
	v_mul_f32_e32 v97, v95, v96
	v_fma_f32 v98, -v94, v97, v95
	v_fmac_f32_e32 v97, v98, v96
	v_fma_f32 v94, -v94, v97, v95
	v_div_fmas_f32 v94, v94, v96, v97
	v_div_fixup_f32 v93, v94, v93, 1.0
	buffer_store_dword v93, v92, s[0:3], 0 offen
	v_xor_b32_e32 v92, 0x80000000, v93
.LBB44_3:
	ds_write_b32 v91, v92
	s_cmpk_eq_i32 s8, 0x79
	v_add_u32_e32 v92, 0xc0, v91
	v_mov_b32_e32 v93, v91
	s_mov_b64 s[4:5], -1
	s_cbranch_scc1 .LBB44_437
; %bb.4:
	buffer_load_dword v94, off, s[0:3], 0 offset:172
	s_movk_i32 s30, 0x44
	s_movk_i32 s31, 0x48
	;; [unrolled: 1-line block ×25, first 2 shown]
	v_cmp_eq_u32_e64 s[4:5], 44, v0
	s_waitcnt vmcnt(0)
	ds_write_b32 v92, v94
	s_waitcnt lgkmcnt(0)
	; wave barrier
	s_and_saveexec_b64 s[6:7], s[4:5]
	s_cbranch_execz .LBB44_10
; %bb.5:
	s_and_b64 vcc, exec, s[10:11]
	s_cbranch_vccz .LBB44_7
; %bb.6:
	buffer_load_dword v94, v93, s[0:3], 0 offen
	ds_read_b32 v95, v92
	s_waitcnt vmcnt(0) lgkmcnt(0)
	v_mul_f32_e32 v94, v94, v95
	s_cbranch_execz .LBB44_8
	s_branch .LBB44_9
.LBB44_7:
                                        ; implicit-def: $vgpr94
.LBB44_8:
	ds_read_b32 v94, v92
.LBB44_9:
	v_mov_b32_e32 v95, 0
	ds_read_b32 v95, v95 offset:172
	s_waitcnt lgkmcnt(0)
	v_mul_f32_e32 v94, v94, v95
	buffer_store_dword v94, off, s[0:3], 0 offset:172
.LBB44_10:
	s_or_b64 exec, exec, s[6:7]
	buffer_load_dword v94, off, s[0:3], 0 offset:168
	s_or_b32 s14, 0, 4
	s_or_b32 s15, 0, 8
	;; [unrolled: 1-line block ×3, first 2 shown]
	s_mov_b32 s17, 16
	s_mov_b32 s18, 20
	;; [unrolled: 1-line block ×15, first 2 shown]
	v_cmp_lt_u32_e64 s[6:7], 42, v0
	s_waitcnt vmcnt(0)
	ds_write_b32 v92, v94
	s_waitcnt lgkmcnt(0)
	; wave barrier
	s_and_saveexec_b64 s[8:9], s[6:7]
	s_cbranch_execz .LBB44_16
; %bb.11:
	s_andn2_b64 vcc, exec, s[10:11]
	s_cbranch_vccnz .LBB44_13
; %bb.12:
	buffer_load_dword v94, v93, s[0:3], 0 offen
	ds_read_b32 v95, v92
	s_waitcnt vmcnt(0) lgkmcnt(0)
	v_mul_f32_e32 v94, v94, v95
	s_cbranch_execz .LBB44_14
	s_branch .LBB44_15
.LBB44_13:
                                        ; implicit-def: $vgpr94
.LBB44_14:
	ds_read_b32 v94, v92
.LBB44_15:
	buffer_load_dword v97, off, s[0:3], 0 offset:172
	v_mov_b32_e32 v95, 0
	ds_read2_b32 v[95:96], v95 offset0:42 offset1:91
	s_waitcnt vmcnt(0) lgkmcnt(0)
	v_fma_f32 v96, v97, v96, v94
	v_cndmask_b32_e64 v94, v94, v96, s[4:5]
	v_mul_f32_e32 v94, v94, v95
	buffer_store_dword v94, off, s[0:3], 0 offset:168
.LBB44_16:
	s_or_b64 exec, exec, s[8:9]
	buffer_load_dword v94, off, s[0:3], 0 offset:164
	v_cmp_lt_u32_e64 s[4:5], 41, v0
	s_waitcnt vmcnt(0)
	ds_write_b32 v92, v94
	s_waitcnt lgkmcnt(0)
	; wave barrier
	s_and_saveexec_b64 s[8:9], s[4:5]
	s_cbranch_execz .LBB44_26
; %bb.17:
	s_andn2_b64 vcc, exec, s[10:11]
	s_cbranch_vccnz .LBB44_19
; %bb.18:
	buffer_load_dword v94, v93, s[0:3], 0 offen
	ds_read_b32 v95, v92
	s_waitcnt vmcnt(0) lgkmcnt(0)
	v_mul_f32_e32 v94, v94, v95
	s_cbranch_execz .LBB44_20
	s_branch .LBB44_21
.LBB44_19:
                                        ; implicit-def: $vgpr94
.LBB44_20:
	ds_read_b32 v94, v92
.LBB44_21:
	s_and_saveexec_b64 s[12:13], s[6:7]
	s_cbranch_execz .LBB44_25
; %bb.22:
	v_subrev_u32_e32 v95, 42, v0
	s_movk_i32 s57, 0x168
	s_mov_b64 s[6:7], 0
.LBB44_23:                              ; =>This Inner Loop Header: Depth=1
	v_mov_b32_e32 v96, s56
	buffer_load_dword v96, v96, s[0:3], 0 offen
	v_mov_b32_e32 v97, s57
	ds_read_b32 v97, v97
	v_add_u32_e32 v95, -1, v95
	s_add_i32 s57, s57, 4
	s_add_i32 s56, s56, 4
	v_cmp_eq_u32_e32 vcc, 0, v95
	s_or_b64 s[6:7], vcc, s[6:7]
	s_waitcnt vmcnt(0) lgkmcnt(0)
	v_fmac_f32_e32 v94, v96, v97
	s_andn2_b64 exec, exec, s[6:7]
	s_cbranch_execnz .LBB44_23
; %bb.24:
	s_or_b64 exec, exec, s[6:7]
.LBB44_25:
	s_or_b64 exec, exec, s[12:13]
	v_mov_b32_e32 v95, 0
	ds_read_b32 v95, v95 offset:164
	s_waitcnt lgkmcnt(0)
	v_mul_f32_e32 v94, v94, v95
	buffer_store_dword v94, off, s[0:3], 0 offset:164
.LBB44_26:
	s_or_b64 exec, exec, s[8:9]
	buffer_load_dword v94, off, s[0:3], 0 offset:160
	v_cmp_lt_u32_e64 s[6:7], 40, v0
	s_waitcnt vmcnt(0)
	ds_write_b32 v92, v94
	s_waitcnt lgkmcnt(0)
	; wave barrier
	s_and_saveexec_b64 s[8:9], s[6:7]
	s_cbranch_execz .LBB44_36
; %bb.27:
	s_andn2_b64 vcc, exec, s[10:11]
	s_cbranch_vccnz .LBB44_29
; %bb.28:
	buffer_load_dword v94, v93, s[0:3], 0 offen
	ds_read_b32 v95, v92
	s_waitcnt vmcnt(0) lgkmcnt(0)
	v_mul_f32_e32 v94, v94, v95
	s_cbranch_execz .LBB44_30
	s_branch .LBB44_31
.LBB44_29:
                                        ; implicit-def: $vgpr94
.LBB44_30:
	ds_read_b32 v94, v92
.LBB44_31:
	s_and_saveexec_b64 s[12:13], s[4:5]
	s_cbranch_execz .LBB44_35
; %bb.32:
	v_subrev_u32_e32 v95, 41, v0
	s_movk_i32 s56, 0x164
	s_mov_b64 s[4:5], 0
.LBB44_33:                              ; =>This Inner Loop Header: Depth=1
	v_mov_b32_e32 v96, s55
	buffer_load_dword v96, v96, s[0:3], 0 offen
	v_mov_b32_e32 v97, s56
	ds_read_b32 v97, v97
	v_add_u32_e32 v95, -1, v95
	s_add_i32 s56, s56, 4
	s_add_i32 s55, s55, 4
	v_cmp_eq_u32_e32 vcc, 0, v95
	s_or_b64 s[4:5], vcc, s[4:5]
	s_waitcnt vmcnt(0) lgkmcnt(0)
	v_fmac_f32_e32 v94, v96, v97
	s_andn2_b64 exec, exec, s[4:5]
	s_cbranch_execnz .LBB44_33
; %bb.34:
	s_or_b64 exec, exec, s[4:5]
.LBB44_35:
	s_or_b64 exec, exec, s[12:13]
	v_mov_b32_e32 v95, 0
	ds_read_b32 v95, v95 offset:160
	s_waitcnt lgkmcnt(0)
	v_mul_f32_e32 v94, v94, v95
	buffer_store_dword v94, off, s[0:3], 0 offset:160
.LBB44_36:
	;; [unrolled: 54-line block ×8, first 2 shown]
	s_or_b64 exec, exec, s[8:9]
	buffer_load_dword v94, off, s[0:3], 0 offset:132
	v_cmp_lt_u32_e64 s[4:5], 33, v0
	s_waitcnt vmcnt(0)
	ds_write_b32 v92, v94
	s_waitcnt lgkmcnt(0)
	; wave barrier
	s_and_saveexec_b64 s[8:9], s[4:5]
	s_cbranch_execz .LBB44_106
; %bb.97:
	s_andn2_b64 vcc, exec, s[10:11]
	s_cbranch_vccnz .LBB44_99
; %bb.98:
	buffer_load_dword v94, v93, s[0:3], 0 offen
	ds_read_b32 v95, v92
	s_waitcnt vmcnt(0) lgkmcnt(0)
	v_mul_f32_e32 v94, v94, v95
	s_cbranch_execz .LBB44_100
	s_branch .LBB44_101
.LBB44_99:
                                        ; implicit-def: $vgpr94
.LBB44_100:
	ds_read_b32 v94, v92
.LBB44_101:
	s_and_saveexec_b64 s[12:13], s[6:7]
	s_cbranch_execz .LBB44_105
; %bb.102:
	v_subrev_u32_e32 v95, 34, v0
	s_movk_i32 s49, 0x148
	s_mov_b64 s[6:7], 0
.LBB44_103:                             ; =>This Inner Loop Header: Depth=1
	v_mov_b32_e32 v96, s48
	buffer_load_dword v96, v96, s[0:3], 0 offen
	v_mov_b32_e32 v97, s49
	ds_read_b32 v97, v97
	v_add_u32_e32 v95, -1, v95
	s_add_i32 s49, s49, 4
	s_add_i32 s48, s48, 4
	v_cmp_eq_u32_e32 vcc, 0, v95
	s_or_b64 s[6:7], vcc, s[6:7]
	s_waitcnt vmcnt(0) lgkmcnt(0)
	v_fmac_f32_e32 v94, v96, v97
	s_andn2_b64 exec, exec, s[6:7]
	s_cbranch_execnz .LBB44_103
; %bb.104:
	s_or_b64 exec, exec, s[6:7]
.LBB44_105:
	s_or_b64 exec, exec, s[12:13]
	v_mov_b32_e32 v95, 0
	ds_read_b32 v95, v95 offset:132
	s_waitcnt lgkmcnt(0)
	v_mul_f32_e32 v94, v94, v95
	buffer_store_dword v94, off, s[0:3], 0 offset:132
.LBB44_106:
	s_or_b64 exec, exec, s[8:9]
	buffer_load_dword v94, off, s[0:3], 0 offset:128
	v_cmp_lt_u32_e64 s[6:7], 32, v0
	s_waitcnt vmcnt(0)
	ds_write_b32 v92, v94
	s_waitcnt lgkmcnt(0)
	; wave barrier
	s_and_saveexec_b64 s[8:9], s[6:7]
	s_cbranch_execz .LBB44_116
; %bb.107:
	s_andn2_b64 vcc, exec, s[10:11]
	s_cbranch_vccnz .LBB44_109
; %bb.108:
	buffer_load_dword v94, v93, s[0:3], 0 offen
	ds_read_b32 v95, v92
	s_waitcnt vmcnt(0) lgkmcnt(0)
	v_mul_f32_e32 v94, v94, v95
	s_cbranch_execz .LBB44_110
	s_branch .LBB44_111
.LBB44_109:
                                        ; implicit-def: $vgpr94
.LBB44_110:
	ds_read_b32 v94, v92
.LBB44_111:
	s_and_saveexec_b64 s[12:13], s[4:5]
	s_cbranch_execz .LBB44_115
; %bb.112:
	v_subrev_u32_e32 v95, 33, v0
	s_movk_i32 s48, 0x144
	s_mov_b64 s[4:5], 0
.LBB44_113:                             ; =>This Inner Loop Header: Depth=1
	v_mov_b32_e32 v96, s47
	buffer_load_dword v96, v96, s[0:3], 0 offen
	v_mov_b32_e32 v97, s48
	ds_read_b32 v97, v97
	v_add_u32_e32 v95, -1, v95
	s_add_i32 s48, s48, 4
	s_add_i32 s47, s47, 4
	v_cmp_eq_u32_e32 vcc, 0, v95
	s_or_b64 s[4:5], vcc, s[4:5]
	s_waitcnt vmcnt(0) lgkmcnt(0)
	v_fmac_f32_e32 v94, v96, v97
	s_andn2_b64 exec, exec, s[4:5]
	s_cbranch_execnz .LBB44_113
; %bb.114:
	s_or_b64 exec, exec, s[4:5]
.LBB44_115:
	s_or_b64 exec, exec, s[12:13]
	v_mov_b32_e32 v95, 0
	ds_read_b32 v95, v95 offset:128
	s_waitcnt lgkmcnt(0)
	v_mul_f32_e32 v94, v94, v95
	buffer_store_dword v94, off, s[0:3], 0 offset:128
.LBB44_116:
	;; [unrolled: 54-line block ×18, first 2 shown]
	s_or_b64 exec, exec, s[8:9]
	buffer_load_dword v94, off, s[0:3], 0 offset:60
	v_cmp_lt_u32_e64 s[4:5], 15, v0
	s_waitcnt vmcnt(0)
	ds_write_b32 v92, v94
	s_waitcnt lgkmcnt(0)
	; wave barrier
	s_and_saveexec_b64 s[8:9], s[4:5]
	s_cbranch_execz .LBB44_286
; %bb.277:
	s_andn2_b64 vcc, exec, s[10:11]
	s_cbranch_vccnz .LBB44_279
; %bb.278:
	buffer_load_dword v94, v93, s[0:3], 0 offen
	ds_read_b32 v95, v92
	s_waitcnt vmcnt(0) lgkmcnt(0)
	v_mul_f32_e32 v94, v94, v95
	s_cbranch_execz .LBB44_280
	s_branch .LBB44_281
.LBB44_279:
                                        ; implicit-def: $vgpr94
.LBB44_280:
	ds_read_b32 v94, v92
.LBB44_281:
	s_and_saveexec_b64 s[12:13], s[6:7]
	s_cbranch_execz .LBB44_285
; %bb.282:
	v_add_u32_e32 v95, -16, v0
	s_movk_i32 s30, 0x100
	s_mov_b64 s[6:7], 0
.LBB44_283:                             ; =>This Inner Loop Header: Depth=1
	v_mov_b32_e32 v96, s29
	buffer_load_dword v96, v96, s[0:3], 0 offen
	v_mov_b32_e32 v97, s30
	ds_read_b32 v97, v97
	v_add_u32_e32 v95, -1, v95
	s_add_i32 s30, s30, 4
	s_add_i32 s29, s29, 4
	v_cmp_eq_u32_e32 vcc, 0, v95
	s_or_b64 s[6:7], vcc, s[6:7]
	s_waitcnt vmcnt(0) lgkmcnt(0)
	v_fmac_f32_e32 v94, v96, v97
	s_andn2_b64 exec, exec, s[6:7]
	s_cbranch_execnz .LBB44_283
; %bb.284:
	s_or_b64 exec, exec, s[6:7]
.LBB44_285:
	s_or_b64 exec, exec, s[12:13]
	v_mov_b32_e32 v95, 0
	ds_read_b32 v95, v95 offset:60
	s_waitcnt lgkmcnt(0)
	v_mul_f32_e32 v94, v94, v95
	buffer_store_dword v94, off, s[0:3], 0 offset:60
.LBB44_286:
	s_or_b64 exec, exec, s[8:9]
	buffer_load_dword v94, off, s[0:3], 0 offset:56
	v_cmp_lt_u32_e64 s[6:7], 14, v0
	s_waitcnt vmcnt(0)
	ds_write_b32 v92, v94
	s_waitcnt lgkmcnt(0)
	; wave barrier
	s_and_saveexec_b64 s[8:9], s[6:7]
	s_cbranch_execz .LBB44_296
; %bb.287:
	s_andn2_b64 vcc, exec, s[10:11]
	s_cbranch_vccnz .LBB44_289
; %bb.288:
	buffer_load_dword v94, v93, s[0:3], 0 offen
	ds_read_b32 v95, v92
	s_waitcnt vmcnt(0) lgkmcnt(0)
	v_mul_f32_e32 v94, v94, v95
	s_cbranch_execz .LBB44_290
	s_branch .LBB44_291
.LBB44_289:
                                        ; implicit-def: $vgpr94
.LBB44_290:
	ds_read_b32 v94, v92
.LBB44_291:
	s_and_saveexec_b64 s[12:13], s[4:5]
	s_cbranch_execz .LBB44_295
; %bb.292:
	v_add_u32_e32 v95, -15, v0
	s_movk_i32 s29, 0xfc
	s_mov_b64 s[4:5], 0
.LBB44_293:                             ; =>This Inner Loop Header: Depth=1
	v_mov_b32_e32 v96, s28
	buffer_load_dword v96, v96, s[0:3], 0 offen
	v_mov_b32_e32 v97, s29
	ds_read_b32 v97, v97
	v_add_u32_e32 v95, -1, v95
	s_add_i32 s29, s29, 4
	s_add_i32 s28, s28, 4
	v_cmp_eq_u32_e32 vcc, 0, v95
	s_or_b64 s[4:5], vcc, s[4:5]
	s_waitcnt vmcnt(0) lgkmcnt(0)
	v_fmac_f32_e32 v94, v96, v97
	s_andn2_b64 exec, exec, s[4:5]
	s_cbranch_execnz .LBB44_293
; %bb.294:
	s_or_b64 exec, exec, s[4:5]
.LBB44_295:
	s_or_b64 exec, exec, s[12:13]
	v_mov_b32_e32 v95, 0
	ds_read_b32 v95, v95 offset:56
	s_waitcnt lgkmcnt(0)
	v_mul_f32_e32 v94, v94, v95
	buffer_store_dword v94, off, s[0:3], 0 offset:56
.LBB44_296:
	;; [unrolled: 54-line block ×15, first 2 shown]
	s_or_b64 exec, exec, s[8:9]
	buffer_load_dword v94, off, s[0:3], 0
	v_cmp_ne_u32_e32 vcc, 0, v0
	s_waitcnt vmcnt(0)
	ds_write_b32 v92, v94
	s_waitcnt lgkmcnt(0)
	; wave barrier
	s_and_saveexec_b64 s[6:7], vcc
	s_cbranch_execz .LBB44_436
; %bb.427:
	s_andn2_b64 vcc, exec, s[10:11]
	s_cbranch_vccnz .LBB44_429
; %bb.428:
	buffer_load_dword v94, v93, s[0:3], 0 offen
	ds_read_b32 v95, v92
	s_waitcnt vmcnt(0) lgkmcnt(0)
	v_mul_f32_e32 v94, v94, v95
	s_cbranch_execz .LBB44_430
	s_branch .LBB44_431
.LBB44_429:
                                        ; implicit-def: $vgpr94
.LBB44_430:
	ds_read_b32 v94, v92
.LBB44_431:
	s_and_saveexec_b64 s[8:9], s[4:5]
	s_cbranch_execz .LBB44_435
; %bb.432:
	v_add_u32_e32 v95, -1, v0
	s_movk_i32 s12, 0xc4
	s_mov_b64 s[4:5], 0
.LBB44_433:                             ; =>This Inner Loop Header: Depth=1
	v_mov_b32_e32 v96, s14
	buffer_load_dword v96, v96, s[0:3], 0 offen
	v_mov_b32_e32 v97, s12
	ds_read_b32 v97, v97
	v_add_u32_e32 v95, -1, v95
	s_add_i32 s12, s12, 4
	s_add_i32 s14, s14, 4
	v_cmp_eq_u32_e32 vcc, 0, v95
	s_or_b64 s[4:5], vcc, s[4:5]
	s_waitcnt vmcnt(0) lgkmcnt(0)
	v_fmac_f32_e32 v94, v96, v97
	s_andn2_b64 exec, exec, s[4:5]
	s_cbranch_execnz .LBB44_433
; %bb.434:
	s_or_b64 exec, exec, s[4:5]
.LBB44_435:
	s_or_b64 exec, exec, s[8:9]
	v_mov_b32_e32 v95, 0
	ds_read_b32 v95, v95
	s_waitcnt lgkmcnt(0)
	v_mul_f32_e32 v94, v94, v95
	buffer_store_dword v94, off, s[0:3], 0
.LBB44_436:
	s_or_b64 exec, exec, s[6:7]
	s_mov_b64 s[4:5], 0
.LBB44_437:
	s_and_b64 vcc, exec, s[4:5]
	s_cbranch_vccz .LBB44_869
; %bb.438:
	buffer_load_dword v94, off, s[0:3], 0 offset:4
	v_cmp_eq_u32_e64 s[6:7], 0, v0
	s_waitcnt vmcnt(0)
	ds_write_b32 v92, v94
	s_waitcnt lgkmcnt(0)
	; wave barrier
	s_and_saveexec_b64 s[4:5], s[6:7]
	s_cbranch_execz .LBB44_444
; %bb.439:
	s_and_b64 vcc, exec, s[10:11]
	s_cbranch_vccz .LBB44_441
; %bb.440:
	buffer_load_dword v94, v93, s[0:3], 0 offen
	ds_read_b32 v95, v92
	s_waitcnt vmcnt(0) lgkmcnt(0)
	v_mul_f32_e32 v94, v94, v95
	s_cbranch_execz .LBB44_442
	s_branch .LBB44_443
.LBB44_441:
                                        ; implicit-def: $vgpr94
.LBB44_442:
	ds_read_b32 v94, v92
.LBB44_443:
	v_mov_b32_e32 v95, 0
	ds_read_b32 v95, v95 offset:4
	s_waitcnt lgkmcnt(0)
	v_mul_f32_e32 v94, v94, v95
	buffer_store_dword v94, off, s[0:3], 0 offset:4
.LBB44_444:
	s_or_b64 exec, exec, s[4:5]
	buffer_load_dword v94, off, s[0:3], 0 offset:8
	v_cndmask_b32_e64 v95, 0, 1, s[10:11]
	v_cmp_gt_u32_e32 vcc, 2, v0
	v_cmp_ne_u32_e64 s[4:5], 1, v95
	s_waitcnt vmcnt(0)
	ds_write_b32 v92, v94
	s_waitcnt lgkmcnt(0)
	; wave barrier
	s_and_saveexec_b64 s[8:9], vcc
	s_cbranch_execz .LBB44_450
; %bb.445:
	s_and_b64 vcc, exec, s[4:5]
	s_cbranch_vccnz .LBB44_447
; %bb.446:
	buffer_load_dword v94, v93, s[0:3], 0 offen
	ds_read_b32 v95, v92
	s_waitcnt vmcnt(0) lgkmcnt(0)
	v_mul_f32_e32 v94, v94, v95
	s_cbranch_execz .LBB44_448
	s_branch .LBB44_449
.LBB44_447:
                                        ; implicit-def: $vgpr94
.LBB44_448:
	ds_read_b32 v94, v92
.LBB44_449:
	buffer_load_dword v97, off, s[0:3], 0 offset:4
	v_mov_b32_e32 v95, 0
	ds_read2_b32 v[95:96], v95 offset0:2 offset1:49
	s_waitcnt vmcnt(0) lgkmcnt(0)
	v_fma_f32 v96, v97, v96, v94
	v_cndmask_b32_e64 v94, v94, v96, s[6:7]
	v_mul_f32_e32 v94, v94, v95
	buffer_store_dword v94, off, s[0:3], 0 offset:8
.LBB44_450:
	s_or_b64 exec, exec, s[8:9]
	buffer_load_dword v94, off, s[0:3], 0 offset:12
	v_cmp_gt_u32_e32 vcc, 3, v0
	s_waitcnt vmcnt(0)
	ds_write_b32 v92, v94
	s_waitcnt lgkmcnt(0)
	; wave barrier
	s_and_saveexec_b64 s[8:9], vcc
	s_cbranch_execz .LBB44_458
; %bb.451:
	s_and_b64 vcc, exec, s[4:5]
	s_cbranch_vccnz .LBB44_453
; %bb.452:
	buffer_load_dword v94, v93, s[0:3], 0 offen
	ds_read_b32 v95, v92
	s_waitcnt vmcnt(0) lgkmcnt(0)
	v_mul_f32_e32 v94, v94, v95
	s_cbranch_execz .LBB44_454
	s_branch .LBB44_455
.LBB44_453:
                                        ; implicit-def: $vgpr94
.LBB44_454:
	ds_read_b32 v94, v92
.LBB44_455:
	v_cmp_ne_u32_e32 vcc, 2, v0
	s_and_saveexec_b64 s[10:11], vcc
	s_cbranch_execz .LBB44_457
; %bb.456:
	buffer_load_dword v95, v93, s[0:3], 0 offen offset:4
	buffer_load_dword v96, off, s[0:3], 0 offset:8
	v_mov_b32_e32 v97, 0
	ds_read_b32 v98, v92 offset:4
	ds_read_b32 v97, v97 offset:200
	s_waitcnt vmcnt(1) lgkmcnt(1)
	v_fmac_f32_e32 v94, v95, v98
	s_waitcnt vmcnt(0) lgkmcnt(0)
	v_fma_f32 v95, v96, v97, v94
	v_cndmask_b32_e64 v94, v94, v95, s[6:7]
.LBB44_457:
	s_or_b64 exec, exec, s[10:11]
	v_mov_b32_e32 v95, 0
	ds_read_b32 v95, v95 offset:12
	s_waitcnt lgkmcnt(0)
	v_mul_f32_e32 v94, v94, v95
	buffer_store_dword v94, off, s[0:3], 0 offset:12
.LBB44_458:
	s_or_b64 exec, exec, s[8:9]
	buffer_load_dword v94, off, s[0:3], 0 offset:16
	v_cmp_gt_u32_e32 vcc, 4, v0
	s_waitcnt vmcnt(0)
	ds_write_b32 v92, v94
	s_waitcnt lgkmcnt(0)
	; wave barrier
	s_and_saveexec_b64 s[6:7], vcc
	s_cbranch_execz .LBB44_468
; %bb.459:
	s_and_b64 vcc, exec, s[4:5]
	s_cbranch_vccnz .LBB44_461
; %bb.460:
	buffer_load_dword v94, v93, s[0:3], 0 offen
	ds_read_b32 v95, v92
	s_waitcnt vmcnt(0) lgkmcnt(0)
	v_mul_f32_e32 v94, v94, v95
	s_cbranch_execz .LBB44_462
	s_branch .LBB44_463
.LBB44_461:
                                        ; implicit-def: $vgpr94
.LBB44_462:
	ds_read_b32 v94, v92
.LBB44_463:
	v_cmp_ne_u32_e32 vcc, 3, v0
	s_and_saveexec_b64 s[8:9], vcc
	s_cbranch_execz .LBB44_467
; %bb.464:
	s_mov_b32 s10, 0
	v_add_u32_e32 v95, 0xc4, v91
	v_add3_u32 v96, v91, s10, 4
	s_mov_b64 s[10:11], 0
	v_mov_b32_e32 v97, v0
.LBB44_465:                             ; =>This Inner Loop Header: Depth=1
	buffer_load_dword v98, v96, s[0:3], 0 offen
	ds_read_b32 v99, v95
	v_add_u32_e32 v97, 1, v97
	v_cmp_lt_u32_e32 vcc, 2, v97
	v_add_u32_e32 v95, 4, v95
	v_add_u32_e32 v96, 4, v96
	s_or_b64 s[10:11], vcc, s[10:11]
	s_waitcnt vmcnt(0) lgkmcnt(0)
	v_fmac_f32_e32 v94, v98, v99
	s_andn2_b64 exec, exec, s[10:11]
	s_cbranch_execnz .LBB44_465
; %bb.466:
	s_or_b64 exec, exec, s[10:11]
.LBB44_467:
	s_or_b64 exec, exec, s[8:9]
	v_mov_b32_e32 v95, 0
	ds_read_b32 v95, v95 offset:16
	s_waitcnt lgkmcnt(0)
	v_mul_f32_e32 v94, v94, v95
	buffer_store_dword v94, off, s[0:3], 0 offset:16
.LBB44_468:
	s_or_b64 exec, exec, s[6:7]
	buffer_load_dword v94, off, s[0:3], 0 offset:20
	v_cmp_gt_u32_e32 vcc, 5, v0
	s_waitcnt vmcnt(0)
	ds_write_b32 v92, v94
	s_waitcnt lgkmcnt(0)
	; wave barrier
	s_and_saveexec_b64 s[6:7], vcc
	s_cbranch_execz .LBB44_478
; %bb.469:
	s_and_b64 vcc, exec, s[4:5]
	s_cbranch_vccnz .LBB44_471
; %bb.470:
	buffer_load_dword v94, v93, s[0:3], 0 offen
	ds_read_b32 v95, v92
	s_waitcnt vmcnt(0) lgkmcnt(0)
	v_mul_f32_e32 v94, v94, v95
	s_cbranch_execz .LBB44_472
	s_branch .LBB44_473
.LBB44_471:
                                        ; implicit-def: $vgpr94
.LBB44_472:
	ds_read_b32 v94, v92
.LBB44_473:
	v_cmp_ne_u32_e32 vcc, 4, v0
	s_and_saveexec_b64 s[8:9], vcc
	s_cbranch_execz .LBB44_477
; %bb.474:
	s_mov_b32 s10, 0
	v_add_u32_e32 v95, 0xc4, v91
	v_add3_u32 v96, v91, s10, 4
	s_mov_b64 s[10:11], 0
	v_mov_b32_e32 v97, v0
.LBB44_475:                             ; =>This Inner Loop Header: Depth=1
	buffer_load_dword v98, v96, s[0:3], 0 offen
	ds_read_b32 v99, v95
	v_add_u32_e32 v97, 1, v97
	v_cmp_lt_u32_e32 vcc, 3, v97
	v_add_u32_e32 v95, 4, v95
	v_add_u32_e32 v96, 4, v96
	s_or_b64 s[10:11], vcc, s[10:11]
	s_waitcnt vmcnt(0) lgkmcnt(0)
	v_fmac_f32_e32 v94, v98, v99
	s_andn2_b64 exec, exec, s[10:11]
	s_cbranch_execnz .LBB44_475
; %bb.476:
	s_or_b64 exec, exec, s[10:11]
.LBB44_477:
	s_or_b64 exec, exec, s[8:9]
	v_mov_b32_e32 v95, 0
	ds_read_b32 v95, v95 offset:20
	s_waitcnt lgkmcnt(0)
	v_mul_f32_e32 v94, v94, v95
	buffer_store_dword v94, off, s[0:3], 0 offset:20
.LBB44_478:
	;; [unrolled: 55-line block ×39, first 2 shown]
	s_or_b64 exec, exec, s[6:7]
	buffer_load_dword v94, off, s[0:3], 0 offset:172
	v_cmp_gt_u32_e64 s[6:7], 43, v0
	s_waitcnt vmcnt(0)
	ds_write_b32 v92, v94
	s_waitcnt lgkmcnt(0)
	; wave barrier
	s_and_saveexec_b64 s[8:9], s[6:7]
	s_cbranch_execz .LBB44_858
; %bb.849:
	s_and_b64 vcc, exec, s[4:5]
	s_cbranch_vccnz .LBB44_851
; %bb.850:
	buffer_load_dword v94, v93, s[0:3], 0 offen
	ds_read_b32 v95, v92
	s_waitcnt vmcnt(0) lgkmcnt(0)
	v_mul_f32_e32 v94, v94, v95
	s_cbranch_execz .LBB44_852
	s_branch .LBB44_853
.LBB44_851:
                                        ; implicit-def: $vgpr94
.LBB44_852:
	ds_read_b32 v94, v92
.LBB44_853:
	v_cmp_ne_u32_e32 vcc, 42, v0
	s_and_saveexec_b64 s[10:11], vcc
	s_cbranch_execz .LBB44_857
; %bb.854:
	s_mov_b32 s12, 0
	v_add_u32_e32 v95, 0xc4, v91
	v_add3_u32 v96, v91, s12, 4
	s_mov_b64 s[12:13], 0
	v_mov_b32_e32 v97, v0
.LBB44_855:                             ; =>This Inner Loop Header: Depth=1
	buffer_load_dword v98, v96, s[0:3], 0 offen
	ds_read_b32 v99, v95
	v_add_u32_e32 v97, 1, v97
	v_cmp_lt_u32_e32 vcc, 41, v97
	v_add_u32_e32 v95, 4, v95
	v_add_u32_e32 v96, 4, v96
	s_or_b64 s[12:13], vcc, s[12:13]
	s_waitcnt vmcnt(0) lgkmcnt(0)
	v_fmac_f32_e32 v94, v98, v99
	s_andn2_b64 exec, exec, s[12:13]
	s_cbranch_execnz .LBB44_855
; %bb.856:
	s_or_b64 exec, exec, s[12:13]
.LBB44_857:
	s_or_b64 exec, exec, s[10:11]
	v_mov_b32_e32 v95, 0
	ds_read_b32 v95, v95 offset:172
	s_waitcnt lgkmcnt(0)
	v_mul_f32_e32 v94, v94, v95
	buffer_store_dword v94, off, s[0:3], 0 offset:172
.LBB44_858:
	s_or_b64 exec, exec, s[8:9]
	buffer_load_dword v94, off, s[0:3], 0 offset:176
	v_cmp_ne_u32_e32 vcc, 44, v0
	s_waitcnt vmcnt(0)
	ds_write_b32 v92, v94
	s_waitcnt lgkmcnt(0)
	; wave barrier
	s_and_saveexec_b64 s[8:9], vcc
	s_cbranch_execz .LBB44_868
; %bb.859:
	s_and_b64 vcc, exec, s[4:5]
	s_cbranch_vccnz .LBB44_861
; %bb.860:
	buffer_load_dword v93, v93, s[0:3], 0 offen
	ds_read_b32 v94, v92
	s_waitcnt vmcnt(0) lgkmcnt(0)
	v_mul_f32_e32 v93, v93, v94
	s_cbranch_execz .LBB44_862
	s_branch .LBB44_863
.LBB44_861:
                                        ; implicit-def: $vgpr93
.LBB44_862:
	ds_read_b32 v93, v92
.LBB44_863:
	s_and_saveexec_b64 s[4:5], s[6:7]
	s_cbranch_execz .LBB44_867
; %bb.864:
	s_mov_b32 s6, 0
	v_add_u32_e32 v92, 0xc4, v91
	v_add3_u32 v91, v91, s6, 4
	s_mov_b64 s[6:7], 0
.LBB44_865:                             ; =>This Inner Loop Header: Depth=1
	buffer_load_dword v94, v91, s[0:3], 0 offen
	ds_read_b32 v95, v92
	v_add_u32_e32 v0, 1, v0
	v_cmp_lt_u32_e32 vcc, 42, v0
	v_add_u32_e32 v92, 4, v92
	v_add_u32_e32 v91, 4, v91
	s_or_b64 s[6:7], vcc, s[6:7]
	s_waitcnt vmcnt(0) lgkmcnt(0)
	v_fmac_f32_e32 v93, v94, v95
	s_andn2_b64 exec, exec, s[6:7]
	s_cbranch_execnz .LBB44_865
; %bb.866:
	s_or_b64 exec, exec, s[6:7]
.LBB44_867:
	s_or_b64 exec, exec, s[4:5]
	v_mov_b32_e32 v0, 0
	ds_read_b32 v0, v0 offset:176
	s_waitcnt lgkmcnt(0)
	v_mul_f32_e32 v0, v93, v0
	buffer_store_dword v0, off, s[0:3], 0 offset:176
.LBB44_868:
	s_or_b64 exec, exec, s[8:9]
.LBB44_869:
	buffer_load_dword v0, off, s[0:3], 0
	buffer_load_dword v91, off, s[0:3], 0 offset:4
	buffer_load_dword v92, off, s[0:3], 0 offset:8
	buffer_load_dword v93, off, s[0:3], 0 offset:12
	buffer_load_dword v94, off, s[0:3], 0 offset:16
	buffer_load_dword v95, off, s[0:3], 0 offset:20
	buffer_load_dword v96, off, s[0:3], 0 offset:24
	buffer_load_dword v97, off, s[0:3], 0 offset:28
	buffer_load_dword v98, off, s[0:3], 0 offset:32
	buffer_load_dword v99, off, s[0:3], 0 offset:36
	buffer_load_dword v100, off, s[0:3], 0 offset:40
	buffer_load_dword v101, off, s[0:3], 0 offset:44
	buffer_load_dword v102, off, s[0:3], 0 offset:48
	buffer_load_dword v103, off, s[0:3], 0 offset:52
	buffer_load_dword v104, off, s[0:3], 0 offset:56
	buffer_load_dword v105, off, s[0:3], 0 offset:60
	buffer_load_dword v106, off, s[0:3], 0 offset:64
	buffer_load_dword v107, off, s[0:3], 0 offset:68
	buffer_load_dword v108, off, s[0:3], 0 offset:72
	buffer_load_dword v109, off, s[0:3], 0 offset:76
	buffer_load_dword v110, off, s[0:3], 0 offset:80
	buffer_load_dword v111, off, s[0:3], 0 offset:84
	buffer_load_dword v112, off, s[0:3], 0 offset:88
	buffer_load_dword v113, off, s[0:3], 0 offset:92
	buffer_load_dword v114, off, s[0:3], 0 offset:96
	buffer_load_dword v115, off, s[0:3], 0 offset:100
	buffer_load_dword v116, off, s[0:3], 0 offset:104
	buffer_load_dword v117, off, s[0:3], 0 offset:108
	buffer_load_dword v118, off, s[0:3], 0 offset:112
	buffer_load_dword v119, off, s[0:3], 0 offset:116
	buffer_load_dword v120, off, s[0:3], 0 offset:120
	buffer_load_dword v121, off, s[0:3], 0 offset:124
	s_waitcnt vmcnt(31)
	global_store_dword v[75:76], v0, off
	s_waitcnt vmcnt(31)
	global_store_dword v[81:82], v91, off
	buffer_load_dword v0, off, s[0:3], 0 offset:128
	buffer_load_dword v75, off, s[0:3], 0 offset:132
	;; [unrolled: 1-line block ×3, first 2 shown]
	s_nop 0
	buffer_load_dword v81, off, s[0:3], 0 offset:140
	buffer_load_dword v82, off, s[0:3], 0 offset:144
	;; [unrolled: 1-line block ×5, first 2 shown]
	s_waitcnt vmcnt(39)
	global_store_dword v[1:2], v92, off
	s_waitcnt vmcnt(39)
	global_store_dword v[3:4], v93, off
	buffer_load_dword v1, off, s[0:3], 0 offset:160
	buffer_load_dword v2, off, s[0:3], 0 offset:164
	s_nop 0
	buffer_load_dword v3, off, s[0:3], 0 offset:168
	buffer_load_dword v4, off, s[0:3], 0 offset:172
	;; [unrolled: 1-line block ×3, first 2 shown]
	s_waitcnt vmcnt(44)
	global_store_dword v[5:6], v94, off
	s_waitcnt vmcnt(44)
	global_store_dword v[7:8], v95, off
	s_waitcnt vmcnt(44)
	global_store_dword v[9:10], v96, off
	s_waitcnt vmcnt(44)
	global_store_dword v[11:12], v97, off
	s_waitcnt vmcnt(44)
	global_store_dword v[13:14], v98, off
	s_waitcnt vmcnt(44)
	global_store_dword v[15:16], v99, off
	s_waitcnt vmcnt(44)
	global_store_dword v[17:18], v100, off
	s_waitcnt vmcnt(44)
	global_store_dword v[19:20], v101, off
	s_waitcnt vmcnt(44)
	global_store_dword v[21:22], v102, off
	s_waitcnt vmcnt(44)
	global_store_dword v[23:24], v103, off
	s_waitcnt vmcnt(44)
	global_store_dword v[25:26], v104, off
	s_waitcnt vmcnt(44)
	global_store_dword v[27:28], v105, off
	s_waitcnt vmcnt(44)
	global_store_dword v[29:30], v106, off
	s_waitcnt vmcnt(44)
	global_store_dword v[31:32], v107, off
	s_waitcnt vmcnt(44)
	global_store_dword v[33:34], v108, off
	s_waitcnt vmcnt(44)
	global_store_dword v[35:36], v109, off
	s_waitcnt vmcnt(44)
	global_store_dword v[37:38], v110, off
	s_waitcnt vmcnt(44)
	global_store_dword v[39:40], v111, off
	s_waitcnt vmcnt(44)
	global_store_dword v[41:42], v112, off
	s_waitcnt vmcnt(44)
	global_store_dword v[43:44], v113, off
	s_waitcnt vmcnt(44)
	global_store_dword v[45:46], v114, off
	s_waitcnt vmcnt(44)
	global_store_dword v[47:48], v115, off
	s_waitcnt vmcnt(44)
	global_store_dword v[49:50], v116, off
	s_waitcnt vmcnt(44)
	global_store_dword v[51:52], v117, off
	s_waitcnt vmcnt(44)
	global_store_dword v[53:54], v118, off
	s_waitcnt vmcnt(44)
	global_store_dword v[55:56], v119, off
	s_waitcnt vmcnt(44)
	global_store_dword v[57:58], v120, off
	s_waitcnt vmcnt(44)
	global_store_dword v[59:60], v121, off
	s_waitcnt vmcnt(42)
	global_store_dword v[61:62], v0, off
	s_waitcnt vmcnt(42)
	global_store_dword v[63:64], v75, off
	s_waitcnt vmcnt(42)
	global_store_dword v[65:66], v76, off
	s_waitcnt vmcnt(42)
	global_store_dword v[67:68], v81, off
	s_waitcnt vmcnt(42)
	global_store_dword v[69:70], v82, off
	s_waitcnt vmcnt(42)
	global_store_dword v[71:72], v91, off
	s_waitcnt vmcnt(42)
	global_store_dword v[73:74], v122, off
	s_waitcnt vmcnt(42)
	global_store_dword v[77:78], v123, off
	s_waitcnt vmcnt(40)
	global_store_dword v[79:80], v1, off
	s_waitcnt vmcnt(40)
	global_store_dword v[83:84], v2, off
	s_waitcnt vmcnt(40)
	global_store_dword v[85:86], v3, off
	s_waitcnt vmcnt(40)
	global_store_dword v[87:88], v4, off
	s_waitcnt vmcnt(40)
	global_store_dword v[89:90], v92, off
.LBB44_870:
	s_endpgm
	.section	.rodata,"a",@progbits
	.p2align	6, 0x0
	.amdhsa_kernel _ZN9rocsolver6v33100L18trti2_kernel_smallILi45EfPfEEv13rocblas_fill_17rocblas_diagonal_T1_iil
		.amdhsa_group_segment_fixed_size 372
		.amdhsa_private_segment_fixed_size 192
		.amdhsa_kernarg_size 32
		.amdhsa_user_sgpr_count 6
		.amdhsa_user_sgpr_private_segment_buffer 1
		.amdhsa_user_sgpr_dispatch_ptr 0
		.amdhsa_user_sgpr_queue_ptr 0
		.amdhsa_user_sgpr_kernarg_segment_ptr 1
		.amdhsa_user_sgpr_dispatch_id 0
		.amdhsa_user_sgpr_flat_scratch_init 0
		.amdhsa_user_sgpr_private_segment_size 0
		.amdhsa_uses_dynamic_stack 0
		.amdhsa_system_sgpr_private_segment_wavefront_offset 1
		.amdhsa_system_sgpr_workgroup_id_x 1
		.amdhsa_system_sgpr_workgroup_id_y 0
		.amdhsa_system_sgpr_workgroup_id_z 0
		.amdhsa_system_sgpr_workgroup_info 0
		.amdhsa_system_vgpr_workitem_id 0
		.amdhsa_next_free_vgpr 124
		.amdhsa_next_free_sgpr 58
		.amdhsa_reserve_vcc 1
		.amdhsa_reserve_flat_scratch 0
		.amdhsa_float_round_mode_32 0
		.amdhsa_float_round_mode_16_64 0
		.amdhsa_float_denorm_mode_32 3
		.amdhsa_float_denorm_mode_16_64 3
		.amdhsa_dx10_clamp 1
		.amdhsa_ieee_mode 1
		.amdhsa_fp16_overflow 0
		.amdhsa_exception_fp_ieee_invalid_op 0
		.amdhsa_exception_fp_denorm_src 0
		.amdhsa_exception_fp_ieee_div_zero 0
		.amdhsa_exception_fp_ieee_overflow 0
		.amdhsa_exception_fp_ieee_underflow 0
		.amdhsa_exception_fp_ieee_inexact 0
		.amdhsa_exception_int_div_zero 0
	.end_amdhsa_kernel
	.section	.text._ZN9rocsolver6v33100L18trti2_kernel_smallILi45EfPfEEv13rocblas_fill_17rocblas_diagonal_T1_iil,"axG",@progbits,_ZN9rocsolver6v33100L18trti2_kernel_smallILi45EfPfEEv13rocblas_fill_17rocblas_diagonal_T1_iil,comdat
.Lfunc_end44:
	.size	_ZN9rocsolver6v33100L18trti2_kernel_smallILi45EfPfEEv13rocblas_fill_17rocblas_diagonal_T1_iil, .Lfunc_end44-_ZN9rocsolver6v33100L18trti2_kernel_smallILi45EfPfEEv13rocblas_fill_17rocblas_diagonal_T1_iil
                                        ; -- End function
	.set _ZN9rocsolver6v33100L18trti2_kernel_smallILi45EfPfEEv13rocblas_fill_17rocblas_diagonal_T1_iil.num_vgpr, 124
	.set _ZN9rocsolver6v33100L18trti2_kernel_smallILi45EfPfEEv13rocblas_fill_17rocblas_diagonal_T1_iil.num_agpr, 0
	.set _ZN9rocsolver6v33100L18trti2_kernel_smallILi45EfPfEEv13rocblas_fill_17rocblas_diagonal_T1_iil.numbered_sgpr, 58
	.set _ZN9rocsolver6v33100L18trti2_kernel_smallILi45EfPfEEv13rocblas_fill_17rocblas_diagonal_T1_iil.num_named_barrier, 0
	.set _ZN9rocsolver6v33100L18trti2_kernel_smallILi45EfPfEEv13rocblas_fill_17rocblas_diagonal_T1_iil.private_seg_size, 192
	.set _ZN9rocsolver6v33100L18trti2_kernel_smallILi45EfPfEEv13rocblas_fill_17rocblas_diagonal_T1_iil.uses_vcc, 1
	.set _ZN9rocsolver6v33100L18trti2_kernel_smallILi45EfPfEEv13rocblas_fill_17rocblas_diagonal_T1_iil.uses_flat_scratch, 0
	.set _ZN9rocsolver6v33100L18trti2_kernel_smallILi45EfPfEEv13rocblas_fill_17rocblas_diagonal_T1_iil.has_dyn_sized_stack, 0
	.set _ZN9rocsolver6v33100L18trti2_kernel_smallILi45EfPfEEv13rocblas_fill_17rocblas_diagonal_T1_iil.has_recursion, 0
	.set _ZN9rocsolver6v33100L18trti2_kernel_smallILi45EfPfEEv13rocblas_fill_17rocblas_diagonal_T1_iil.has_indirect_call, 0
	.section	.AMDGPU.csdata,"",@progbits
; Kernel info:
; codeLenInByte = 21816
; TotalNumSgprs: 62
; NumVgprs: 124
; ScratchSize: 192
; MemoryBound: 0
; FloatMode: 240
; IeeeMode: 1
; LDSByteSize: 372 bytes/workgroup (compile time only)
; SGPRBlocks: 7
; VGPRBlocks: 30
; NumSGPRsForWavesPerEU: 62
; NumVGPRsForWavesPerEU: 124
; Occupancy: 2
; WaveLimiterHint : 0
; COMPUTE_PGM_RSRC2:SCRATCH_EN: 1
; COMPUTE_PGM_RSRC2:USER_SGPR: 6
; COMPUTE_PGM_RSRC2:TRAP_HANDLER: 0
; COMPUTE_PGM_RSRC2:TGID_X_EN: 1
; COMPUTE_PGM_RSRC2:TGID_Y_EN: 0
; COMPUTE_PGM_RSRC2:TGID_Z_EN: 0
; COMPUTE_PGM_RSRC2:TIDIG_COMP_CNT: 0
	.section	.text._ZN9rocsolver6v33100L18trti2_kernel_smallILi46EfPfEEv13rocblas_fill_17rocblas_diagonal_T1_iil,"axG",@progbits,_ZN9rocsolver6v33100L18trti2_kernel_smallILi46EfPfEEv13rocblas_fill_17rocblas_diagonal_T1_iil,comdat
	.globl	_ZN9rocsolver6v33100L18trti2_kernel_smallILi46EfPfEEv13rocblas_fill_17rocblas_diagonal_T1_iil ; -- Begin function _ZN9rocsolver6v33100L18trti2_kernel_smallILi46EfPfEEv13rocblas_fill_17rocblas_diagonal_T1_iil
	.p2align	8
	.type	_ZN9rocsolver6v33100L18trti2_kernel_smallILi46EfPfEEv13rocblas_fill_17rocblas_diagonal_T1_iil,@function
_ZN9rocsolver6v33100L18trti2_kernel_smallILi46EfPfEEv13rocblas_fill_17rocblas_diagonal_T1_iil: ; @_ZN9rocsolver6v33100L18trti2_kernel_smallILi46EfPfEEv13rocblas_fill_17rocblas_diagonal_T1_iil
; %bb.0:
	s_add_u32 s0, s0, s7
	s_addc_u32 s1, s1, 0
	v_cmp_gt_u32_e32 vcc, 46, v0
	s_and_saveexec_b64 s[8:9], vcc
	s_cbranch_execz .LBB45_890
; %bb.1:
	s_load_dwordx8 s[8:15], s[4:5], 0x0
	s_ashr_i32 s7, s6, 31
	v_lshlrev_b32_e32 v93, 2, v0
	s_waitcnt lgkmcnt(0)
	s_ashr_i32 s5, s12, 31
	s_mov_b32 s4, s12
	s_mul_hi_u32 s12, s14, s6
	s_mul_i32 s7, s14, s7
	s_add_i32 s7, s12, s7
	s_mul_i32 s12, s15, s6
	s_add_i32 s7, s7, s12
	s_mul_i32 s6, s14, s6
	s_lshl_b64 s[6:7], s[6:7], 2
	s_add_u32 s6, s10, s6
	s_addc_u32 s7, s11, s7
	s_lshl_b64 s[4:5], s[4:5], 2
	s_add_u32 s4, s6, s4
	s_addc_u32 s5, s7, s5
	s_add_i32 s6, s13, s13
	v_add_u32_e32 v1, s6, v0
	v_ashrrev_i32_e32 v2, 31, v1
	v_lshlrev_b64 v[3:4], 2, v[1:2]
	v_add_u32_e32 v5, s13, v1
	v_mov_b32_e32 v2, s5
	v_add_co_u32_e32 v3, vcc, s4, v3
	v_ashrrev_i32_e32 v6, 31, v5
	v_addc_co_u32_e32 v4, vcc, v2, v4, vcc
	v_lshlrev_b64 v[1:2], 2, v[5:6]
	v_add_u32_e32 v7, s13, v5
	v_mov_b32_e32 v6, s5
	v_add_co_u32_e32 v1, vcc, s4, v1
	v_ashrrev_i32_e32 v8, 31, v7
	v_addc_co_u32_e32 v2, vcc, v6, v2, vcc
	;; [unrolled: 6-line block ×8, first 2 shown]
	v_lshlrev_b64 v[17:18], 2, v[19:20]
	v_mov_b32_e32 v21, s5
	v_add_co_u32_e32 v17, vcc, s4, v17
	v_addc_co_u32_e32 v18, vcc, v21, v18, vcc
	v_add_u32_e32 v21, s13, v19
	v_ashrrev_i32_e32 v22, 31, v21
	v_lshlrev_b64 v[19:20], 2, v[21:22]
	v_mov_b32_e32 v23, s5
	v_add_co_u32_e32 v19, vcc, s4, v19
	v_addc_co_u32_e32 v20, vcc, v23, v20, vcc
	v_add_u32_e32 v23, s13, v21
	v_ashrrev_i32_e32 v24, 31, v23
	;; [unrolled: 6-line block ×27, first 2 shown]
	v_lshlrev_b64 v[71:72], 2, v[73:74]
	v_mov_b32_e32 v75, s5
	v_add_co_u32_e32 v71, vcc, s4, v71
	v_addc_co_u32_e32 v72, vcc, v75, v72, vcc
	v_add_u32_e32 v75, s13, v73
	v_mov_b32_e32 v73, s5
	v_add_co_u32_e32 v79, vcc, s4, v93
	s_ashr_i32 s7, s13, 31
	s_mov_b32 s6, s13
	v_addc_co_u32_e32 v80, vcc, 0, v73, vcc
	s_lshl_b64 s[6:7], s[6:7], 2
	v_mov_b32_e32 v73, s7
	v_add_co_u32_e32 v85, vcc, s6, v79
	v_addc_co_u32_e32 v86, vcc, v80, v73, vcc
	global_load_dword v94, v93, s[4:5]
	global_load_dword v95, v[85:86], off
	global_load_dword v96, v[3:4], off
	;; [unrolled: 1-line block ×15, first 2 shown]
	v_ashrrev_i32_e32 v76, 31, v75
	v_lshlrev_b64 v[73:74], 2, v[75:76]
	v_mov_b32_e32 v77, s5
	v_add_co_u32_e32 v73, vcc, s4, v73
	v_addc_co_u32_e32 v74, vcc, v77, v74, vcc
	v_add_u32_e32 v77, s13, v75
	v_ashrrev_i32_e32 v78, 31, v77
	v_lshlrev_b64 v[75:76], 2, v[77:78]
	v_mov_b32_e32 v81, s5
	v_add_co_u32_e32 v75, vcc, s4, v75
	v_addc_co_u32_e32 v76, vcc, v81, v76, vcc
	v_add_u32_e32 v81, s13, v77
	;; [unrolled: 6-line block ×6, first 2 shown]
	v_ashrrev_i32_e32 v92, 31, v91
	v_lshlrev_b64 v[89:90], 2, v[91:92]
	v_add_u32_e32 v91, s13, v91
	v_ashrrev_i32_e32 v92, 31, v91
	v_mov_b32_e32 v110, s5
	v_add_co_u32_e32 v89, vcc, s4, v89
	v_lshlrev_b64 v[91:92], 2, v[91:92]
	v_addc_co_u32_e32 v90, vcc, v110, v90, vcc
	v_add_co_u32_e32 v91, vcc, s4, v91
	v_addc_co_u32_e32 v92, vcc, v110, v92, vcc
	global_load_dword v110, v[91:92], off
	s_waitcnt vmcnt(16)
	buffer_store_dword v94, off, s[0:3], 0
	s_waitcnt vmcnt(16)
	buffer_store_dword v95, off, s[0:3], 0 offset:4
	s_waitcnt vmcnt(16)
	buffer_store_dword v96, off, s[0:3], 0 offset:8
	;; [unrolled: 2-line block ×8, first 2 shown]
	global_load_dword v94, v[29:30], off
	s_waitcnt vmcnt(17)
	buffer_store_dword v103, off, s[0:3], 0 offset:36
	s_waitcnt vmcnt(17)
	buffer_store_dword v104, off, s[0:3], 0 offset:40
	;; [unrolled: 2-line block ×7, first 2 shown]
	global_load_dword v95, v[31:32], off
	global_load_dword v96, v[33:34], off
	;; [unrolled: 1-line block ×28, first 2 shown]
	s_cmpk_lg_i32 s9, 0x84
	s_waitcnt vmcnt(35)
	buffer_store_dword v94, off, s[0:3], 0 offset:64
	s_waitcnt vmcnt(28)
	buffer_store_dword v95, off, s[0:3], 0 offset:68
	;; [unrolled: 2-line block ×29, first 2 shown]
	buffer_store_dword v110, off, s[0:3], 0 offset:180
	s_movk_i32 s12, 0x84
	s_cselect_b64 s[10:11], -1, 0
	s_cmpk_eq_i32 s9, 0x84
	v_mov_b32_e32 v94, -1.0
	s_cbranch_scc1 .LBB45_3
; %bb.2:
	v_mov_b32_e32 v94, 0
	v_lshl_add_u32 v94, v0, 2, v94
	buffer_load_dword v95, v94, s[0:3], 0 offen
	s_waitcnt vmcnt(0)
	v_div_scale_f32 v96, s[4:5], v95, v95, 1.0
	v_div_scale_f32 v97, vcc, 1.0, v95, 1.0
	v_rcp_f32_e32 v98, v96
	v_fma_f32 v99, -v96, v98, 1.0
	v_fmac_f32_e32 v98, v99, v98
	v_mul_f32_e32 v99, v97, v98
	v_fma_f32 v100, -v96, v99, v97
	v_fmac_f32_e32 v99, v100, v98
	v_fma_f32 v96, -v96, v99, v97
	v_div_fmas_f32 v96, v96, v98, v99
	v_div_fixup_f32 v95, v96, v95, 1.0
	buffer_store_dword v95, v94, s[0:3], 0 offen
	v_xor_b32_e32 v94, 0x80000000, v95
.LBB45_3:
	ds_write_b32 v93, v94
	s_cmpk_eq_i32 s8, 0x79
	v_add_u32_e32 v94, 0xc0, v93
	v_mov_b32_e32 v95, v93
	s_mov_b64 s[4:5], -1
	s_cbranch_scc1 .LBB45_447
; %bb.4:
	buffer_load_dword v96, off, s[0:3], 0 offset:176
	s_movk_i32 s30, 0x44
	s_movk_i32 s31, 0x48
	;; [unrolled: 1-line block ×26, first 2 shown]
	v_cmp_eq_u32_e64 s[4:5], 45, v0
	s_waitcnt vmcnt(0)
	ds_write_b32 v94, v96
	s_waitcnt lgkmcnt(0)
	; wave barrier
	s_and_saveexec_b64 s[6:7], s[4:5]
	s_cbranch_execz .LBB45_10
; %bb.5:
	s_and_b64 vcc, exec, s[10:11]
	s_cbranch_vccz .LBB45_7
; %bb.6:
	buffer_load_dword v96, v95, s[0:3], 0 offen
	ds_read_b32 v97, v94
	s_waitcnt vmcnt(0) lgkmcnt(0)
	v_mul_f32_e32 v96, v96, v97
	s_cbranch_execz .LBB45_8
	s_branch .LBB45_9
.LBB45_7:
                                        ; implicit-def: $vgpr96
.LBB45_8:
	ds_read_b32 v96, v94
.LBB45_9:
	v_mov_b32_e32 v97, 0
	ds_read_b32 v97, v97 offset:176
	s_waitcnt lgkmcnt(0)
	v_mul_f32_e32 v96, v96, v97
	buffer_store_dword v96, off, s[0:3], 0 offset:176
.LBB45_10:
	s_or_b64 exec, exec, s[6:7]
	buffer_load_dword v96, off, s[0:3], 0 offset:172
	s_or_b32 s14, 0, 4
	s_or_b32 s15, 0, 8
	;; [unrolled: 1-line block ×3, first 2 shown]
	s_mov_b32 s17, 16
	s_mov_b32 s18, 20
	;; [unrolled: 1-line block ×15, first 2 shown]
	v_cmp_lt_u32_e64 s[6:7], 43, v0
	s_waitcnt vmcnt(0)
	ds_write_b32 v94, v96
	s_waitcnt lgkmcnt(0)
	; wave barrier
	s_and_saveexec_b64 s[8:9], s[6:7]
	s_cbranch_execz .LBB45_16
; %bb.11:
	s_andn2_b64 vcc, exec, s[10:11]
	s_cbranch_vccnz .LBB45_13
; %bb.12:
	buffer_load_dword v96, v95, s[0:3], 0 offen
	ds_read_b32 v97, v94
	s_waitcnt vmcnt(0) lgkmcnt(0)
	v_mul_f32_e32 v96, v96, v97
	s_cbranch_execz .LBB45_14
	s_branch .LBB45_15
.LBB45_13:
                                        ; implicit-def: $vgpr96
.LBB45_14:
	ds_read_b32 v96, v94
.LBB45_15:
	buffer_load_dword v99, off, s[0:3], 0 offset:176
	v_mov_b32_e32 v97, 0
	ds_read2_b32 v[97:98], v97 offset0:43 offset1:92
	s_waitcnt vmcnt(0) lgkmcnt(0)
	v_fma_f32 v98, v99, v98, v96
	v_cndmask_b32_e64 v96, v96, v98, s[4:5]
	v_mul_f32_e32 v96, v96, v97
	buffer_store_dword v96, off, s[0:3], 0 offset:172
.LBB45_16:
	s_or_b64 exec, exec, s[8:9]
	buffer_load_dword v96, off, s[0:3], 0 offset:168
	v_cmp_lt_u32_e64 s[4:5], 42, v0
	s_waitcnt vmcnt(0)
	ds_write_b32 v94, v96
	s_waitcnt lgkmcnt(0)
	; wave barrier
	s_and_saveexec_b64 s[8:9], s[4:5]
	s_cbranch_execz .LBB45_26
; %bb.17:
	s_andn2_b64 vcc, exec, s[10:11]
	s_cbranch_vccnz .LBB45_19
; %bb.18:
	buffer_load_dword v96, v95, s[0:3], 0 offen
	ds_read_b32 v97, v94
	s_waitcnt vmcnt(0) lgkmcnt(0)
	v_mul_f32_e32 v96, v96, v97
	s_cbranch_execz .LBB45_20
	s_branch .LBB45_21
.LBB45_19:
                                        ; implicit-def: $vgpr96
.LBB45_20:
	ds_read_b32 v96, v94
.LBB45_21:
	s_and_saveexec_b64 s[12:13], s[6:7]
	s_cbranch_execz .LBB45_25
; %bb.22:
	v_subrev_u32_e32 v97, 43, v0
	s_movk_i32 s58, 0x16c
	s_mov_b64 s[6:7], 0
.LBB45_23:                              ; =>This Inner Loop Header: Depth=1
	v_mov_b32_e32 v98, s57
	buffer_load_dword v98, v98, s[0:3], 0 offen
	v_mov_b32_e32 v99, s58
	ds_read_b32 v99, v99
	v_add_u32_e32 v97, -1, v97
	s_add_i32 s58, s58, 4
	s_add_i32 s57, s57, 4
	v_cmp_eq_u32_e32 vcc, 0, v97
	s_or_b64 s[6:7], vcc, s[6:7]
	s_waitcnt vmcnt(0) lgkmcnt(0)
	v_fmac_f32_e32 v96, v98, v99
	s_andn2_b64 exec, exec, s[6:7]
	s_cbranch_execnz .LBB45_23
; %bb.24:
	s_or_b64 exec, exec, s[6:7]
.LBB45_25:
	s_or_b64 exec, exec, s[12:13]
	v_mov_b32_e32 v97, 0
	ds_read_b32 v97, v97 offset:168
	s_waitcnt lgkmcnt(0)
	v_mul_f32_e32 v96, v96, v97
	buffer_store_dword v96, off, s[0:3], 0 offset:168
.LBB45_26:
	s_or_b64 exec, exec, s[8:9]
	buffer_load_dword v96, off, s[0:3], 0 offset:164
	v_cmp_lt_u32_e64 s[6:7], 41, v0
	s_waitcnt vmcnt(0)
	ds_write_b32 v94, v96
	s_waitcnt lgkmcnt(0)
	; wave barrier
	s_and_saveexec_b64 s[8:9], s[6:7]
	s_cbranch_execz .LBB45_36
; %bb.27:
	s_andn2_b64 vcc, exec, s[10:11]
	s_cbranch_vccnz .LBB45_29
; %bb.28:
	buffer_load_dword v96, v95, s[0:3], 0 offen
	ds_read_b32 v97, v94
	s_waitcnt vmcnt(0) lgkmcnt(0)
	v_mul_f32_e32 v96, v96, v97
	s_cbranch_execz .LBB45_30
	s_branch .LBB45_31
.LBB45_29:
                                        ; implicit-def: $vgpr96
.LBB45_30:
	ds_read_b32 v96, v94
.LBB45_31:
	s_and_saveexec_b64 s[12:13], s[4:5]
	s_cbranch_execz .LBB45_35
; %bb.32:
	v_subrev_u32_e32 v97, 42, v0
	s_movk_i32 s57, 0x168
	s_mov_b64 s[4:5], 0
.LBB45_33:                              ; =>This Inner Loop Header: Depth=1
	v_mov_b32_e32 v98, s56
	buffer_load_dword v98, v98, s[0:3], 0 offen
	v_mov_b32_e32 v99, s57
	ds_read_b32 v99, v99
	v_add_u32_e32 v97, -1, v97
	s_add_i32 s57, s57, 4
	s_add_i32 s56, s56, 4
	v_cmp_eq_u32_e32 vcc, 0, v97
	s_or_b64 s[4:5], vcc, s[4:5]
	s_waitcnt vmcnt(0) lgkmcnt(0)
	v_fmac_f32_e32 v96, v98, v99
	s_andn2_b64 exec, exec, s[4:5]
	s_cbranch_execnz .LBB45_33
; %bb.34:
	s_or_b64 exec, exec, s[4:5]
.LBB45_35:
	s_or_b64 exec, exec, s[12:13]
	v_mov_b32_e32 v97, 0
	ds_read_b32 v97, v97 offset:164
	s_waitcnt lgkmcnt(0)
	v_mul_f32_e32 v96, v96, v97
	buffer_store_dword v96, off, s[0:3], 0 offset:164
.LBB45_36:
	s_or_b64 exec, exec, s[8:9]
	buffer_load_dword v96, off, s[0:3], 0 offset:160
	v_cmp_lt_u32_e64 s[4:5], 40, v0
	s_waitcnt vmcnt(0)
	ds_write_b32 v94, v96
	s_waitcnt lgkmcnt(0)
	; wave barrier
	s_and_saveexec_b64 s[8:9], s[4:5]
	s_cbranch_execz .LBB45_46
; %bb.37:
	s_andn2_b64 vcc, exec, s[10:11]
	s_cbranch_vccnz .LBB45_39
; %bb.38:
	buffer_load_dword v96, v95, s[0:3], 0 offen
	ds_read_b32 v97, v94
	s_waitcnt vmcnt(0) lgkmcnt(0)
	v_mul_f32_e32 v96, v96, v97
	s_cbranch_execz .LBB45_40
	s_branch .LBB45_41
.LBB45_39:
                                        ; implicit-def: $vgpr96
.LBB45_40:
	ds_read_b32 v96, v94
.LBB45_41:
	s_and_saveexec_b64 s[12:13], s[6:7]
	s_cbranch_execz .LBB45_45
; %bb.42:
	v_subrev_u32_e32 v97, 41, v0
	s_movk_i32 s56, 0x164
	s_mov_b64 s[6:7], 0
.LBB45_43:                              ; =>This Inner Loop Header: Depth=1
	v_mov_b32_e32 v98, s55
	buffer_load_dword v98, v98, s[0:3], 0 offen
	v_mov_b32_e32 v99, s56
	ds_read_b32 v99, v99
	v_add_u32_e32 v97, -1, v97
	s_add_i32 s56, s56, 4
	s_add_i32 s55, s55, 4
	v_cmp_eq_u32_e32 vcc, 0, v97
	s_or_b64 s[6:7], vcc, s[6:7]
	s_waitcnt vmcnt(0) lgkmcnt(0)
	v_fmac_f32_e32 v96, v98, v99
	s_andn2_b64 exec, exec, s[6:7]
	s_cbranch_execnz .LBB45_43
; %bb.44:
	s_or_b64 exec, exec, s[6:7]
.LBB45_45:
	s_or_b64 exec, exec, s[12:13]
	v_mov_b32_e32 v97, 0
	ds_read_b32 v97, v97 offset:160
	s_waitcnt lgkmcnt(0)
	v_mul_f32_e32 v96, v96, v97
	buffer_store_dword v96, off, s[0:3], 0 offset:160
.LBB45_46:
	s_or_b64 exec, exec, s[8:9]
	buffer_load_dword v96, off, s[0:3], 0 offset:156
	v_cmp_lt_u32_e64 s[6:7], 39, v0
	s_waitcnt vmcnt(0)
	ds_write_b32 v94, v96
	s_waitcnt lgkmcnt(0)
	; wave barrier
	s_and_saveexec_b64 s[8:9], s[6:7]
	s_cbranch_execz .LBB45_56
; %bb.47:
	s_andn2_b64 vcc, exec, s[10:11]
	s_cbranch_vccnz .LBB45_49
; %bb.48:
	buffer_load_dword v96, v95, s[0:3], 0 offen
	ds_read_b32 v97, v94
	s_waitcnt vmcnt(0) lgkmcnt(0)
	v_mul_f32_e32 v96, v96, v97
	s_cbranch_execz .LBB45_50
	s_branch .LBB45_51
.LBB45_49:
                                        ; implicit-def: $vgpr96
.LBB45_50:
	ds_read_b32 v96, v94
.LBB45_51:
	s_and_saveexec_b64 s[12:13], s[4:5]
	s_cbranch_execz .LBB45_55
; %bb.52:
	v_subrev_u32_e32 v97, 40, v0
	s_movk_i32 s55, 0x160
	s_mov_b64 s[4:5], 0
.LBB45_53:                              ; =>This Inner Loop Header: Depth=1
	v_mov_b32_e32 v98, s54
	buffer_load_dword v98, v98, s[0:3], 0 offen
	v_mov_b32_e32 v99, s55
	ds_read_b32 v99, v99
	v_add_u32_e32 v97, -1, v97
	s_add_i32 s55, s55, 4
	s_add_i32 s54, s54, 4
	v_cmp_eq_u32_e32 vcc, 0, v97
	s_or_b64 s[4:5], vcc, s[4:5]
	s_waitcnt vmcnt(0) lgkmcnt(0)
	v_fmac_f32_e32 v96, v98, v99
	s_andn2_b64 exec, exec, s[4:5]
	s_cbranch_execnz .LBB45_53
; %bb.54:
	s_or_b64 exec, exec, s[4:5]
.LBB45_55:
	s_or_b64 exec, exec, s[12:13]
	v_mov_b32_e32 v97, 0
	ds_read_b32 v97, v97 offset:156
	s_waitcnt lgkmcnt(0)
	v_mul_f32_e32 v96, v96, v97
	buffer_store_dword v96, off, s[0:3], 0 offset:156
.LBB45_56:
	s_or_b64 exec, exec, s[8:9]
	buffer_load_dword v96, off, s[0:3], 0 offset:152
	v_cmp_lt_u32_e64 s[4:5], 38, v0
	s_waitcnt vmcnt(0)
	ds_write_b32 v94, v96
	s_waitcnt lgkmcnt(0)
	; wave barrier
	s_and_saveexec_b64 s[8:9], s[4:5]
	s_cbranch_execz .LBB45_66
; %bb.57:
	s_andn2_b64 vcc, exec, s[10:11]
	s_cbranch_vccnz .LBB45_59
; %bb.58:
	buffer_load_dword v96, v95, s[0:3], 0 offen
	ds_read_b32 v97, v94
	s_waitcnt vmcnt(0) lgkmcnt(0)
	v_mul_f32_e32 v96, v96, v97
	s_cbranch_execz .LBB45_60
	s_branch .LBB45_61
.LBB45_59:
                                        ; implicit-def: $vgpr96
.LBB45_60:
	ds_read_b32 v96, v94
.LBB45_61:
	s_and_saveexec_b64 s[12:13], s[6:7]
	s_cbranch_execz .LBB45_65
; %bb.62:
	v_subrev_u32_e32 v97, 39, v0
	s_movk_i32 s54, 0x15c
	s_mov_b64 s[6:7], 0
.LBB45_63:                              ; =>This Inner Loop Header: Depth=1
	v_mov_b32_e32 v98, s53
	buffer_load_dword v98, v98, s[0:3], 0 offen
	v_mov_b32_e32 v99, s54
	ds_read_b32 v99, v99
	v_add_u32_e32 v97, -1, v97
	s_add_i32 s54, s54, 4
	s_add_i32 s53, s53, 4
	v_cmp_eq_u32_e32 vcc, 0, v97
	s_or_b64 s[6:7], vcc, s[6:7]
	s_waitcnt vmcnt(0) lgkmcnt(0)
	v_fmac_f32_e32 v96, v98, v99
	s_andn2_b64 exec, exec, s[6:7]
	s_cbranch_execnz .LBB45_63
; %bb.64:
	s_or_b64 exec, exec, s[6:7]
.LBB45_65:
	s_or_b64 exec, exec, s[12:13]
	v_mov_b32_e32 v97, 0
	ds_read_b32 v97, v97 offset:152
	s_waitcnt lgkmcnt(0)
	v_mul_f32_e32 v96, v96, v97
	buffer_store_dword v96, off, s[0:3], 0 offset:152
.LBB45_66:
	s_or_b64 exec, exec, s[8:9]
	buffer_load_dword v96, off, s[0:3], 0 offset:148
	v_cmp_lt_u32_e64 s[6:7], 37, v0
	s_waitcnt vmcnt(0)
	ds_write_b32 v94, v96
	s_waitcnt lgkmcnt(0)
	; wave barrier
	s_and_saveexec_b64 s[8:9], s[6:7]
	s_cbranch_execz .LBB45_76
; %bb.67:
	s_andn2_b64 vcc, exec, s[10:11]
	s_cbranch_vccnz .LBB45_69
; %bb.68:
	buffer_load_dword v96, v95, s[0:3], 0 offen
	ds_read_b32 v97, v94
	s_waitcnt vmcnt(0) lgkmcnt(0)
	v_mul_f32_e32 v96, v96, v97
	s_cbranch_execz .LBB45_70
	s_branch .LBB45_71
.LBB45_69:
                                        ; implicit-def: $vgpr96
.LBB45_70:
	ds_read_b32 v96, v94
.LBB45_71:
	s_and_saveexec_b64 s[12:13], s[4:5]
	s_cbranch_execz .LBB45_75
; %bb.72:
	v_subrev_u32_e32 v97, 38, v0
	s_movk_i32 s53, 0x158
	s_mov_b64 s[4:5], 0
.LBB45_73:                              ; =>This Inner Loop Header: Depth=1
	v_mov_b32_e32 v98, s52
	buffer_load_dword v98, v98, s[0:3], 0 offen
	v_mov_b32_e32 v99, s53
	ds_read_b32 v99, v99
	v_add_u32_e32 v97, -1, v97
	s_add_i32 s53, s53, 4
	s_add_i32 s52, s52, 4
	v_cmp_eq_u32_e32 vcc, 0, v97
	s_or_b64 s[4:5], vcc, s[4:5]
	s_waitcnt vmcnt(0) lgkmcnt(0)
	v_fmac_f32_e32 v96, v98, v99
	s_andn2_b64 exec, exec, s[4:5]
	s_cbranch_execnz .LBB45_73
; %bb.74:
	s_or_b64 exec, exec, s[4:5]
.LBB45_75:
	s_or_b64 exec, exec, s[12:13]
	v_mov_b32_e32 v97, 0
	ds_read_b32 v97, v97 offset:148
	s_waitcnt lgkmcnt(0)
	v_mul_f32_e32 v96, v96, v97
	buffer_store_dword v96, off, s[0:3], 0 offset:148
.LBB45_76:
	s_or_b64 exec, exec, s[8:9]
	buffer_load_dword v96, off, s[0:3], 0 offset:144
	v_cmp_lt_u32_e64 s[4:5], 36, v0
	s_waitcnt vmcnt(0)
	ds_write_b32 v94, v96
	s_waitcnt lgkmcnt(0)
	; wave barrier
	s_and_saveexec_b64 s[8:9], s[4:5]
	s_cbranch_execz .LBB45_86
; %bb.77:
	s_andn2_b64 vcc, exec, s[10:11]
	s_cbranch_vccnz .LBB45_79
; %bb.78:
	buffer_load_dword v96, v95, s[0:3], 0 offen
	ds_read_b32 v97, v94
	s_waitcnt vmcnt(0) lgkmcnt(0)
	v_mul_f32_e32 v96, v96, v97
	s_cbranch_execz .LBB45_80
	s_branch .LBB45_81
.LBB45_79:
                                        ; implicit-def: $vgpr96
.LBB45_80:
	ds_read_b32 v96, v94
.LBB45_81:
	s_and_saveexec_b64 s[12:13], s[6:7]
	s_cbranch_execz .LBB45_85
; %bb.82:
	v_subrev_u32_e32 v97, 37, v0
	s_movk_i32 s52, 0x154
	s_mov_b64 s[6:7], 0
.LBB45_83:                              ; =>This Inner Loop Header: Depth=1
	v_mov_b32_e32 v98, s51
	buffer_load_dword v98, v98, s[0:3], 0 offen
	v_mov_b32_e32 v99, s52
	ds_read_b32 v99, v99
	v_add_u32_e32 v97, -1, v97
	s_add_i32 s52, s52, 4
	s_add_i32 s51, s51, 4
	v_cmp_eq_u32_e32 vcc, 0, v97
	s_or_b64 s[6:7], vcc, s[6:7]
	s_waitcnt vmcnt(0) lgkmcnt(0)
	v_fmac_f32_e32 v96, v98, v99
	s_andn2_b64 exec, exec, s[6:7]
	s_cbranch_execnz .LBB45_83
; %bb.84:
	s_or_b64 exec, exec, s[6:7]
.LBB45_85:
	s_or_b64 exec, exec, s[12:13]
	v_mov_b32_e32 v97, 0
	ds_read_b32 v97, v97 offset:144
	s_waitcnt lgkmcnt(0)
	v_mul_f32_e32 v96, v96, v97
	buffer_store_dword v96, off, s[0:3], 0 offset:144
.LBB45_86:
	s_or_b64 exec, exec, s[8:9]
	buffer_load_dword v96, off, s[0:3], 0 offset:140
	v_cmp_lt_u32_e64 s[6:7], 35, v0
	s_waitcnt vmcnt(0)
	ds_write_b32 v94, v96
	s_waitcnt lgkmcnt(0)
	; wave barrier
	s_and_saveexec_b64 s[8:9], s[6:7]
	s_cbranch_execz .LBB45_96
; %bb.87:
	s_andn2_b64 vcc, exec, s[10:11]
	s_cbranch_vccnz .LBB45_89
; %bb.88:
	buffer_load_dword v96, v95, s[0:3], 0 offen
	ds_read_b32 v97, v94
	s_waitcnt vmcnt(0) lgkmcnt(0)
	v_mul_f32_e32 v96, v96, v97
	s_cbranch_execz .LBB45_90
	s_branch .LBB45_91
.LBB45_89:
                                        ; implicit-def: $vgpr96
.LBB45_90:
	ds_read_b32 v96, v94
.LBB45_91:
	s_and_saveexec_b64 s[12:13], s[4:5]
	s_cbranch_execz .LBB45_95
; %bb.92:
	v_subrev_u32_e32 v97, 36, v0
	s_movk_i32 s51, 0x150
	s_mov_b64 s[4:5], 0
.LBB45_93:                              ; =>This Inner Loop Header: Depth=1
	v_mov_b32_e32 v98, s50
	buffer_load_dword v98, v98, s[0:3], 0 offen
	v_mov_b32_e32 v99, s51
	ds_read_b32 v99, v99
	v_add_u32_e32 v97, -1, v97
	s_add_i32 s51, s51, 4
	s_add_i32 s50, s50, 4
	v_cmp_eq_u32_e32 vcc, 0, v97
	s_or_b64 s[4:5], vcc, s[4:5]
	s_waitcnt vmcnt(0) lgkmcnt(0)
	v_fmac_f32_e32 v96, v98, v99
	s_andn2_b64 exec, exec, s[4:5]
	s_cbranch_execnz .LBB45_93
; %bb.94:
	s_or_b64 exec, exec, s[4:5]
.LBB45_95:
	s_or_b64 exec, exec, s[12:13]
	v_mov_b32_e32 v97, 0
	ds_read_b32 v97, v97 offset:140
	s_waitcnt lgkmcnt(0)
	v_mul_f32_e32 v96, v96, v97
	buffer_store_dword v96, off, s[0:3], 0 offset:140
.LBB45_96:
	s_or_b64 exec, exec, s[8:9]
	buffer_load_dword v96, off, s[0:3], 0 offset:136
	v_cmp_lt_u32_e64 s[4:5], 34, v0
	s_waitcnt vmcnt(0)
	ds_write_b32 v94, v96
	s_waitcnt lgkmcnt(0)
	; wave barrier
	s_and_saveexec_b64 s[8:9], s[4:5]
	s_cbranch_execz .LBB45_106
; %bb.97:
	s_andn2_b64 vcc, exec, s[10:11]
	s_cbranch_vccnz .LBB45_99
; %bb.98:
	buffer_load_dword v96, v95, s[0:3], 0 offen
	ds_read_b32 v97, v94
	s_waitcnt vmcnt(0) lgkmcnt(0)
	v_mul_f32_e32 v96, v96, v97
	s_cbranch_execz .LBB45_100
	s_branch .LBB45_101
.LBB45_99:
                                        ; implicit-def: $vgpr96
.LBB45_100:
	ds_read_b32 v96, v94
.LBB45_101:
	s_and_saveexec_b64 s[12:13], s[6:7]
	s_cbranch_execz .LBB45_105
; %bb.102:
	v_subrev_u32_e32 v97, 35, v0
	s_movk_i32 s50, 0x14c
	s_mov_b64 s[6:7], 0
.LBB45_103:                             ; =>This Inner Loop Header: Depth=1
	v_mov_b32_e32 v98, s49
	buffer_load_dword v98, v98, s[0:3], 0 offen
	v_mov_b32_e32 v99, s50
	ds_read_b32 v99, v99
	v_add_u32_e32 v97, -1, v97
	s_add_i32 s50, s50, 4
	s_add_i32 s49, s49, 4
	v_cmp_eq_u32_e32 vcc, 0, v97
	s_or_b64 s[6:7], vcc, s[6:7]
	s_waitcnt vmcnt(0) lgkmcnt(0)
	v_fmac_f32_e32 v96, v98, v99
	s_andn2_b64 exec, exec, s[6:7]
	s_cbranch_execnz .LBB45_103
; %bb.104:
	s_or_b64 exec, exec, s[6:7]
.LBB45_105:
	s_or_b64 exec, exec, s[12:13]
	v_mov_b32_e32 v97, 0
	ds_read_b32 v97, v97 offset:136
	s_waitcnt lgkmcnt(0)
	v_mul_f32_e32 v96, v96, v97
	buffer_store_dword v96, off, s[0:3], 0 offset:136
.LBB45_106:
	s_or_b64 exec, exec, s[8:9]
	buffer_load_dword v96, off, s[0:3], 0 offset:132
	v_cmp_lt_u32_e64 s[6:7], 33, v0
	s_waitcnt vmcnt(0)
	ds_write_b32 v94, v96
	s_waitcnt lgkmcnt(0)
	; wave barrier
	s_and_saveexec_b64 s[8:9], s[6:7]
	s_cbranch_execz .LBB45_116
; %bb.107:
	s_andn2_b64 vcc, exec, s[10:11]
	s_cbranch_vccnz .LBB45_109
; %bb.108:
	buffer_load_dword v96, v95, s[0:3], 0 offen
	ds_read_b32 v97, v94
	s_waitcnt vmcnt(0) lgkmcnt(0)
	v_mul_f32_e32 v96, v96, v97
	s_cbranch_execz .LBB45_110
	s_branch .LBB45_111
.LBB45_109:
                                        ; implicit-def: $vgpr96
.LBB45_110:
	ds_read_b32 v96, v94
.LBB45_111:
	s_and_saveexec_b64 s[12:13], s[4:5]
	s_cbranch_execz .LBB45_115
; %bb.112:
	v_subrev_u32_e32 v97, 34, v0
	s_movk_i32 s49, 0x148
	s_mov_b64 s[4:5], 0
.LBB45_113:                             ; =>This Inner Loop Header: Depth=1
	v_mov_b32_e32 v98, s48
	buffer_load_dword v98, v98, s[0:3], 0 offen
	v_mov_b32_e32 v99, s49
	ds_read_b32 v99, v99
	v_add_u32_e32 v97, -1, v97
	s_add_i32 s49, s49, 4
	s_add_i32 s48, s48, 4
	v_cmp_eq_u32_e32 vcc, 0, v97
	s_or_b64 s[4:5], vcc, s[4:5]
	s_waitcnt vmcnt(0) lgkmcnt(0)
	v_fmac_f32_e32 v96, v98, v99
	s_andn2_b64 exec, exec, s[4:5]
	s_cbranch_execnz .LBB45_113
; %bb.114:
	s_or_b64 exec, exec, s[4:5]
.LBB45_115:
	s_or_b64 exec, exec, s[12:13]
	v_mov_b32_e32 v97, 0
	ds_read_b32 v97, v97 offset:132
	s_waitcnt lgkmcnt(0)
	v_mul_f32_e32 v96, v96, v97
	buffer_store_dword v96, off, s[0:3], 0 offset:132
.LBB45_116:
	;; [unrolled: 54-line block ×19, first 2 shown]
	s_or_b64 exec, exec, s[8:9]
	buffer_load_dword v96, off, s[0:3], 0 offset:60
	v_cmp_lt_u32_e64 s[6:7], 15, v0
	s_waitcnt vmcnt(0)
	ds_write_b32 v94, v96
	s_waitcnt lgkmcnt(0)
	; wave barrier
	s_and_saveexec_b64 s[8:9], s[6:7]
	s_cbranch_execz .LBB45_296
; %bb.287:
	s_andn2_b64 vcc, exec, s[10:11]
	s_cbranch_vccnz .LBB45_289
; %bb.288:
	buffer_load_dword v96, v95, s[0:3], 0 offen
	ds_read_b32 v97, v94
	s_waitcnt vmcnt(0) lgkmcnt(0)
	v_mul_f32_e32 v96, v96, v97
	s_cbranch_execz .LBB45_290
	s_branch .LBB45_291
.LBB45_289:
                                        ; implicit-def: $vgpr96
.LBB45_290:
	ds_read_b32 v96, v94
.LBB45_291:
	s_and_saveexec_b64 s[12:13], s[4:5]
	s_cbranch_execz .LBB45_295
; %bb.292:
	v_add_u32_e32 v97, -16, v0
	s_movk_i32 s30, 0x100
	s_mov_b64 s[4:5], 0
.LBB45_293:                             ; =>This Inner Loop Header: Depth=1
	v_mov_b32_e32 v98, s29
	buffer_load_dword v98, v98, s[0:3], 0 offen
	v_mov_b32_e32 v99, s30
	ds_read_b32 v99, v99
	v_add_u32_e32 v97, -1, v97
	s_add_i32 s30, s30, 4
	s_add_i32 s29, s29, 4
	v_cmp_eq_u32_e32 vcc, 0, v97
	s_or_b64 s[4:5], vcc, s[4:5]
	s_waitcnt vmcnt(0) lgkmcnt(0)
	v_fmac_f32_e32 v96, v98, v99
	s_andn2_b64 exec, exec, s[4:5]
	s_cbranch_execnz .LBB45_293
; %bb.294:
	s_or_b64 exec, exec, s[4:5]
.LBB45_295:
	s_or_b64 exec, exec, s[12:13]
	v_mov_b32_e32 v97, 0
	ds_read_b32 v97, v97 offset:60
	s_waitcnt lgkmcnt(0)
	v_mul_f32_e32 v96, v96, v97
	buffer_store_dword v96, off, s[0:3], 0 offset:60
.LBB45_296:
	s_or_b64 exec, exec, s[8:9]
	buffer_load_dword v96, off, s[0:3], 0 offset:56
	v_cmp_lt_u32_e64 s[4:5], 14, v0
	s_waitcnt vmcnt(0)
	ds_write_b32 v94, v96
	s_waitcnt lgkmcnt(0)
	; wave barrier
	s_and_saveexec_b64 s[8:9], s[4:5]
	s_cbranch_execz .LBB45_306
; %bb.297:
	s_andn2_b64 vcc, exec, s[10:11]
	s_cbranch_vccnz .LBB45_299
; %bb.298:
	buffer_load_dword v96, v95, s[0:3], 0 offen
	ds_read_b32 v97, v94
	s_waitcnt vmcnt(0) lgkmcnt(0)
	v_mul_f32_e32 v96, v96, v97
	s_cbranch_execz .LBB45_300
	s_branch .LBB45_301
.LBB45_299:
                                        ; implicit-def: $vgpr96
.LBB45_300:
	ds_read_b32 v96, v94
.LBB45_301:
	s_and_saveexec_b64 s[12:13], s[6:7]
	s_cbranch_execz .LBB45_305
; %bb.302:
	v_add_u32_e32 v97, -15, v0
	s_movk_i32 s29, 0xfc
	s_mov_b64 s[6:7], 0
.LBB45_303:                             ; =>This Inner Loop Header: Depth=1
	v_mov_b32_e32 v98, s28
	buffer_load_dword v98, v98, s[0:3], 0 offen
	v_mov_b32_e32 v99, s29
	ds_read_b32 v99, v99
	v_add_u32_e32 v97, -1, v97
	s_add_i32 s29, s29, 4
	s_add_i32 s28, s28, 4
	v_cmp_eq_u32_e32 vcc, 0, v97
	s_or_b64 s[6:7], vcc, s[6:7]
	s_waitcnt vmcnt(0) lgkmcnt(0)
	v_fmac_f32_e32 v96, v98, v99
	s_andn2_b64 exec, exec, s[6:7]
	s_cbranch_execnz .LBB45_303
; %bb.304:
	s_or_b64 exec, exec, s[6:7]
.LBB45_305:
	s_or_b64 exec, exec, s[12:13]
	v_mov_b32_e32 v97, 0
	ds_read_b32 v97, v97 offset:56
	s_waitcnt lgkmcnt(0)
	v_mul_f32_e32 v96, v96, v97
	buffer_store_dword v96, off, s[0:3], 0 offset:56
.LBB45_306:
	;; [unrolled: 54-line block ×15, first 2 shown]
	s_or_b64 exec, exec, s[8:9]
	buffer_load_dword v96, off, s[0:3], 0
	v_cmp_ne_u32_e32 vcc, 0, v0
	s_waitcnt vmcnt(0)
	ds_write_b32 v94, v96
	s_waitcnt lgkmcnt(0)
	; wave barrier
	s_and_saveexec_b64 s[4:5], vcc
	s_cbranch_execz .LBB45_446
; %bb.437:
	s_andn2_b64 vcc, exec, s[10:11]
	s_cbranch_vccnz .LBB45_439
; %bb.438:
	buffer_load_dword v96, v95, s[0:3], 0 offen
	ds_read_b32 v97, v94
	s_waitcnt vmcnt(0) lgkmcnt(0)
	v_mul_f32_e32 v96, v96, v97
	s_cbranch_execz .LBB45_440
	s_branch .LBB45_441
.LBB45_439:
                                        ; implicit-def: $vgpr96
.LBB45_440:
	ds_read_b32 v96, v94
.LBB45_441:
	s_and_saveexec_b64 s[8:9], s[6:7]
	s_cbranch_execz .LBB45_445
; %bb.442:
	v_add_u32_e32 v97, -1, v0
	s_movk_i32 s12, 0xc4
	s_mov_b64 s[6:7], 0
.LBB45_443:                             ; =>This Inner Loop Header: Depth=1
	v_mov_b32_e32 v98, s14
	buffer_load_dword v98, v98, s[0:3], 0 offen
	v_mov_b32_e32 v99, s12
	ds_read_b32 v99, v99
	v_add_u32_e32 v97, -1, v97
	s_add_i32 s12, s12, 4
	s_add_i32 s14, s14, 4
	v_cmp_eq_u32_e32 vcc, 0, v97
	s_or_b64 s[6:7], vcc, s[6:7]
	s_waitcnt vmcnt(0) lgkmcnt(0)
	v_fmac_f32_e32 v96, v98, v99
	s_andn2_b64 exec, exec, s[6:7]
	s_cbranch_execnz .LBB45_443
; %bb.444:
	s_or_b64 exec, exec, s[6:7]
.LBB45_445:
	s_or_b64 exec, exec, s[8:9]
	v_mov_b32_e32 v97, 0
	ds_read_b32 v97, v97
	s_waitcnt lgkmcnt(0)
	v_mul_f32_e32 v96, v96, v97
	buffer_store_dword v96, off, s[0:3], 0
.LBB45_446:
	s_or_b64 exec, exec, s[4:5]
	s_mov_b64 s[4:5], 0
.LBB45_447:
	s_and_b64 vcc, exec, s[4:5]
	s_cbranch_vccz .LBB45_889
; %bb.448:
	buffer_load_dword v96, off, s[0:3], 0 offset:4
	v_cmp_eq_u32_e64 s[6:7], 0, v0
	s_waitcnt vmcnt(0)
	ds_write_b32 v94, v96
	s_waitcnt lgkmcnt(0)
	; wave barrier
	s_and_saveexec_b64 s[4:5], s[6:7]
	s_cbranch_execz .LBB45_454
; %bb.449:
	s_and_b64 vcc, exec, s[10:11]
	s_cbranch_vccz .LBB45_451
; %bb.450:
	buffer_load_dword v96, v95, s[0:3], 0 offen
	ds_read_b32 v97, v94
	s_waitcnt vmcnt(0) lgkmcnt(0)
	v_mul_f32_e32 v96, v96, v97
	s_cbranch_execz .LBB45_452
	s_branch .LBB45_453
.LBB45_451:
                                        ; implicit-def: $vgpr96
.LBB45_452:
	ds_read_b32 v96, v94
.LBB45_453:
	v_mov_b32_e32 v97, 0
	ds_read_b32 v97, v97 offset:4
	s_waitcnt lgkmcnt(0)
	v_mul_f32_e32 v96, v96, v97
	buffer_store_dword v96, off, s[0:3], 0 offset:4
.LBB45_454:
	s_or_b64 exec, exec, s[4:5]
	buffer_load_dword v96, off, s[0:3], 0 offset:8
	v_cndmask_b32_e64 v97, 0, 1, s[10:11]
	v_cmp_gt_u32_e32 vcc, 2, v0
	v_cmp_ne_u32_e64 s[4:5], 1, v97
	s_waitcnt vmcnt(0)
	ds_write_b32 v94, v96
	s_waitcnt lgkmcnt(0)
	; wave barrier
	s_and_saveexec_b64 s[8:9], vcc
	s_cbranch_execz .LBB45_460
; %bb.455:
	s_and_b64 vcc, exec, s[4:5]
	s_cbranch_vccnz .LBB45_457
; %bb.456:
	buffer_load_dword v96, v95, s[0:3], 0 offen
	ds_read_b32 v97, v94
	s_waitcnt vmcnt(0) lgkmcnt(0)
	v_mul_f32_e32 v96, v96, v97
	s_cbranch_execz .LBB45_458
	s_branch .LBB45_459
.LBB45_457:
                                        ; implicit-def: $vgpr96
.LBB45_458:
	ds_read_b32 v96, v94
.LBB45_459:
	buffer_load_dword v99, off, s[0:3], 0 offset:4
	v_mov_b32_e32 v97, 0
	ds_read2_b32 v[97:98], v97 offset0:2 offset1:49
	s_waitcnt vmcnt(0) lgkmcnt(0)
	v_fma_f32 v98, v99, v98, v96
	v_cndmask_b32_e64 v96, v96, v98, s[6:7]
	v_mul_f32_e32 v96, v96, v97
	buffer_store_dword v96, off, s[0:3], 0 offset:8
.LBB45_460:
	s_or_b64 exec, exec, s[8:9]
	buffer_load_dword v96, off, s[0:3], 0 offset:12
	v_cmp_gt_u32_e32 vcc, 3, v0
	s_waitcnt vmcnt(0)
	ds_write_b32 v94, v96
	s_waitcnt lgkmcnt(0)
	; wave barrier
	s_and_saveexec_b64 s[8:9], vcc
	s_cbranch_execz .LBB45_468
; %bb.461:
	s_and_b64 vcc, exec, s[4:5]
	s_cbranch_vccnz .LBB45_463
; %bb.462:
	buffer_load_dword v96, v95, s[0:3], 0 offen
	ds_read_b32 v97, v94
	s_waitcnt vmcnt(0) lgkmcnt(0)
	v_mul_f32_e32 v96, v96, v97
	s_cbranch_execz .LBB45_464
	s_branch .LBB45_465
.LBB45_463:
                                        ; implicit-def: $vgpr96
.LBB45_464:
	ds_read_b32 v96, v94
.LBB45_465:
	v_cmp_ne_u32_e32 vcc, 2, v0
	s_and_saveexec_b64 s[10:11], vcc
	s_cbranch_execz .LBB45_467
; %bb.466:
	buffer_load_dword v97, v95, s[0:3], 0 offen offset:4
	buffer_load_dword v98, off, s[0:3], 0 offset:8
	v_mov_b32_e32 v99, 0
	ds_read_b32 v100, v94 offset:4
	ds_read_b32 v99, v99 offset:200
	s_waitcnt vmcnt(1) lgkmcnt(1)
	v_fmac_f32_e32 v96, v97, v100
	s_waitcnt vmcnt(0) lgkmcnt(0)
	v_fma_f32 v97, v98, v99, v96
	v_cndmask_b32_e64 v96, v96, v97, s[6:7]
.LBB45_467:
	s_or_b64 exec, exec, s[10:11]
	v_mov_b32_e32 v97, 0
	ds_read_b32 v97, v97 offset:12
	s_waitcnt lgkmcnt(0)
	v_mul_f32_e32 v96, v96, v97
	buffer_store_dword v96, off, s[0:3], 0 offset:12
.LBB45_468:
	s_or_b64 exec, exec, s[8:9]
	buffer_load_dword v96, off, s[0:3], 0 offset:16
	v_cmp_gt_u32_e32 vcc, 4, v0
	s_waitcnt vmcnt(0)
	ds_write_b32 v94, v96
	s_waitcnt lgkmcnt(0)
	; wave barrier
	s_and_saveexec_b64 s[6:7], vcc
	s_cbranch_execz .LBB45_478
; %bb.469:
	s_and_b64 vcc, exec, s[4:5]
	s_cbranch_vccnz .LBB45_471
; %bb.470:
	buffer_load_dword v96, v95, s[0:3], 0 offen
	ds_read_b32 v97, v94
	s_waitcnt vmcnt(0) lgkmcnt(0)
	v_mul_f32_e32 v96, v96, v97
	s_cbranch_execz .LBB45_472
	s_branch .LBB45_473
.LBB45_471:
                                        ; implicit-def: $vgpr96
.LBB45_472:
	ds_read_b32 v96, v94
.LBB45_473:
	v_cmp_ne_u32_e32 vcc, 3, v0
	s_and_saveexec_b64 s[8:9], vcc
	s_cbranch_execz .LBB45_477
; %bb.474:
	s_mov_b32 s10, 0
	v_add_u32_e32 v97, 0xc4, v93
	v_add3_u32 v98, v93, s10, 4
	s_mov_b64 s[10:11], 0
	v_mov_b32_e32 v99, v0
.LBB45_475:                             ; =>This Inner Loop Header: Depth=1
	buffer_load_dword v100, v98, s[0:3], 0 offen
	ds_read_b32 v101, v97
	v_add_u32_e32 v99, 1, v99
	v_cmp_lt_u32_e32 vcc, 2, v99
	v_add_u32_e32 v97, 4, v97
	v_add_u32_e32 v98, 4, v98
	s_or_b64 s[10:11], vcc, s[10:11]
	s_waitcnt vmcnt(0) lgkmcnt(0)
	v_fmac_f32_e32 v96, v100, v101
	s_andn2_b64 exec, exec, s[10:11]
	s_cbranch_execnz .LBB45_475
; %bb.476:
	s_or_b64 exec, exec, s[10:11]
.LBB45_477:
	s_or_b64 exec, exec, s[8:9]
	v_mov_b32_e32 v97, 0
	ds_read_b32 v97, v97 offset:16
	s_waitcnt lgkmcnt(0)
	v_mul_f32_e32 v96, v96, v97
	buffer_store_dword v96, off, s[0:3], 0 offset:16
.LBB45_478:
	s_or_b64 exec, exec, s[6:7]
	buffer_load_dword v96, off, s[0:3], 0 offset:20
	v_cmp_gt_u32_e32 vcc, 5, v0
	s_waitcnt vmcnt(0)
	ds_write_b32 v94, v96
	s_waitcnt lgkmcnt(0)
	; wave barrier
	s_and_saveexec_b64 s[6:7], vcc
	s_cbranch_execz .LBB45_488
; %bb.479:
	s_and_b64 vcc, exec, s[4:5]
	s_cbranch_vccnz .LBB45_481
; %bb.480:
	buffer_load_dword v96, v95, s[0:3], 0 offen
	ds_read_b32 v97, v94
	s_waitcnt vmcnt(0) lgkmcnt(0)
	v_mul_f32_e32 v96, v96, v97
	s_cbranch_execz .LBB45_482
	s_branch .LBB45_483
.LBB45_481:
                                        ; implicit-def: $vgpr96
.LBB45_482:
	ds_read_b32 v96, v94
.LBB45_483:
	v_cmp_ne_u32_e32 vcc, 4, v0
	s_and_saveexec_b64 s[8:9], vcc
	s_cbranch_execz .LBB45_487
; %bb.484:
	s_mov_b32 s10, 0
	v_add_u32_e32 v97, 0xc4, v93
	v_add3_u32 v98, v93, s10, 4
	s_mov_b64 s[10:11], 0
	v_mov_b32_e32 v99, v0
.LBB45_485:                             ; =>This Inner Loop Header: Depth=1
	buffer_load_dword v100, v98, s[0:3], 0 offen
	ds_read_b32 v101, v97
	v_add_u32_e32 v99, 1, v99
	v_cmp_lt_u32_e32 vcc, 3, v99
	v_add_u32_e32 v97, 4, v97
	v_add_u32_e32 v98, 4, v98
	s_or_b64 s[10:11], vcc, s[10:11]
	s_waitcnt vmcnt(0) lgkmcnt(0)
	v_fmac_f32_e32 v96, v100, v101
	s_andn2_b64 exec, exec, s[10:11]
	s_cbranch_execnz .LBB45_485
; %bb.486:
	s_or_b64 exec, exec, s[10:11]
.LBB45_487:
	s_or_b64 exec, exec, s[8:9]
	v_mov_b32_e32 v97, 0
	ds_read_b32 v97, v97 offset:20
	s_waitcnt lgkmcnt(0)
	v_mul_f32_e32 v96, v96, v97
	buffer_store_dword v96, off, s[0:3], 0 offset:20
.LBB45_488:
	;; [unrolled: 55-line block ×40, first 2 shown]
	s_or_b64 exec, exec, s[6:7]
	buffer_load_dword v96, off, s[0:3], 0 offset:176
	v_cmp_gt_u32_e64 s[6:7], 44, v0
	s_waitcnt vmcnt(0)
	ds_write_b32 v94, v96
	s_waitcnt lgkmcnt(0)
	; wave barrier
	s_and_saveexec_b64 s[8:9], s[6:7]
	s_cbranch_execz .LBB45_878
; %bb.869:
	s_and_b64 vcc, exec, s[4:5]
	s_cbranch_vccnz .LBB45_871
; %bb.870:
	buffer_load_dword v96, v95, s[0:3], 0 offen
	ds_read_b32 v97, v94
	s_waitcnt vmcnt(0) lgkmcnt(0)
	v_mul_f32_e32 v96, v96, v97
	s_cbranch_execz .LBB45_872
	s_branch .LBB45_873
.LBB45_871:
                                        ; implicit-def: $vgpr96
.LBB45_872:
	ds_read_b32 v96, v94
.LBB45_873:
	v_cmp_ne_u32_e32 vcc, 43, v0
	s_and_saveexec_b64 s[10:11], vcc
	s_cbranch_execz .LBB45_877
; %bb.874:
	s_mov_b32 s12, 0
	v_add_u32_e32 v97, 0xc4, v93
	v_add3_u32 v98, v93, s12, 4
	s_mov_b64 s[12:13], 0
	v_mov_b32_e32 v99, v0
.LBB45_875:                             ; =>This Inner Loop Header: Depth=1
	buffer_load_dword v100, v98, s[0:3], 0 offen
	ds_read_b32 v101, v97
	v_add_u32_e32 v99, 1, v99
	v_cmp_lt_u32_e32 vcc, 42, v99
	v_add_u32_e32 v97, 4, v97
	v_add_u32_e32 v98, 4, v98
	s_or_b64 s[12:13], vcc, s[12:13]
	s_waitcnt vmcnt(0) lgkmcnt(0)
	v_fmac_f32_e32 v96, v100, v101
	s_andn2_b64 exec, exec, s[12:13]
	s_cbranch_execnz .LBB45_875
; %bb.876:
	s_or_b64 exec, exec, s[12:13]
.LBB45_877:
	s_or_b64 exec, exec, s[10:11]
	v_mov_b32_e32 v97, 0
	ds_read_b32 v97, v97 offset:176
	s_waitcnt lgkmcnt(0)
	v_mul_f32_e32 v96, v96, v97
	buffer_store_dword v96, off, s[0:3], 0 offset:176
.LBB45_878:
	s_or_b64 exec, exec, s[8:9]
	buffer_load_dword v96, off, s[0:3], 0 offset:180
	v_cmp_ne_u32_e32 vcc, 45, v0
	s_waitcnt vmcnt(0)
	ds_write_b32 v94, v96
	s_waitcnt lgkmcnt(0)
	; wave barrier
	s_and_saveexec_b64 s[8:9], vcc
	s_cbranch_execz .LBB45_888
; %bb.879:
	s_and_b64 vcc, exec, s[4:5]
	s_cbranch_vccnz .LBB45_881
; %bb.880:
	buffer_load_dword v95, v95, s[0:3], 0 offen
	ds_read_b32 v96, v94
	s_waitcnt vmcnt(0) lgkmcnt(0)
	v_mul_f32_e32 v95, v95, v96
	s_cbranch_execz .LBB45_882
	s_branch .LBB45_883
.LBB45_881:
                                        ; implicit-def: $vgpr95
.LBB45_882:
	ds_read_b32 v95, v94
.LBB45_883:
	s_and_saveexec_b64 s[4:5], s[6:7]
	s_cbranch_execz .LBB45_887
; %bb.884:
	s_mov_b32 s6, 0
	v_add_u32_e32 v94, 0xc4, v93
	v_add3_u32 v93, v93, s6, 4
	s_mov_b64 s[6:7], 0
.LBB45_885:                             ; =>This Inner Loop Header: Depth=1
	buffer_load_dword v96, v93, s[0:3], 0 offen
	ds_read_b32 v97, v94
	v_add_u32_e32 v0, 1, v0
	v_cmp_lt_u32_e32 vcc, 43, v0
	v_add_u32_e32 v94, 4, v94
	v_add_u32_e32 v93, 4, v93
	s_or_b64 s[6:7], vcc, s[6:7]
	s_waitcnt vmcnt(0) lgkmcnt(0)
	v_fmac_f32_e32 v95, v96, v97
	s_andn2_b64 exec, exec, s[6:7]
	s_cbranch_execnz .LBB45_885
; %bb.886:
	s_or_b64 exec, exec, s[6:7]
.LBB45_887:
	s_or_b64 exec, exec, s[4:5]
	v_mov_b32_e32 v0, 0
	ds_read_b32 v0, v0 offset:180
	s_waitcnt lgkmcnt(0)
	v_mul_f32_e32 v0, v95, v0
	buffer_store_dword v0, off, s[0:3], 0 offset:180
.LBB45_888:
	s_or_b64 exec, exec, s[8:9]
.LBB45_889:
	buffer_load_dword v0, off, s[0:3], 0
	buffer_load_dword v93, off, s[0:3], 0 offset:4
	buffer_load_dword v94, off, s[0:3], 0 offset:8
	;; [unrolled: 1-line block ×31, first 2 shown]
	s_waitcnt vmcnt(31)
	global_store_dword v[79:80], v0, off
	s_waitcnt vmcnt(31)
	global_store_dword v[85:86], v93, off
	;; [unrolled: 2-line block ×3, first 2 shown]
	buffer_load_dword v0, off, s[0:3], 0 offset:128
	s_nop 0
	buffer_load_dword v3, off, s[0:3], 0 offset:132
	buffer_load_dword v4, off, s[0:3], 0 offset:136
	;; [unrolled: 1-line block ×7, first 2 shown]
	s_waitcnt vmcnt(39)
	global_store_dword v[1:2], v95, off
	s_waitcnt vmcnt(39)
	global_store_dword v[5:6], v96, off
	buffer_load_dword v1, off, s[0:3], 0 offset:160
	buffer_load_dword v2, off, s[0:3], 0 offset:164
	s_nop 0
	buffer_load_dword v5, off, s[0:3], 0 offset:168
	buffer_load_dword v6, off, s[0:3], 0 offset:172
	;; [unrolled: 1-line block ×4, first 2 shown]
	s_waitcnt vmcnt(45)
	global_store_dword v[7:8], v97, off
	s_waitcnt vmcnt(45)
	global_store_dword v[9:10], v98, off
	;; [unrolled: 2-line block ×41, first 2 shown]
.LBB45_890:
	s_endpgm
	.section	.rodata,"a",@progbits
	.p2align	6, 0x0
	.amdhsa_kernel _ZN9rocsolver6v33100L18trti2_kernel_smallILi46EfPfEEv13rocblas_fill_17rocblas_diagonal_T1_iil
		.amdhsa_group_segment_fixed_size 376
		.amdhsa_private_segment_fixed_size 192
		.amdhsa_kernarg_size 32
		.amdhsa_user_sgpr_count 6
		.amdhsa_user_sgpr_private_segment_buffer 1
		.amdhsa_user_sgpr_dispatch_ptr 0
		.amdhsa_user_sgpr_queue_ptr 0
		.amdhsa_user_sgpr_kernarg_segment_ptr 1
		.amdhsa_user_sgpr_dispatch_id 0
		.amdhsa_user_sgpr_flat_scratch_init 0
		.amdhsa_user_sgpr_private_segment_size 0
		.amdhsa_uses_dynamic_stack 0
		.amdhsa_system_sgpr_private_segment_wavefront_offset 1
		.amdhsa_system_sgpr_workgroup_id_x 1
		.amdhsa_system_sgpr_workgroup_id_y 0
		.amdhsa_system_sgpr_workgroup_id_z 0
		.amdhsa_system_sgpr_workgroup_info 0
		.amdhsa_system_vgpr_workitem_id 0
		.amdhsa_next_free_vgpr 124
		.amdhsa_next_free_sgpr 59
		.amdhsa_reserve_vcc 1
		.amdhsa_reserve_flat_scratch 0
		.amdhsa_float_round_mode_32 0
		.amdhsa_float_round_mode_16_64 0
		.amdhsa_float_denorm_mode_32 3
		.amdhsa_float_denorm_mode_16_64 3
		.amdhsa_dx10_clamp 1
		.amdhsa_ieee_mode 1
		.amdhsa_fp16_overflow 0
		.amdhsa_exception_fp_ieee_invalid_op 0
		.amdhsa_exception_fp_denorm_src 0
		.amdhsa_exception_fp_ieee_div_zero 0
		.amdhsa_exception_fp_ieee_overflow 0
		.amdhsa_exception_fp_ieee_underflow 0
		.amdhsa_exception_fp_ieee_inexact 0
		.amdhsa_exception_int_div_zero 0
	.end_amdhsa_kernel
	.section	.text._ZN9rocsolver6v33100L18trti2_kernel_smallILi46EfPfEEv13rocblas_fill_17rocblas_diagonal_T1_iil,"axG",@progbits,_ZN9rocsolver6v33100L18trti2_kernel_smallILi46EfPfEEv13rocblas_fill_17rocblas_diagonal_T1_iil,comdat
.Lfunc_end45:
	.size	_ZN9rocsolver6v33100L18trti2_kernel_smallILi46EfPfEEv13rocblas_fill_17rocblas_diagonal_T1_iil, .Lfunc_end45-_ZN9rocsolver6v33100L18trti2_kernel_smallILi46EfPfEEv13rocblas_fill_17rocblas_diagonal_T1_iil
                                        ; -- End function
	.set _ZN9rocsolver6v33100L18trti2_kernel_smallILi46EfPfEEv13rocblas_fill_17rocblas_diagonal_T1_iil.num_vgpr, 124
	.set _ZN9rocsolver6v33100L18trti2_kernel_smallILi46EfPfEEv13rocblas_fill_17rocblas_diagonal_T1_iil.num_agpr, 0
	.set _ZN9rocsolver6v33100L18trti2_kernel_smallILi46EfPfEEv13rocblas_fill_17rocblas_diagonal_T1_iil.numbered_sgpr, 59
	.set _ZN9rocsolver6v33100L18trti2_kernel_smallILi46EfPfEEv13rocblas_fill_17rocblas_diagonal_T1_iil.num_named_barrier, 0
	.set _ZN9rocsolver6v33100L18trti2_kernel_smallILi46EfPfEEv13rocblas_fill_17rocblas_diagonal_T1_iil.private_seg_size, 192
	.set _ZN9rocsolver6v33100L18trti2_kernel_smallILi46EfPfEEv13rocblas_fill_17rocblas_diagonal_T1_iil.uses_vcc, 1
	.set _ZN9rocsolver6v33100L18trti2_kernel_smallILi46EfPfEEv13rocblas_fill_17rocblas_diagonal_T1_iil.uses_flat_scratch, 0
	.set _ZN9rocsolver6v33100L18trti2_kernel_smallILi46EfPfEEv13rocblas_fill_17rocblas_diagonal_T1_iil.has_dyn_sized_stack, 0
	.set _ZN9rocsolver6v33100L18trti2_kernel_smallILi46EfPfEEv13rocblas_fill_17rocblas_diagonal_T1_iil.has_recursion, 0
	.set _ZN9rocsolver6v33100L18trti2_kernel_smallILi46EfPfEEv13rocblas_fill_17rocblas_diagonal_T1_iil.has_indirect_call, 0
	.section	.AMDGPU.csdata,"",@progbits
; Kernel info:
; codeLenInByte = 22312
; TotalNumSgprs: 63
; NumVgprs: 124
; ScratchSize: 192
; MemoryBound: 0
; FloatMode: 240
; IeeeMode: 1
; LDSByteSize: 376 bytes/workgroup (compile time only)
; SGPRBlocks: 7
; VGPRBlocks: 30
; NumSGPRsForWavesPerEU: 63
; NumVGPRsForWavesPerEU: 124
; Occupancy: 2
; WaveLimiterHint : 0
; COMPUTE_PGM_RSRC2:SCRATCH_EN: 1
; COMPUTE_PGM_RSRC2:USER_SGPR: 6
; COMPUTE_PGM_RSRC2:TRAP_HANDLER: 0
; COMPUTE_PGM_RSRC2:TGID_X_EN: 1
; COMPUTE_PGM_RSRC2:TGID_Y_EN: 0
; COMPUTE_PGM_RSRC2:TGID_Z_EN: 0
; COMPUTE_PGM_RSRC2:TIDIG_COMP_CNT: 0
	.section	.text._ZN9rocsolver6v33100L18trti2_kernel_smallILi47EfPfEEv13rocblas_fill_17rocblas_diagonal_T1_iil,"axG",@progbits,_ZN9rocsolver6v33100L18trti2_kernel_smallILi47EfPfEEv13rocblas_fill_17rocblas_diagonal_T1_iil,comdat
	.globl	_ZN9rocsolver6v33100L18trti2_kernel_smallILi47EfPfEEv13rocblas_fill_17rocblas_diagonal_T1_iil ; -- Begin function _ZN9rocsolver6v33100L18trti2_kernel_smallILi47EfPfEEv13rocblas_fill_17rocblas_diagonal_T1_iil
	.p2align	8
	.type	_ZN9rocsolver6v33100L18trti2_kernel_smallILi47EfPfEEv13rocblas_fill_17rocblas_diagonal_T1_iil,@function
_ZN9rocsolver6v33100L18trti2_kernel_smallILi47EfPfEEv13rocblas_fill_17rocblas_diagonal_T1_iil: ; @_ZN9rocsolver6v33100L18trti2_kernel_smallILi47EfPfEEv13rocblas_fill_17rocblas_diagonal_T1_iil
; %bb.0:
	s_add_u32 s0, s0, s7
	s_addc_u32 s1, s1, 0
	v_cmp_gt_u32_e32 vcc, 47, v0
	s_and_saveexec_b64 s[8:9], vcc
	s_cbranch_execz .LBB46_910
; %bb.1:
	s_load_dwordx8 s[8:15], s[4:5], 0x0
	s_ashr_i32 s7, s6, 31
	v_lshlrev_b32_e32 v95, 2, v0
	s_waitcnt lgkmcnt(0)
	s_ashr_i32 s5, s12, 31
	s_mov_b32 s4, s12
	s_mul_hi_u32 s12, s14, s6
	s_mul_i32 s7, s14, s7
	s_add_i32 s7, s12, s7
	s_mul_i32 s12, s15, s6
	s_add_i32 s7, s7, s12
	s_mul_i32 s6, s14, s6
	s_lshl_b64 s[6:7], s[6:7], 2
	s_add_u32 s6, s10, s6
	s_addc_u32 s7, s11, s7
	s_lshl_b64 s[4:5], s[4:5], 2
	s_add_u32 s4, s6, s4
	s_addc_u32 s5, s7, s5
	s_add_i32 s6, s13, s13
	v_add_u32_e32 v3, s6, v0
	v_ashrrev_i32_e32 v4, 31, v3
	v_lshlrev_b64 v[1:2], 2, v[3:4]
	v_mov_b32_e32 v4, s5
	v_add_co_u32_e32 v1, vcc, s4, v1
	v_add_u32_e32 v3, s13, v3
	v_addc_co_u32_e32 v2, vcc, v4, v2, vcc
	v_ashrrev_i32_e32 v4, 31, v3
	v_lshlrev_b64 v[5:6], 2, v[3:4]
	v_add_u32_e32 v7, s13, v3
	v_mov_b32_e32 v4, s5
	v_add_co_u32_e32 v5, vcc, s4, v5
	v_ashrrev_i32_e32 v8, 31, v7
	v_addc_co_u32_e32 v6, vcc, v4, v6, vcc
	v_lshlrev_b64 v[3:4], 2, v[7:8]
	v_mov_b32_e32 v8, s5
	v_add_co_u32_e32 v3, vcc, s4, v3
	v_add_u32_e32 v7, s13, v7
	v_addc_co_u32_e32 v4, vcc, v8, v4, vcc
	v_ashrrev_i32_e32 v8, 31, v7
	v_lshlrev_b64 v[9:10], 2, v[7:8]
	v_add_u32_e32 v11, s13, v7
	v_mov_b32_e32 v8, s5
	v_add_co_u32_e32 v9, vcc, s4, v9
	v_ashrrev_i32_e32 v12, 31, v11
	v_addc_co_u32_e32 v10, vcc, v8, v10, vcc
	v_lshlrev_b64 v[7:8], 2, v[11:12]
	v_add_u32_e32 v13, s13, v11
	v_mov_b32_e32 v12, s5
	v_add_co_u32_e32 v7, vcc, s4, v7
	v_ashrrev_i32_e32 v14, 31, v13
	v_addc_co_u32_e32 v8, vcc, v12, v8, vcc
	;; [unrolled: 6-line block ×5, first 2 shown]
	v_lshlrev_b64 v[17:18], 2, v[19:20]
	v_mov_b32_e32 v21, s5
	v_add_co_u32_e32 v17, vcc, s4, v17
	v_addc_co_u32_e32 v18, vcc, v21, v18, vcc
	v_add_u32_e32 v21, s13, v19
	v_ashrrev_i32_e32 v22, 31, v21
	v_lshlrev_b64 v[19:20], 2, v[21:22]
	v_mov_b32_e32 v23, s5
	v_add_co_u32_e32 v19, vcc, s4, v19
	v_addc_co_u32_e32 v20, vcc, v23, v20, vcc
	v_add_u32_e32 v23, s13, v21
	v_ashrrev_i32_e32 v24, 31, v23
	;; [unrolled: 6-line block ×28, first 2 shown]
	v_lshlrev_b64 v[73:74], 2, v[75:76]
	v_mov_b32_e32 v77, s5
	v_add_co_u32_e32 v73, vcc, s4, v73
	v_addc_co_u32_e32 v74, vcc, v77, v74, vcc
	v_add_co_u32_e32 v81, vcc, s4, v95
	s_ashr_i32 s7, s13, 31
	s_mov_b32 s6, s13
	v_addc_co_u32_e32 v82, vcc, 0, v77, vcc
	s_lshl_b64 s[6:7], s[6:7], 2
	v_mov_b32_e32 v78, s7
	v_add_co_u32_e32 v77, vcc, s6, v81
	v_addc_co_u32_e32 v78, vcc, v82, v78, vcc
	global_load_dword v96, v95, s[4:5]
	global_load_dword v97, v[77:78], off
	global_load_dword v98, v[1:2], off
	;; [unrolled: 1-line block ×18, first 2 shown]
	v_add_u32_e32 v79, s13, v75
	v_ashrrev_i32_e32 v80, 31, v79
	v_lshlrev_b64 v[75:76], 2, v[79:80]
	v_mov_b32_e32 v83, s5
	v_add_co_u32_e32 v75, vcc, s4, v75
	v_addc_co_u32_e32 v76, vcc, v83, v76, vcc
	v_add_u32_e32 v83, s13, v79
	v_ashrrev_i32_e32 v84, 31, v83
	v_lshlrev_b64 v[79:80], 2, v[83:84]
	v_mov_b32_e32 v85, s5
	v_add_co_u32_e32 v79, vcc, s4, v79
	v_addc_co_u32_e32 v80, vcc, v85, v80, vcc
	;; [unrolled: 6-line block ×6, first 2 shown]
	v_add_u32_e32 v93, s13, v91
	v_ashrrev_i32_e32 v94, 31, v93
	v_lshlrev_b64 v[91:92], 2, v[93:94]
	v_add_u32_e32 v93, s13, v93
	v_ashrrev_i32_e32 v94, 31, v93
	v_mov_b32_e32 v115, s5
	v_add_co_u32_e32 v91, vcc, s4, v91
	v_lshlrev_b64 v[93:94], 2, v[93:94]
	v_addc_co_u32_e32 v92, vcc, v115, v92, vcc
	v_add_co_u32_e32 v93, vcc, s4, v93
	v_addc_co_u32_e32 v94, vcc, v115, v94, vcc
	global_load_dword v115, v[93:94], off
	s_waitcnt vmcnt(19)
	buffer_store_dword v96, off, s[0:3], 0
	s_waitcnt vmcnt(19)
	buffer_store_dword v97, off, s[0:3], 0 offset:4
	s_waitcnt vmcnt(19)
	buffer_store_dword v98, off, s[0:3], 0 offset:8
	;; [unrolled: 2-line block ×16, first 2 shown]
	global_load_dword v96, v[35:36], off
	global_load_dword v97, v[37:38], off
	;; [unrolled: 1-line block ×6, first 2 shown]
	s_waitcnt vmcnt(25)
	buffer_store_dword v113, off, s[0:3], 0 offset:68
	s_waitcnt vmcnt(25)
	buffer_store_dword v114, off, s[0:3], 0 offset:72
	global_load_dword v102, v[47:48], off
	global_load_dword v103, v[49:50], off
	;; [unrolled: 1-line block ×21, first 2 shown]
	s_cmpk_lg_i32 s9, 0x84
	s_waitcnt vmcnt(28)
	buffer_store_dword v96, off, s[0:3], 0 offset:76
	s_waitcnt vmcnt(28)
	buffer_store_dword v97, off, s[0:3], 0 offset:80
	;; [unrolled: 2-line block ×27, first 2 shown]
	buffer_store_dword v115, off, s[0:3], 0 offset:184
	s_movk_i32 s12, 0x84
	s_cselect_b64 s[10:11], -1, 0
	s_cmpk_eq_i32 s9, 0x84
	v_mov_b32_e32 v96, -1.0
	s_cbranch_scc1 .LBB46_3
; %bb.2:
	v_mov_b32_e32 v96, 0
	v_lshl_add_u32 v96, v0, 2, v96
	buffer_load_dword v97, v96, s[0:3], 0 offen
	s_waitcnt vmcnt(0)
	v_div_scale_f32 v98, s[4:5], v97, v97, 1.0
	v_div_scale_f32 v99, vcc, 1.0, v97, 1.0
	v_rcp_f32_e32 v100, v98
	v_fma_f32 v101, -v98, v100, 1.0
	v_fmac_f32_e32 v100, v101, v100
	v_mul_f32_e32 v101, v99, v100
	v_fma_f32 v102, -v98, v101, v99
	v_fmac_f32_e32 v101, v102, v100
	v_fma_f32 v98, -v98, v101, v99
	v_div_fmas_f32 v98, v98, v100, v101
	v_div_fixup_f32 v97, v98, v97, 1.0
	buffer_store_dword v97, v96, s[0:3], 0 offen
	v_xor_b32_e32 v96, 0x80000000, v97
.LBB46_3:
	ds_write_b32 v95, v96
	s_cmpk_eq_i32 s8, 0x79
	v_add_u32_e32 v96, 0xc0, v95
	v_mov_b32_e32 v97, v95
	s_mov_b64 s[4:5], -1
	s_cbranch_scc1 .LBB46_457
; %bb.4:
	buffer_load_dword v98, off, s[0:3], 0 offset:180
	s_movk_i32 s30, 0x44
	s_movk_i32 s31, 0x48
	;; [unrolled: 1-line block ×27, first 2 shown]
	v_cmp_eq_u32_e64 s[4:5], 46, v0
	s_waitcnt vmcnt(0)
	ds_write_b32 v96, v98
	s_waitcnt lgkmcnt(0)
	; wave barrier
	s_and_saveexec_b64 s[6:7], s[4:5]
	s_cbranch_execz .LBB46_10
; %bb.5:
	s_and_b64 vcc, exec, s[10:11]
	s_cbranch_vccz .LBB46_7
; %bb.6:
	buffer_load_dword v98, v97, s[0:3], 0 offen
	ds_read_b32 v99, v96
	s_waitcnt vmcnt(0) lgkmcnt(0)
	v_mul_f32_e32 v98, v98, v99
	s_cbranch_execz .LBB46_8
	s_branch .LBB46_9
.LBB46_7:
                                        ; implicit-def: $vgpr98
.LBB46_8:
	ds_read_b32 v98, v96
.LBB46_9:
	v_mov_b32_e32 v99, 0
	ds_read_b32 v99, v99 offset:180
	s_waitcnt lgkmcnt(0)
	v_mul_f32_e32 v98, v98, v99
	buffer_store_dword v98, off, s[0:3], 0 offset:180
.LBB46_10:
	s_or_b64 exec, exec, s[6:7]
	buffer_load_dword v98, off, s[0:3], 0 offset:176
	s_or_b32 s14, 0, 4
	s_or_b32 s15, 0, 8
	;; [unrolled: 1-line block ×3, first 2 shown]
	s_mov_b32 s17, 16
	s_mov_b32 s18, 20
	;; [unrolled: 1-line block ×15, first 2 shown]
	v_cmp_lt_u32_e64 s[6:7], 44, v0
	s_waitcnt vmcnt(0)
	ds_write_b32 v96, v98
	s_waitcnt lgkmcnt(0)
	; wave barrier
	s_and_saveexec_b64 s[8:9], s[6:7]
	s_cbranch_execz .LBB46_16
; %bb.11:
	s_andn2_b64 vcc, exec, s[10:11]
	s_cbranch_vccnz .LBB46_13
; %bb.12:
	buffer_load_dword v98, v97, s[0:3], 0 offen
	ds_read_b32 v99, v96
	s_waitcnt vmcnt(0) lgkmcnt(0)
	v_mul_f32_e32 v98, v98, v99
	s_cbranch_execz .LBB46_14
	s_branch .LBB46_15
.LBB46_13:
                                        ; implicit-def: $vgpr98
.LBB46_14:
	ds_read_b32 v98, v96
.LBB46_15:
	buffer_load_dword v101, off, s[0:3], 0 offset:180
	v_mov_b32_e32 v99, 0
	ds_read2_b32 v[99:100], v99 offset0:44 offset1:93
	s_waitcnt vmcnt(0) lgkmcnt(0)
	v_fma_f32 v100, v101, v100, v98
	v_cndmask_b32_e64 v98, v98, v100, s[4:5]
	v_mul_f32_e32 v98, v98, v99
	buffer_store_dword v98, off, s[0:3], 0 offset:176
.LBB46_16:
	s_or_b64 exec, exec, s[8:9]
	buffer_load_dword v98, off, s[0:3], 0 offset:172
	v_cmp_lt_u32_e64 s[4:5], 43, v0
	s_waitcnt vmcnt(0)
	ds_write_b32 v96, v98
	s_waitcnt lgkmcnt(0)
	; wave barrier
	s_and_saveexec_b64 s[8:9], s[4:5]
	s_cbranch_execz .LBB46_26
; %bb.17:
	s_andn2_b64 vcc, exec, s[10:11]
	s_cbranch_vccnz .LBB46_19
; %bb.18:
	buffer_load_dword v98, v97, s[0:3], 0 offen
	ds_read_b32 v99, v96
	s_waitcnt vmcnt(0) lgkmcnt(0)
	v_mul_f32_e32 v98, v98, v99
	s_cbranch_execz .LBB46_20
	s_branch .LBB46_21
.LBB46_19:
                                        ; implicit-def: $vgpr98
.LBB46_20:
	ds_read_b32 v98, v96
.LBB46_21:
	s_and_saveexec_b64 s[12:13], s[6:7]
	s_cbranch_execz .LBB46_25
; %bb.22:
	v_subrev_u32_e32 v99, 44, v0
	s_movk_i32 s59, 0x170
	s_mov_b64 s[6:7], 0
.LBB46_23:                              ; =>This Inner Loop Header: Depth=1
	v_mov_b32_e32 v100, s58
	buffer_load_dword v100, v100, s[0:3], 0 offen
	v_mov_b32_e32 v101, s59
	ds_read_b32 v101, v101
	v_add_u32_e32 v99, -1, v99
	s_add_i32 s59, s59, 4
	s_add_i32 s58, s58, 4
	v_cmp_eq_u32_e32 vcc, 0, v99
	s_or_b64 s[6:7], vcc, s[6:7]
	s_waitcnt vmcnt(0) lgkmcnt(0)
	v_fmac_f32_e32 v98, v100, v101
	s_andn2_b64 exec, exec, s[6:7]
	s_cbranch_execnz .LBB46_23
; %bb.24:
	s_or_b64 exec, exec, s[6:7]
.LBB46_25:
	s_or_b64 exec, exec, s[12:13]
	v_mov_b32_e32 v99, 0
	ds_read_b32 v99, v99 offset:172
	s_waitcnt lgkmcnt(0)
	v_mul_f32_e32 v98, v98, v99
	buffer_store_dword v98, off, s[0:3], 0 offset:172
.LBB46_26:
	s_or_b64 exec, exec, s[8:9]
	buffer_load_dword v98, off, s[0:3], 0 offset:168
	v_cmp_lt_u32_e64 s[6:7], 42, v0
	s_waitcnt vmcnt(0)
	ds_write_b32 v96, v98
	s_waitcnt lgkmcnt(0)
	; wave barrier
	s_and_saveexec_b64 s[8:9], s[6:7]
	s_cbranch_execz .LBB46_36
; %bb.27:
	s_andn2_b64 vcc, exec, s[10:11]
	s_cbranch_vccnz .LBB46_29
; %bb.28:
	buffer_load_dword v98, v97, s[0:3], 0 offen
	ds_read_b32 v99, v96
	s_waitcnt vmcnt(0) lgkmcnt(0)
	v_mul_f32_e32 v98, v98, v99
	s_cbranch_execz .LBB46_30
	s_branch .LBB46_31
.LBB46_29:
                                        ; implicit-def: $vgpr98
.LBB46_30:
	ds_read_b32 v98, v96
.LBB46_31:
	s_and_saveexec_b64 s[12:13], s[4:5]
	s_cbranch_execz .LBB46_35
; %bb.32:
	v_subrev_u32_e32 v99, 43, v0
	s_movk_i32 s58, 0x16c
	s_mov_b64 s[4:5], 0
.LBB46_33:                              ; =>This Inner Loop Header: Depth=1
	v_mov_b32_e32 v100, s57
	buffer_load_dword v100, v100, s[0:3], 0 offen
	v_mov_b32_e32 v101, s58
	ds_read_b32 v101, v101
	v_add_u32_e32 v99, -1, v99
	s_add_i32 s58, s58, 4
	s_add_i32 s57, s57, 4
	v_cmp_eq_u32_e32 vcc, 0, v99
	s_or_b64 s[4:5], vcc, s[4:5]
	s_waitcnt vmcnt(0) lgkmcnt(0)
	v_fmac_f32_e32 v98, v100, v101
	s_andn2_b64 exec, exec, s[4:5]
	s_cbranch_execnz .LBB46_33
; %bb.34:
	s_or_b64 exec, exec, s[4:5]
.LBB46_35:
	s_or_b64 exec, exec, s[12:13]
	v_mov_b32_e32 v99, 0
	ds_read_b32 v99, v99 offset:168
	s_waitcnt lgkmcnt(0)
	v_mul_f32_e32 v98, v98, v99
	buffer_store_dword v98, off, s[0:3], 0 offset:168
.LBB46_36:
	;; [unrolled: 54-line block ×8, first 2 shown]
	s_or_b64 exec, exec, s[8:9]
	buffer_load_dword v98, off, s[0:3], 0 offset:140
	v_cmp_lt_u32_e64 s[4:5], 35, v0
	s_waitcnt vmcnt(0)
	ds_write_b32 v96, v98
	s_waitcnt lgkmcnt(0)
	; wave barrier
	s_and_saveexec_b64 s[8:9], s[4:5]
	s_cbranch_execz .LBB46_106
; %bb.97:
	s_andn2_b64 vcc, exec, s[10:11]
	s_cbranch_vccnz .LBB46_99
; %bb.98:
	buffer_load_dword v98, v97, s[0:3], 0 offen
	ds_read_b32 v99, v96
	s_waitcnt vmcnt(0) lgkmcnt(0)
	v_mul_f32_e32 v98, v98, v99
	s_cbranch_execz .LBB46_100
	s_branch .LBB46_101
.LBB46_99:
                                        ; implicit-def: $vgpr98
.LBB46_100:
	ds_read_b32 v98, v96
.LBB46_101:
	s_and_saveexec_b64 s[12:13], s[6:7]
	s_cbranch_execz .LBB46_105
; %bb.102:
	v_subrev_u32_e32 v99, 36, v0
	s_movk_i32 s51, 0x150
	s_mov_b64 s[6:7], 0
.LBB46_103:                             ; =>This Inner Loop Header: Depth=1
	v_mov_b32_e32 v100, s50
	buffer_load_dword v100, v100, s[0:3], 0 offen
	v_mov_b32_e32 v101, s51
	ds_read_b32 v101, v101
	v_add_u32_e32 v99, -1, v99
	s_add_i32 s51, s51, 4
	s_add_i32 s50, s50, 4
	v_cmp_eq_u32_e32 vcc, 0, v99
	s_or_b64 s[6:7], vcc, s[6:7]
	s_waitcnt vmcnt(0) lgkmcnt(0)
	v_fmac_f32_e32 v98, v100, v101
	s_andn2_b64 exec, exec, s[6:7]
	s_cbranch_execnz .LBB46_103
; %bb.104:
	s_or_b64 exec, exec, s[6:7]
.LBB46_105:
	s_or_b64 exec, exec, s[12:13]
	v_mov_b32_e32 v99, 0
	ds_read_b32 v99, v99 offset:140
	s_waitcnt lgkmcnt(0)
	v_mul_f32_e32 v98, v98, v99
	buffer_store_dword v98, off, s[0:3], 0 offset:140
.LBB46_106:
	s_or_b64 exec, exec, s[8:9]
	buffer_load_dword v98, off, s[0:3], 0 offset:136
	v_cmp_lt_u32_e64 s[6:7], 34, v0
	s_waitcnt vmcnt(0)
	ds_write_b32 v96, v98
	s_waitcnt lgkmcnt(0)
	; wave barrier
	s_and_saveexec_b64 s[8:9], s[6:7]
	s_cbranch_execz .LBB46_116
; %bb.107:
	s_andn2_b64 vcc, exec, s[10:11]
	s_cbranch_vccnz .LBB46_109
; %bb.108:
	buffer_load_dword v98, v97, s[0:3], 0 offen
	ds_read_b32 v99, v96
	s_waitcnt vmcnt(0) lgkmcnt(0)
	v_mul_f32_e32 v98, v98, v99
	s_cbranch_execz .LBB46_110
	s_branch .LBB46_111
.LBB46_109:
                                        ; implicit-def: $vgpr98
.LBB46_110:
	ds_read_b32 v98, v96
.LBB46_111:
	s_and_saveexec_b64 s[12:13], s[4:5]
	s_cbranch_execz .LBB46_115
; %bb.112:
	v_subrev_u32_e32 v99, 35, v0
	s_movk_i32 s50, 0x14c
	s_mov_b64 s[4:5], 0
.LBB46_113:                             ; =>This Inner Loop Header: Depth=1
	v_mov_b32_e32 v100, s49
	buffer_load_dword v100, v100, s[0:3], 0 offen
	v_mov_b32_e32 v101, s50
	ds_read_b32 v101, v101
	v_add_u32_e32 v99, -1, v99
	s_add_i32 s50, s50, 4
	s_add_i32 s49, s49, 4
	v_cmp_eq_u32_e32 vcc, 0, v99
	s_or_b64 s[4:5], vcc, s[4:5]
	s_waitcnt vmcnt(0) lgkmcnt(0)
	v_fmac_f32_e32 v98, v100, v101
	s_andn2_b64 exec, exec, s[4:5]
	s_cbranch_execnz .LBB46_113
; %bb.114:
	s_or_b64 exec, exec, s[4:5]
.LBB46_115:
	s_or_b64 exec, exec, s[12:13]
	v_mov_b32_e32 v99, 0
	ds_read_b32 v99, v99 offset:136
	s_waitcnt lgkmcnt(0)
	v_mul_f32_e32 v98, v98, v99
	buffer_store_dword v98, off, s[0:3], 0 offset:136
.LBB46_116:
	;; [unrolled: 54-line block ×20, first 2 shown]
	s_or_b64 exec, exec, s[8:9]
	buffer_load_dword v98, off, s[0:3], 0 offset:60
	v_cmp_lt_u32_e64 s[4:5], 15, v0
	s_waitcnt vmcnt(0)
	ds_write_b32 v96, v98
	s_waitcnt lgkmcnt(0)
	; wave barrier
	s_and_saveexec_b64 s[8:9], s[4:5]
	s_cbranch_execz .LBB46_306
; %bb.297:
	s_andn2_b64 vcc, exec, s[10:11]
	s_cbranch_vccnz .LBB46_299
; %bb.298:
	buffer_load_dword v98, v97, s[0:3], 0 offen
	ds_read_b32 v99, v96
	s_waitcnt vmcnt(0) lgkmcnt(0)
	v_mul_f32_e32 v98, v98, v99
	s_cbranch_execz .LBB46_300
	s_branch .LBB46_301
.LBB46_299:
                                        ; implicit-def: $vgpr98
.LBB46_300:
	ds_read_b32 v98, v96
.LBB46_301:
	s_and_saveexec_b64 s[12:13], s[6:7]
	s_cbranch_execz .LBB46_305
; %bb.302:
	v_add_u32_e32 v99, -16, v0
	s_movk_i32 s30, 0x100
	s_mov_b64 s[6:7], 0
.LBB46_303:                             ; =>This Inner Loop Header: Depth=1
	v_mov_b32_e32 v100, s29
	buffer_load_dword v100, v100, s[0:3], 0 offen
	v_mov_b32_e32 v101, s30
	ds_read_b32 v101, v101
	v_add_u32_e32 v99, -1, v99
	s_add_i32 s30, s30, 4
	s_add_i32 s29, s29, 4
	v_cmp_eq_u32_e32 vcc, 0, v99
	s_or_b64 s[6:7], vcc, s[6:7]
	s_waitcnt vmcnt(0) lgkmcnt(0)
	v_fmac_f32_e32 v98, v100, v101
	s_andn2_b64 exec, exec, s[6:7]
	s_cbranch_execnz .LBB46_303
; %bb.304:
	s_or_b64 exec, exec, s[6:7]
.LBB46_305:
	s_or_b64 exec, exec, s[12:13]
	v_mov_b32_e32 v99, 0
	ds_read_b32 v99, v99 offset:60
	s_waitcnt lgkmcnt(0)
	v_mul_f32_e32 v98, v98, v99
	buffer_store_dword v98, off, s[0:3], 0 offset:60
.LBB46_306:
	s_or_b64 exec, exec, s[8:9]
	buffer_load_dword v98, off, s[0:3], 0 offset:56
	v_cmp_lt_u32_e64 s[6:7], 14, v0
	s_waitcnt vmcnt(0)
	ds_write_b32 v96, v98
	s_waitcnt lgkmcnt(0)
	; wave barrier
	s_and_saveexec_b64 s[8:9], s[6:7]
	s_cbranch_execz .LBB46_316
; %bb.307:
	s_andn2_b64 vcc, exec, s[10:11]
	s_cbranch_vccnz .LBB46_309
; %bb.308:
	buffer_load_dword v98, v97, s[0:3], 0 offen
	ds_read_b32 v99, v96
	s_waitcnt vmcnt(0) lgkmcnt(0)
	v_mul_f32_e32 v98, v98, v99
	s_cbranch_execz .LBB46_310
	s_branch .LBB46_311
.LBB46_309:
                                        ; implicit-def: $vgpr98
.LBB46_310:
	ds_read_b32 v98, v96
.LBB46_311:
	s_and_saveexec_b64 s[12:13], s[4:5]
	s_cbranch_execz .LBB46_315
; %bb.312:
	v_add_u32_e32 v99, -15, v0
	s_movk_i32 s29, 0xfc
	s_mov_b64 s[4:5], 0
.LBB46_313:                             ; =>This Inner Loop Header: Depth=1
	v_mov_b32_e32 v100, s28
	buffer_load_dword v100, v100, s[0:3], 0 offen
	v_mov_b32_e32 v101, s29
	ds_read_b32 v101, v101
	v_add_u32_e32 v99, -1, v99
	s_add_i32 s29, s29, 4
	s_add_i32 s28, s28, 4
	v_cmp_eq_u32_e32 vcc, 0, v99
	s_or_b64 s[4:5], vcc, s[4:5]
	s_waitcnt vmcnt(0) lgkmcnt(0)
	v_fmac_f32_e32 v98, v100, v101
	s_andn2_b64 exec, exec, s[4:5]
	s_cbranch_execnz .LBB46_313
; %bb.314:
	s_or_b64 exec, exec, s[4:5]
.LBB46_315:
	s_or_b64 exec, exec, s[12:13]
	v_mov_b32_e32 v99, 0
	ds_read_b32 v99, v99 offset:56
	s_waitcnt lgkmcnt(0)
	v_mul_f32_e32 v98, v98, v99
	buffer_store_dword v98, off, s[0:3], 0 offset:56
.LBB46_316:
	;; [unrolled: 54-line block ×15, first 2 shown]
	s_or_b64 exec, exec, s[8:9]
	buffer_load_dword v98, off, s[0:3], 0
	v_cmp_ne_u32_e32 vcc, 0, v0
	s_waitcnt vmcnt(0)
	ds_write_b32 v96, v98
	s_waitcnt lgkmcnt(0)
	; wave barrier
	s_and_saveexec_b64 s[6:7], vcc
	s_cbranch_execz .LBB46_456
; %bb.447:
	s_andn2_b64 vcc, exec, s[10:11]
	s_cbranch_vccnz .LBB46_449
; %bb.448:
	buffer_load_dword v98, v97, s[0:3], 0 offen
	ds_read_b32 v99, v96
	s_waitcnt vmcnt(0) lgkmcnt(0)
	v_mul_f32_e32 v98, v98, v99
	s_cbranch_execz .LBB46_450
	s_branch .LBB46_451
.LBB46_449:
                                        ; implicit-def: $vgpr98
.LBB46_450:
	ds_read_b32 v98, v96
.LBB46_451:
	s_and_saveexec_b64 s[8:9], s[4:5]
	s_cbranch_execz .LBB46_455
; %bb.452:
	v_add_u32_e32 v99, -1, v0
	s_movk_i32 s12, 0xc4
	s_mov_b64 s[4:5], 0
.LBB46_453:                             ; =>This Inner Loop Header: Depth=1
	v_mov_b32_e32 v100, s14
	buffer_load_dword v100, v100, s[0:3], 0 offen
	v_mov_b32_e32 v101, s12
	ds_read_b32 v101, v101
	v_add_u32_e32 v99, -1, v99
	s_add_i32 s12, s12, 4
	s_add_i32 s14, s14, 4
	v_cmp_eq_u32_e32 vcc, 0, v99
	s_or_b64 s[4:5], vcc, s[4:5]
	s_waitcnt vmcnt(0) lgkmcnt(0)
	v_fmac_f32_e32 v98, v100, v101
	s_andn2_b64 exec, exec, s[4:5]
	s_cbranch_execnz .LBB46_453
; %bb.454:
	s_or_b64 exec, exec, s[4:5]
.LBB46_455:
	s_or_b64 exec, exec, s[8:9]
	v_mov_b32_e32 v99, 0
	ds_read_b32 v99, v99
	s_waitcnt lgkmcnt(0)
	v_mul_f32_e32 v98, v98, v99
	buffer_store_dword v98, off, s[0:3], 0
.LBB46_456:
	s_or_b64 exec, exec, s[6:7]
	s_mov_b64 s[4:5], 0
.LBB46_457:
	s_and_b64 vcc, exec, s[4:5]
	s_cbranch_vccz .LBB46_909
; %bb.458:
	buffer_load_dword v98, off, s[0:3], 0 offset:4
	v_cmp_eq_u32_e64 s[6:7], 0, v0
	s_waitcnt vmcnt(0)
	ds_write_b32 v96, v98
	s_waitcnt lgkmcnt(0)
	; wave barrier
	s_and_saveexec_b64 s[4:5], s[6:7]
	s_cbranch_execz .LBB46_464
; %bb.459:
	s_and_b64 vcc, exec, s[10:11]
	s_cbranch_vccz .LBB46_461
; %bb.460:
	buffer_load_dword v98, v97, s[0:3], 0 offen
	ds_read_b32 v99, v96
	s_waitcnt vmcnt(0) lgkmcnt(0)
	v_mul_f32_e32 v98, v98, v99
	s_cbranch_execz .LBB46_462
	s_branch .LBB46_463
.LBB46_461:
                                        ; implicit-def: $vgpr98
.LBB46_462:
	ds_read_b32 v98, v96
.LBB46_463:
	v_mov_b32_e32 v99, 0
	ds_read_b32 v99, v99 offset:4
	s_waitcnt lgkmcnt(0)
	v_mul_f32_e32 v98, v98, v99
	buffer_store_dword v98, off, s[0:3], 0 offset:4
.LBB46_464:
	s_or_b64 exec, exec, s[4:5]
	buffer_load_dword v98, off, s[0:3], 0 offset:8
	v_cndmask_b32_e64 v99, 0, 1, s[10:11]
	v_cmp_gt_u32_e32 vcc, 2, v0
	v_cmp_ne_u32_e64 s[4:5], 1, v99
	s_waitcnt vmcnt(0)
	ds_write_b32 v96, v98
	s_waitcnt lgkmcnt(0)
	; wave barrier
	s_and_saveexec_b64 s[8:9], vcc
	s_cbranch_execz .LBB46_470
; %bb.465:
	s_and_b64 vcc, exec, s[4:5]
	s_cbranch_vccnz .LBB46_467
; %bb.466:
	buffer_load_dword v98, v97, s[0:3], 0 offen
	ds_read_b32 v99, v96
	s_waitcnt vmcnt(0) lgkmcnt(0)
	v_mul_f32_e32 v98, v98, v99
	s_cbranch_execz .LBB46_468
	s_branch .LBB46_469
.LBB46_467:
                                        ; implicit-def: $vgpr98
.LBB46_468:
	ds_read_b32 v98, v96
.LBB46_469:
	buffer_load_dword v101, off, s[0:3], 0 offset:4
	v_mov_b32_e32 v99, 0
	ds_read2_b32 v[99:100], v99 offset0:2 offset1:49
	s_waitcnt vmcnt(0) lgkmcnt(0)
	v_fma_f32 v100, v101, v100, v98
	v_cndmask_b32_e64 v98, v98, v100, s[6:7]
	v_mul_f32_e32 v98, v98, v99
	buffer_store_dword v98, off, s[0:3], 0 offset:8
.LBB46_470:
	s_or_b64 exec, exec, s[8:9]
	buffer_load_dword v98, off, s[0:3], 0 offset:12
	v_cmp_gt_u32_e32 vcc, 3, v0
	s_waitcnt vmcnt(0)
	ds_write_b32 v96, v98
	s_waitcnt lgkmcnt(0)
	; wave barrier
	s_and_saveexec_b64 s[8:9], vcc
	s_cbranch_execz .LBB46_478
; %bb.471:
	s_and_b64 vcc, exec, s[4:5]
	s_cbranch_vccnz .LBB46_473
; %bb.472:
	buffer_load_dword v98, v97, s[0:3], 0 offen
	ds_read_b32 v99, v96
	s_waitcnt vmcnt(0) lgkmcnt(0)
	v_mul_f32_e32 v98, v98, v99
	s_cbranch_execz .LBB46_474
	s_branch .LBB46_475
.LBB46_473:
                                        ; implicit-def: $vgpr98
.LBB46_474:
	ds_read_b32 v98, v96
.LBB46_475:
	v_cmp_ne_u32_e32 vcc, 2, v0
	s_and_saveexec_b64 s[10:11], vcc
	s_cbranch_execz .LBB46_477
; %bb.476:
	buffer_load_dword v99, v97, s[0:3], 0 offen offset:4
	buffer_load_dword v100, off, s[0:3], 0 offset:8
	v_mov_b32_e32 v101, 0
	ds_read_b32 v102, v96 offset:4
	ds_read_b32 v101, v101 offset:200
	s_waitcnt vmcnt(1) lgkmcnt(1)
	v_fmac_f32_e32 v98, v99, v102
	s_waitcnt vmcnt(0) lgkmcnt(0)
	v_fma_f32 v99, v100, v101, v98
	v_cndmask_b32_e64 v98, v98, v99, s[6:7]
.LBB46_477:
	s_or_b64 exec, exec, s[10:11]
	v_mov_b32_e32 v99, 0
	ds_read_b32 v99, v99 offset:12
	s_waitcnt lgkmcnt(0)
	v_mul_f32_e32 v98, v98, v99
	buffer_store_dword v98, off, s[0:3], 0 offset:12
.LBB46_478:
	s_or_b64 exec, exec, s[8:9]
	buffer_load_dword v98, off, s[0:3], 0 offset:16
	v_cmp_gt_u32_e32 vcc, 4, v0
	s_waitcnt vmcnt(0)
	ds_write_b32 v96, v98
	s_waitcnt lgkmcnt(0)
	; wave barrier
	s_and_saveexec_b64 s[6:7], vcc
	s_cbranch_execz .LBB46_488
; %bb.479:
	s_and_b64 vcc, exec, s[4:5]
	s_cbranch_vccnz .LBB46_481
; %bb.480:
	buffer_load_dword v98, v97, s[0:3], 0 offen
	ds_read_b32 v99, v96
	s_waitcnt vmcnt(0) lgkmcnt(0)
	v_mul_f32_e32 v98, v98, v99
	s_cbranch_execz .LBB46_482
	s_branch .LBB46_483
.LBB46_481:
                                        ; implicit-def: $vgpr98
.LBB46_482:
	ds_read_b32 v98, v96
.LBB46_483:
	v_cmp_ne_u32_e32 vcc, 3, v0
	s_and_saveexec_b64 s[8:9], vcc
	s_cbranch_execz .LBB46_487
; %bb.484:
	s_mov_b32 s10, 0
	v_add_u32_e32 v99, 0xc4, v95
	v_add3_u32 v100, v95, s10, 4
	s_mov_b64 s[10:11], 0
	v_mov_b32_e32 v101, v0
.LBB46_485:                             ; =>This Inner Loop Header: Depth=1
	buffer_load_dword v102, v100, s[0:3], 0 offen
	ds_read_b32 v103, v99
	v_add_u32_e32 v101, 1, v101
	v_cmp_lt_u32_e32 vcc, 2, v101
	v_add_u32_e32 v99, 4, v99
	v_add_u32_e32 v100, 4, v100
	s_or_b64 s[10:11], vcc, s[10:11]
	s_waitcnt vmcnt(0) lgkmcnt(0)
	v_fmac_f32_e32 v98, v102, v103
	s_andn2_b64 exec, exec, s[10:11]
	s_cbranch_execnz .LBB46_485
; %bb.486:
	s_or_b64 exec, exec, s[10:11]
.LBB46_487:
	s_or_b64 exec, exec, s[8:9]
	v_mov_b32_e32 v99, 0
	ds_read_b32 v99, v99 offset:16
	s_waitcnt lgkmcnt(0)
	v_mul_f32_e32 v98, v98, v99
	buffer_store_dword v98, off, s[0:3], 0 offset:16
.LBB46_488:
	s_or_b64 exec, exec, s[6:7]
	buffer_load_dword v98, off, s[0:3], 0 offset:20
	v_cmp_gt_u32_e32 vcc, 5, v0
	s_waitcnt vmcnt(0)
	ds_write_b32 v96, v98
	s_waitcnt lgkmcnt(0)
	; wave barrier
	s_and_saveexec_b64 s[6:7], vcc
	s_cbranch_execz .LBB46_498
; %bb.489:
	s_and_b64 vcc, exec, s[4:5]
	s_cbranch_vccnz .LBB46_491
; %bb.490:
	buffer_load_dword v98, v97, s[0:3], 0 offen
	ds_read_b32 v99, v96
	s_waitcnt vmcnt(0) lgkmcnt(0)
	v_mul_f32_e32 v98, v98, v99
	s_cbranch_execz .LBB46_492
	s_branch .LBB46_493
.LBB46_491:
                                        ; implicit-def: $vgpr98
.LBB46_492:
	ds_read_b32 v98, v96
.LBB46_493:
	v_cmp_ne_u32_e32 vcc, 4, v0
	s_and_saveexec_b64 s[8:9], vcc
	s_cbranch_execz .LBB46_497
; %bb.494:
	s_mov_b32 s10, 0
	v_add_u32_e32 v99, 0xc4, v95
	v_add3_u32 v100, v95, s10, 4
	s_mov_b64 s[10:11], 0
	v_mov_b32_e32 v101, v0
.LBB46_495:                             ; =>This Inner Loop Header: Depth=1
	buffer_load_dword v102, v100, s[0:3], 0 offen
	ds_read_b32 v103, v99
	v_add_u32_e32 v101, 1, v101
	v_cmp_lt_u32_e32 vcc, 3, v101
	v_add_u32_e32 v99, 4, v99
	v_add_u32_e32 v100, 4, v100
	s_or_b64 s[10:11], vcc, s[10:11]
	s_waitcnt vmcnt(0) lgkmcnt(0)
	v_fmac_f32_e32 v98, v102, v103
	s_andn2_b64 exec, exec, s[10:11]
	s_cbranch_execnz .LBB46_495
; %bb.496:
	s_or_b64 exec, exec, s[10:11]
.LBB46_497:
	s_or_b64 exec, exec, s[8:9]
	v_mov_b32_e32 v99, 0
	ds_read_b32 v99, v99 offset:20
	s_waitcnt lgkmcnt(0)
	v_mul_f32_e32 v98, v98, v99
	buffer_store_dword v98, off, s[0:3], 0 offset:20
.LBB46_498:
	;; [unrolled: 55-line block ×41, first 2 shown]
	s_or_b64 exec, exec, s[6:7]
	buffer_load_dword v98, off, s[0:3], 0 offset:180
	v_cmp_gt_u32_e64 s[6:7], 45, v0
	s_waitcnt vmcnt(0)
	ds_write_b32 v96, v98
	s_waitcnt lgkmcnt(0)
	; wave barrier
	s_and_saveexec_b64 s[8:9], s[6:7]
	s_cbranch_execz .LBB46_898
; %bb.889:
	s_and_b64 vcc, exec, s[4:5]
	s_cbranch_vccnz .LBB46_891
; %bb.890:
	buffer_load_dword v98, v97, s[0:3], 0 offen
	ds_read_b32 v99, v96
	s_waitcnt vmcnt(0) lgkmcnt(0)
	v_mul_f32_e32 v98, v98, v99
	s_cbranch_execz .LBB46_892
	s_branch .LBB46_893
.LBB46_891:
                                        ; implicit-def: $vgpr98
.LBB46_892:
	ds_read_b32 v98, v96
.LBB46_893:
	v_cmp_ne_u32_e32 vcc, 44, v0
	s_and_saveexec_b64 s[10:11], vcc
	s_cbranch_execz .LBB46_897
; %bb.894:
	s_mov_b32 s12, 0
	v_add_u32_e32 v99, 0xc4, v95
	v_add3_u32 v100, v95, s12, 4
	s_mov_b64 s[12:13], 0
	v_mov_b32_e32 v101, v0
.LBB46_895:                             ; =>This Inner Loop Header: Depth=1
	buffer_load_dword v102, v100, s[0:3], 0 offen
	ds_read_b32 v103, v99
	v_add_u32_e32 v101, 1, v101
	v_cmp_lt_u32_e32 vcc, 43, v101
	v_add_u32_e32 v99, 4, v99
	v_add_u32_e32 v100, 4, v100
	s_or_b64 s[12:13], vcc, s[12:13]
	s_waitcnt vmcnt(0) lgkmcnt(0)
	v_fmac_f32_e32 v98, v102, v103
	s_andn2_b64 exec, exec, s[12:13]
	s_cbranch_execnz .LBB46_895
; %bb.896:
	s_or_b64 exec, exec, s[12:13]
.LBB46_897:
	s_or_b64 exec, exec, s[10:11]
	v_mov_b32_e32 v99, 0
	ds_read_b32 v99, v99 offset:180
	s_waitcnt lgkmcnt(0)
	v_mul_f32_e32 v98, v98, v99
	buffer_store_dword v98, off, s[0:3], 0 offset:180
.LBB46_898:
	s_or_b64 exec, exec, s[8:9]
	buffer_load_dword v98, off, s[0:3], 0 offset:184
	v_cmp_ne_u32_e32 vcc, 46, v0
	s_waitcnt vmcnt(0)
	ds_write_b32 v96, v98
	s_waitcnt lgkmcnt(0)
	; wave barrier
	s_and_saveexec_b64 s[8:9], vcc
	s_cbranch_execz .LBB46_908
; %bb.899:
	s_and_b64 vcc, exec, s[4:5]
	s_cbranch_vccnz .LBB46_901
; %bb.900:
	buffer_load_dword v97, v97, s[0:3], 0 offen
	ds_read_b32 v98, v96
	s_waitcnt vmcnt(0) lgkmcnt(0)
	v_mul_f32_e32 v97, v97, v98
	s_cbranch_execz .LBB46_902
	s_branch .LBB46_903
.LBB46_901:
                                        ; implicit-def: $vgpr97
.LBB46_902:
	ds_read_b32 v97, v96
.LBB46_903:
	s_and_saveexec_b64 s[4:5], s[6:7]
	s_cbranch_execz .LBB46_907
; %bb.904:
	s_mov_b32 s6, 0
	v_add_u32_e32 v96, 0xc4, v95
	v_add3_u32 v95, v95, s6, 4
	s_mov_b64 s[6:7], 0
.LBB46_905:                             ; =>This Inner Loop Header: Depth=1
	buffer_load_dword v98, v95, s[0:3], 0 offen
	ds_read_b32 v99, v96
	v_add_u32_e32 v0, 1, v0
	v_cmp_lt_u32_e32 vcc, 44, v0
	v_add_u32_e32 v96, 4, v96
	v_add_u32_e32 v95, 4, v95
	s_or_b64 s[6:7], vcc, s[6:7]
	s_waitcnt vmcnt(0) lgkmcnt(0)
	v_fmac_f32_e32 v97, v98, v99
	s_andn2_b64 exec, exec, s[6:7]
	s_cbranch_execnz .LBB46_905
; %bb.906:
	s_or_b64 exec, exec, s[6:7]
.LBB46_907:
	s_or_b64 exec, exec, s[4:5]
	v_mov_b32_e32 v0, 0
	ds_read_b32 v0, v0 offset:184
	s_waitcnt lgkmcnt(0)
	v_mul_f32_e32 v0, v97, v0
	buffer_store_dword v0, off, s[0:3], 0 offset:184
.LBB46_908:
	s_or_b64 exec, exec, s[8:9]
.LBB46_909:
	buffer_load_dword v0, off, s[0:3], 0
	buffer_load_dword v95, off, s[0:3], 0 offset:4
	buffer_load_dword v96, off, s[0:3], 0 offset:8
	buffer_load_dword v97, off, s[0:3], 0 offset:12
	buffer_load_dword v98, off, s[0:3], 0 offset:16
	buffer_load_dword v99, off, s[0:3], 0 offset:20
	buffer_load_dword v100, off, s[0:3], 0 offset:24
	buffer_load_dword v101, off, s[0:3], 0 offset:28
	buffer_load_dword v102, off, s[0:3], 0 offset:32
	buffer_load_dword v103, off, s[0:3], 0 offset:36
	buffer_load_dword v104, off, s[0:3], 0 offset:40
	buffer_load_dword v105, off, s[0:3], 0 offset:44
	buffer_load_dword v106, off, s[0:3], 0 offset:48
	buffer_load_dword v107, off, s[0:3], 0 offset:52
	buffer_load_dword v108, off, s[0:3], 0 offset:56
	buffer_load_dword v109, off, s[0:3], 0 offset:60
	buffer_load_dword v110, off, s[0:3], 0 offset:64
	buffer_load_dword v111, off, s[0:3], 0 offset:68
	buffer_load_dword v112, off, s[0:3], 0 offset:72
	buffer_load_dword v113, off, s[0:3], 0 offset:76
	buffer_load_dword v114, off, s[0:3], 0 offset:80
	buffer_load_dword v115, off, s[0:3], 0 offset:84
	buffer_load_dword v116, off, s[0:3], 0 offset:88
	buffer_load_dword v117, off, s[0:3], 0 offset:92
	s_waitcnt vmcnt(23)
	global_store_dword v[81:82], v0, off
	buffer_load_dword v0, off, s[0:3], 0 offset:96
	s_nop 0
	buffer_load_dword v81, off, s[0:3], 0 offset:100
	buffer_load_dword v82, off, s[0:3], 0 offset:104
	;; [unrolled: 1-line block ×7, first 2 shown]
	s_waitcnt vmcnt(31)
	global_store_dword v[77:78], v95, off
	s_waitcnt vmcnt(31)
	global_store_dword v[1:2], v96, off
	;; [unrolled: 2-line block ×3, first 2 shown]
	buffer_load_dword v1, off, s[0:3], 0 offset:128
	buffer_load_dword v2, off, s[0:3], 0 offset:132
	s_nop 0
	buffer_load_dword v5, off, s[0:3], 0 offset:136
	buffer_load_dword v6, off, s[0:3], 0 offset:140
	;; [unrolled: 1-line block ×6, first 2 shown]
	s_waitcnt vmcnt(39)
	global_store_dword v[3:4], v98, off
	s_waitcnt vmcnt(39)
	global_store_dword v[9:10], v99, off
	buffer_load_dword v3, off, s[0:3], 0 offset:160
	buffer_load_dword v4, off, s[0:3], 0 offset:164
	s_nop 0
	buffer_load_dword v9, off, s[0:3], 0 offset:168
	buffer_load_dword v10, off, s[0:3], 0 offset:172
	;; [unrolled: 1-line block ×5, first 2 shown]
	s_waitcnt vmcnt(46)
	global_store_dword v[7:8], v100, off
	s_waitcnt vmcnt(46)
	global_store_dword v[11:12], v101, off
	;; [unrolled: 2-line block ×41, first 2 shown]
.LBB46_910:
	s_endpgm
	.section	.rodata,"a",@progbits
	.p2align	6, 0x0
	.amdhsa_kernel _ZN9rocsolver6v33100L18trti2_kernel_smallILi47EfPfEEv13rocblas_fill_17rocblas_diagonal_T1_iil
		.amdhsa_group_segment_fixed_size 380
		.amdhsa_private_segment_fixed_size 192
		.amdhsa_kernarg_size 32
		.amdhsa_user_sgpr_count 6
		.amdhsa_user_sgpr_private_segment_buffer 1
		.amdhsa_user_sgpr_dispatch_ptr 0
		.amdhsa_user_sgpr_queue_ptr 0
		.amdhsa_user_sgpr_kernarg_segment_ptr 1
		.amdhsa_user_sgpr_dispatch_id 0
		.amdhsa_user_sgpr_flat_scratch_init 0
		.amdhsa_user_sgpr_private_segment_size 0
		.amdhsa_uses_dynamic_stack 0
		.amdhsa_system_sgpr_private_segment_wavefront_offset 1
		.amdhsa_system_sgpr_workgroup_id_x 1
		.amdhsa_system_sgpr_workgroup_id_y 0
		.amdhsa_system_sgpr_workgroup_id_z 0
		.amdhsa_system_sgpr_workgroup_info 0
		.amdhsa_system_vgpr_workitem_id 0
		.amdhsa_next_free_vgpr 124
		.amdhsa_next_free_sgpr 60
		.amdhsa_reserve_vcc 1
		.amdhsa_reserve_flat_scratch 0
		.amdhsa_float_round_mode_32 0
		.amdhsa_float_round_mode_16_64 0
		.amdhsa_float_denorm_mode_32 3
		.amdhsa_float_denorm_mode_16_64 3
		.amdhsa_dx10_clamp 1
		.amdhsa_ieee_mode 1
		.amdhsa_fp16_overflow 0
		.amdhsa_exception_fp_ieee_invalid_op 0
		.amdhsa_exception_fp_denorm_src 0
		.amdhsa_exception_fp_ieee_div_zero 0
		.amdhsa_exception_fp_ieee_overflow 0
		.amdhsa_exception_fp_ieee_underflow 0
		.amdhsa_exception_fp_ieee_inexact 0
		.amdhsa_exception_int_div_zero 0
	.end_amdhsa_kernel
	.section	.text._ZN9rocsolver6v33100L18trti2_kernel_smallILi47EfPfEEv13rocblas_fill_17rocblas_diagonal_T1_iil,"axG",@progbits,_ZN9rocsolver6v33100L18trti2_kernel_smallILi47EfPfEEv13rocblas_fill_17rocblas_diagonal_T1_iil,comdat
.Lfunc_end46:
	.size	_ZN9rocsolver6v33100L18trti2_kernel_smallILi47EfPfEEv13rocblas_fill_17rocblas_diagonal_T1_iil, .Lfunc_end46-_ZN9rocsolver6v33100L18trti2_kernel_smallILi47EfPfEEv13rocblas_fill_17rocblas_diagonal_T1_iil
                                        ; -- End function
	.set _ZN9rocsolver6v33100L18trti2_kernel_smallILi47EfPfEEv13rocblas_fill_17rocblas_diagonal_T1_iil.num_vgpr, 124
	.set _ZN9rocsolver6v33100L18trti2_kernel_smallILi47EfPfEEv13rocblas_fill_17rocblas_diagonal_T1_iil.num_agpr, 0
	.set _ZN9rocsolver6v33100L18trti2_kernel_smallILi47EfPfEEv13rocblas_fill_17rocblas_diagonal_T1_iil.numbered_sgpr, 60
	.set _ZN9rocsolver6v33100L18trti2_kernel_smallILi47EfPfEEv13rocblas_fill_17rocblas_diagonal_T1_iil.num_named_barrier, 0
	.set _ZN9rocsolver6v33100L18trti2_kernel_smallILi47EfPfEEv13rocblas_fill_17rocblas_diagonal_T1_iil.private_seg_size, 192
	.set _ZN9rocsolver6v33100L18trti2_kernel_smallILi47EfPfEEv13rocblas_fill_17rocblas_diagonal_T1_iil.uses_vcc, 1
	.set _ZN9rocsolver6v33100L18trti2_kernel_smallILi47EfPfEEv13rocblas_fill_17rocblas_diagonal_T1_iil.uses_flat_scratch, 0
	.set _ZN9rocsolver6v33100L18trti2_kernel_smallILi47EfPfEEv13rocblas_fill_17rocblas_diagonal_T1_iil.has_dyn_sized_stack, 0
	.set _ZN9rocsolver6v33100L18trti2_kernel_smallILi47EfPfEEv13rocblas_fill_17rocblas_diagonal_T1_iil.has_recursion, 0
	.set _ZN9rocsolver6v33100L18trti2_kernel_smallILi47EfPfEEv13rocblas_fill_17rocblas_diagonal_T1_iil.has_indirect_call, 0
	.section	.AMDGPU.csdata,"",@progbits
; Kernel info:
; codeLenInByte = 22808
; TotalNumSgprs: 64
; NumVgprs: 124
; ScratchSize: 192
; MemoryBound: 0
; FloatMode: 240
; IeeeMode: 1
; LDSByteSize: 380 bytes/workgroup (compile time only)
; SGPRBlocks: 7
; VGPRBlocks: 30
; NumSGPRsForWavesPerEU: 64
; NumVGPRsForWavesPerEU: 124
; Occupancy: 2
; WaveLimiterHint : 0
; COMPUTE_PGM_RSRC2:SCRATCH_EN: 1
; COMPUTE_PGM_RSRC2:USER_SGPR: 6
; COMPUTE_PGM_RSRC2:TRAP_HANDLER: 0
; COMPUTE_PGM_RSRC2:TGID_X_EN: 1
; COMPUTE_PGM_RSRC2:TGID_Y_EN: 0
; COMPUTE_PGM_RSRC2:TGID_Z_EN: 0
; COMPUTE_PGM_RSRC2:TIDIG_COMP_CNT: 0
	.section	.text._ZN9rocsolver6v33100L18trti2_kernel_smallILi48EfPfEEv13rocblas_fill_17rocblas_diagonal_T1_iil,"axG",@progbits,_ZN9rocsolver6v33100L18trti2_kernel_smallILi48EfPfEEv13rocblas_fill_17rocblas_diagonal_T1_iil,comdat
	.globl	_ZN9rocsolver6v33100L18trti2_kernel_smallILi48EfPfEEv13rocblas_fill_17rocblas_diagonal_T1_iil ; -- Begin function _ZN9rocsolver6v33100L18trti2_kernel_smallILi48EfPfEEv13rocblas_fill_17rocblas_diagonal_T1_iil
	.p2align	8
	.type	_ZN9rocsolver6v33100L18trti2_kernel_smallILi48EfPfEEv13rocblas_fill_17rocblas_diagonal_T1_iil,@function
_ZN9rocsolver6v33100L18trti2_kernel_smallILi48EfPfEEv13rocblas_fill_17rocblas_diagonal_T1_iil: ; @_ZN9rocsolver6v33100L18trti2_kernel_smallILi48EfPfEEv13rocblas_fill_17rocblas_diagonal_T1_iil
; %bb.0:
	s_add_u32 s0, s0, s7
	s_addc_u32 s1, s1, 0
	v_cmp_gt_u32_e32 vcc, 48, v0
	s_and_saveexec_b64 s[8:9], vcc
	s_cbranch_execz .LBB47_930
; %bb.1:
	s_load_dwordx8 s[8:15], s[4:5], 0x0
	s_ashr_i32 s7, s6, 31
	v_lshlrev_b32_e32 v97, 2, v0
	s_waitcnt lgkmcnt(0)
	s_ashr_i32 s5, s12, 31
	s_mov_b32 s4, s12
	s_mul_hi_u32 s12, s14, s6
	s_mul_i32 s7, s14, s7
	s_add_i32 s7, s12, s7
	s_mul_i32 s12, s15, s6
	s_add_i32 s7, s7, s12
	s_mul_i32 s6, s14, s6
	s_lshl_b64 s[6:7], s[6:7], 2
	s_add_u32 s6, s10, s6
	s_addc_u32 s7, s11, s7
	s_lshl_b64 s[4:5], s[4:5], 2
	s_add_u32 s4, s6, s4
	s_addc_u32 s5, s7, s5
	s_add_i32 s6, s13, s13
	v_add_u32_e32 v3, s6, v0
	v_ashrrev_i32_e32 v4, 31, v3
	v_lshlrev_b64 v[1:2], 2, v[3:4]
	v_mov_b32_e32 v4, s5
	v_add_co_u32_e32 v1, vcc, s4, v1
	v_add_u32_e32 v3, s13, v3
	v_addc_co_u32_e32 v2, vcc, v4, v2, vcc
	v_ashrrev_i32_e32 v4, 31, v3
	v_lshlrev_b64 v[5:6], 2, v[3:4]
	v_add_u32_e32 v7, s13, v3
	v_mov_b32_e32 v4, s5
	v_add_co_u32_e32 v5, vcc, s4, v5
	v_ashrrev_i32_e32 v8, 31, v7
	v_addc_co_u32_e32 v6, vcc, v4, v6, vcc
	v_lshlrev_b64 v[3:4], 2, v[7:8]
	v_add_u32_e32 v9, s13, v7
	v_mov_b32_e32 v8, s5
	v_add_co_u32_e32 v3, vcc, s4, v3
	v_ashrrev_i32_e32 v10, 31, v9
	v_addc_co_u32_e32 v4, vcc, v8, v4, vcc
	v_lshlrev_b64 v[7:8], 2, v[9:10]
	v_mov_b32_e32 v10, s5
	v_add_co_u32_e32 v7, vcc, s4, v7
	v_add_u32_e32 v9, s13, v9
	v_addc_co_u32_e32 v8, vcc, v10, v8, vcc
	v_ashrrev_i32_e32 v10, 31, v9
	v_lshlrev_b64 v[11:12], 2, v[9:10]
	v_add_u32_e32 v13, s13, v9
	v_mov_b32_e32 v10, s5
	v_add_co_u32_e32 v11, vcc, s4, v11
	v_ashrrev_i32_e32 v14, 31, v13
	v_addc_co_u32_e32 v12, vcc, v10, v12, vcc
	v_lshlrev_b64 v[9:10], 2, v[13:14]
	v_add_u32_e32 v15, s13, v13
	v_mov_b32_e32 v14, s5
	v_add_co_u32_e32 v9, vcc, s4, v9
	v_ashrrev_i32_e32 v16, 31, v15
	v_addc_co_u32_e32 v10, vcc, v14, v10, vcc
	;; [unrolled: 6-line block ×4, first 2 shown]
	v_lshlrev_b64 v[17:18], 2, v[19:20]
	v_mov_b32_e32 v21, s5
	v_add_co_u32_e32 v17, vcc, s4, v17
	v_addc_co_u32_e32 v18, vcc, v21, v18, vcc
	v_add_u32_e32 v21, s13, v19
	v_ashrrev_i32_e32 v22, 31, v21
	v_lshlrev_b64 v[19:20], 2, v[21:22]
	v_mov_b32_e32 v23, s5
	v_add_co_u32_e32 v19, vcc, s4, v19
	v_addc_co_u32_e32 v20, vcc, v23, v20, vcc
	v_add_u32_e32 v23, s13, v21
	v_ashrrev_i32_e32 v24, 31, v23
	;; [unrolled: 6-line block ×30, first 2 shown]
	v_lshlrev_b64 v[77:78], 2, v[79:80]
	v_mov_b32_e32 v80, s5
	v_add_co_u32_e32 v81, vcc, s4, v97
	s_ashr_i32 s7, s13, 31
	s_mov_b32 s6, s13
	v_addc_co_u32_e32 v82, vcc, 0, v80, vcc
	s_lshl_b64 s[6:7], s[6:7], 2
	v_mov_b32_e32 v80, s7
	v_add_co_u32_e32 v87, vcc, s6, v81
	v_addc_co_u32_e32 v88, vcc, v82, v80, vcc
	global_load_dword v98, v97, s[4:5]
	global_load_dword v99, v[87:88], off
	global_load_dword v100, v[1:2], off
	;; [unrolled: 1-line block ×21, first 2 shown]
	v_mov_b32_e32 v83, s5
	v_add_co_u32_e32 v77, vcc, s4, v77
	v_addc_co_u32_e32 v78, vcc, v83, v78, vcc
	v_add_u32_e32 v83, s13, v79
	v_ashrrev_i32_e32 v84, 31, v83
	v_lshlrev_b64 v[79:80], 2, v[83:84]
	v_mov_b32_e32 v85, s5
	v_add_co_u32_e32 v79, vcc, s4, v79
	v_addc_co_u32_e32 v80, vcc, v85, v80, vcc
	v_add_u32_e32 v85, s13, v83
	v_ashrrev_i32_e32 v86, 31, v85
	v_lshlrev_b64 v[83:84], 2, v[85:86]
	;; [unrolled: 6-line block ×6, first 2 shown]
	v_add_u32_e32 v95, s13, v95
	v_ashrrev_i32_e32 v96, 31, v95
	v_mov_b32_e32 v120, s5
	v_add_co_u32_e32 v93, vcc, s4, v93
	v_lshlrev_b64 v[95:96], 2, v[95:96]
	v_addc_co_u32_e32 v94, vcc, v120, v94, vcc
	v_add_co_u32_e32 v95, vcc, s4, v95
	v_addc_co_u32_e32 v96, vcc, v120, v96, vcc
	global_load_dword v120, v[95:96], off
	s_waitcnt vmcnt(22)
	buffer_store_dword v98, off, s[0:3], 0
	s_waitcnt vmcnt(22)
	buffer_store_dword v99, off, s[0:3], 0 offset:4
	s_waitcnt vmcnt(22)
	buffer_store_dword v100, off, s[0:3], 0 offset:8
	s_waitcnt vmcnt(22)
	buffer_store_dword v101, off, s[0:3], 0 offset:12
	s_waitcnt vmcnt(22)
	buffer_store_dword v102, off, s[0:3], 0 offset:16
	s_waitcnt vmcnt(22)
	buffer_store_dword v103, off, s[0:3], 0 offset:20
	s_waitcnt vmcnt(22)
	buffer_store_dword v104, off, s[0:3], 0 offset:24
	s_waitcnt vmcnt(22)
	buffer_store_dword v105, off, s[0:3], 0 offset:28
	s_waitcnt vmcnt(22)
	buffer_store_dword v106, off, s[0:3], 0 offset:32
	s_waitcnt vmcnt(22)
	buffer_store_dword v107, off, s[0:3], 0 offset:36
	s_waitcnt vmcnt(22)
	buffer_store_dword v108, off, s[0:3], 0 offset:40
	s_waitcnt vmcnt(22)
	buffer_store_dword v109, off, s[0:3], 0 offset:44
	s_waitcnt vmcnt(22)
	buffer_store_dword v110, off, s[0:3], 0 offset:48
	s_waitcnt vmcnt(22)
	buffer_store_dword v111, off, s[0:3], 0 offset:52
	s_waitcnt vmcnt(22)
	buffer_store_dword v112, off, s[0:3], 0 offset:56
	s_waitcnt vmcnt(22)
	buffer_store_dword v113, off, s[0:3], 0 offset:60
	s_waitcnt vmcnt(22)
	buffer_store_dword v114, off, s[0:3], 0 offset:64
	global_load_dword v98, v[41:42], off
	global_load_dword v99, v[43:44], off
	;; [unrolled: 1-line block ×3, first 2 shown]
	s_waitcnt vmcnt(25)
	buffer_store_dword v115, off, s[0:3], 0 offset:68
	s_waitcnt vmcnt(25)
	buffer_store_dword v116, off, s[0:3], 0 offset:72
	;; [unrolled: 2-line block ×5, first 2 shown]
	global_load_dword v101, v[47:48], off
	global_load_dword v102, v[49:50], off
	global_load_dword v103, v[51:52], off
	global_load_dword v104, v[53:54], off
	global_load_dword v105, v[55:56], off
	global_load_dword v106, v[57:58], off
	global_load_dword v107, v[59:60], off
	global_load_dword v108, v[61:62], off
	global_load_dword v109, v[63:64], off
	global_load_dword v110, v[65:66], off
	global_load_dword v111, v[67:68], off
	global_load_dword v112, v[69:70], off
	global_load_dword v113, v[71:72], off
	global_load_dword v114, v[73:74], off
	global_load_dword v115, v[75:76], off
	global_load_dword v116, v[77:78], off
	global_load_dword v117, v[79:80], off
	global_load_dword v118, v[83:84], off
	global_load_dword v119, v[85:86], off
	global_load_dword v121, v[89:90], off
	global_load_dword v122, v[91:92], off
	global_load_dword v123, v[93:94], off
	s_cmpk_lg_i32 s9, 0x84
	s_waitcnt vmcnt(29)
	buffer_store_dword v98, off, s[0:3], 0 offset:88
	s_waitcnt vmcnt(29)
	buffer_store_dword v99, off, s[0:3], 0 offset:92
	;; [unrolled: 2-line block ×25, first 2 shown]
	buffer_store_dword v120, off, s[0:3], 0 offset:188
	s_movk_i32 s12, 0x84
	s_cselect_b64 s[10:11], -1, 0
	s_cmpk_eq_i32 s9, 0x84
	v_mov_b32_e32 v98, -1.0
	s_cbranch_scc1 .LBB47_3
; %bb.2:
	v_mov_b32_e32 v98, 0
	v_lshl_add_u32 v98, v0, 2, v98
	buffer_load_dword v99, v98, s[0:3], 0 offen
	s_waitcnt vmcnt(0)
	v_div_scale_f32 v100, s[4:5], v99, v99, 1.0
	v_div_scale_f32 v101, vcc, 1.0, v99, 1.0
	v_rcp_f32_e32 v102, v100
	v_fma_f32 v103, -v100, v102, 1.0
	v_fmac_f32_e32 v102, v103, v102
	v_mul_f32_e32 v103, v101, v102
	v_fma_f32 v104, -v100, v103, v101
	v_fmac_f32_e32 v103, v104, v102
	v_fma_f32 v100, -v100, v103, v101
	v_div_fmas_f32 v100, v100, v102, v103
	v_div_fixup_f32 v99, v100, v99, 1.0
	buffer_store_dword v99, v98, s[0:3], 0 offen
	v_xor_b32_e32 v98, 0x80000000, v99
.LBB47_3:
	ds_write_b32 v97, v98
	s_cmpk_eq_i32 s8, 0x79
	v_add_u32_e32 v98, 0xc0, v97
	v_mov_b32_e32 v99, v97
	s_mov_b64 s[4:5], -1
	s_cbranch_scc1 .LBB47_467
; %bb.4:
	buffer_load_dword v100, off, s[0:3], 0 offset:184
	s_movk_i32 s30, 0x44
	s_movk_i32 s31, 0x48
	;; [unrolled: 1-line block ×28, first 2 shown]
	v_cmp_eq_u32_e64 s[4:5], 47, v0
	s_waitcnt vmcnt(0)
	ds_write_b32 v98, v100
	s_waitcnt lgkmcnt(0)
	; wave barrier
	s_and_saveexec_b64 s[6:7], s[4:5]
	s_cbranch_execz .LBB47_10
; %bb.5:
	s_and_b64 vcc, exec, s[10:11]
	s_cbranch_vccz .LBB47_7
; %bb.6:
	buffer_load_dword v100, v99, s[0:3], 0 offen
	ds_read_b32 v101, v98
	s_waitcnt vmcnt(0) lgkmcnt(0)
	v_mul_f32_e32 v100, v100, v101
	s_cbranch_execz .LBB47_8
	s_branch .LBB47_9
.LBB47_7:
                                        ; implicit-def: $vgpr100
.LBB47_8:
	ds_read_b32 v100, v98
.LBB47_9:
	v_mov_b32_e32 v101, 0
	ds_read_b32 v101, v101 offset:184
	s_waitcnt lgkmcnt(0)
	v_mul_f32_e32 v100, v100, v101
	buffer_store_dword v100, off, s[0:3], 0 offset:184
.LBB47_10:
	s_or_b64 exec, exec, s[6:7]
	buffer_load_dword v100, off, s[0:3], 0 offset:180
	s_or_b32 s14, 0, 4
	s_or_b32 s15, 0, 8
	;; [unrolled: 1-line block ×3, first 2 shown]
	s_mov_b32 s17, 16
	s_mov_b32 s18, 20
	;; [unrolled: 1-line block ×15, first 2 shown]
	v_cmp_lt_u32_e64 s[6:7], 45, v0
	s_waitcnt vmcnt(0)
	ds_write_b32 v98, v100
	s_waitcnt lgkmcnt(0)
	; wave barrier
	s_and_saveexec_b64 s[8:9], s[6:7]
	s_cbranch_execz .LBB47_16
; %bb.11:
	s_andn2_b64 vcc, exec, s[10:11]
	s_cbranch_vccnz .LBB47_13
; %bb.12:
	buffer_load_dword v100, v99, s[0:3], 0 offen
	ds_read_b32 v101, v98
	s_waitcnt vmcnt(0) lgkmcnt(0)
	v_mul_f32_e32 v100, v100, v101
	s_cbranch_execz .LBB47_14
	s_branch .LBB47_15
.LBB47_13:
                                        ; implicit-def: $vgpr100
.LBB47_14:
	ds_read_b32 v100, v98
.LBB47_15:
	buffer_load_dword v103, off, s[0:3], 0 offset:184
	v_mov_b32_e32 v101, 0
	ds_read2_b32 v[101:102], v101 offset0:45 offset1:94
	s_waitcnt vmcnt(0) lgkmcnt(0)
	v_fma_f32 v102, v103, v102, v100
	v_cndmask_b32_e64 v100, v100, v102, s[4:5]
	v_mul_f32_e32 v100, v100, v101
	buffer_store_dword v100, off, s[0:3], 0 offset:180
.LBB47_16:
	s_or_b64 exec, exec, s[8:9]
	buffer_load_dword v100, off, s[0:3], 0 offset:176
	v_cmp_lt_u32_e64 s[4:5], 44, v0
	s_waitcnt vmcnt(0)
	ds_write_b32 v98, v100
	s_waitcnt lgkmcnt(0)
	; wave barrier
	s_and_saveexec_b64 s[8:9], s[4:5]
	s_cbranch_execz .LBB47_26
; %bb.17:
	s_andn2_b64 vcc, exec, s[10:11]
	s_cbranch_vccnz .LBB47_19
; %bb.18:
	buffer_load_dword v100, v99, s[0:3], 0 offen
	ds_read_b32 v101, v98
	s_waitcnt vmcnt(0) lgkmcnt(0)
	v_mul_f32_e32 v100, v100, v101
	s_cbranch_execz .LBB47_20
	s_branch .LBB47_21
.LBB47_19:
                                        ; implicit-def: $vgpr100
.LBB47_20:
	ds_read_b32 v100, v98
.LBB47_21:
	s_and_saveexec_b64 s[12:13], s[6:7]
	s_cbranch_execz .LBB47_25
; %bb.22:
	v_subrev_u32_e32 v101, 45, v0
	s_movk_i32 s60, 0x174
	s_mov_b64 s[6:7], 0
.LBB47_23:                              ; =>This Inner Loop Header: Depth=1
	v_mov_b32_e32 v102, s59
	buffer_load_dword v102, v102, s[0:3], 0 offen
	v_mov_b32_e32 v103, s60
	ds_read_b32 v103, v103
	v_add_u32_e32 v101, -1, v101
	s_add_i32 s60, s60, 4
	s_add_i32 s59, s59, 4
	v_cmp_eq_u32_e32 vcc, 0, v101
	s_or_b64 s[6:7], vcc, s[6:7]
	s_waitcnt vmcnt(0) lgkmcnt(0)
	v_fmac_f32_e32 v100, v102, v103
	s_andn2_b64 exec, exec, s[6:7]
	s_cbranch_execnz .LBB47_23
; %bb.24:
	s_or_b64 exec, exec, s[6:7]
.LBB47_25:
	s_or_b64 exec, exec, s[12:13]
	v_mov_b32_e32 v101, 0
	ds_read_b32 v101, v101 offset:176
	s_waitcnt lgkmcnt(0)
	v_mul_f32_e32 v100, v100, v101
	buffer_store_dword v100, off, s[0:3], 0 offset:176
.LBB47_26:
	s_or_b64 exec, exec, s[8:9]
	buffer_load_dword v100, off, s[0:3], 0 offset:172
	v_cmp_lt_u32_e64 s[6:7], 43, v0
	s_waitcnt vmcnt(0)
	ds_write_b32 v98, v100
	s_waitcnt lgkmcnt(0)
	; wave barrier
	s_and_saveexec_b64 s[8:9], s[6:7]
	s_cbranch_execz .LBB47_36
; %bb.27:
	s_andn2_b64 vcc, exec, s[10:11]
	s_cbranch_vccnz .LBB47_29
; %bb.28:
	buffer_load_dword v100, v99, s[0:3], 0 offen
	ds_read_b32 v101, v98
	s_waitcnt vmcnt(0) lgkmcnt(0)
	v_mul_f32_e32 v100, v100, v101
	s_cbranch_execz .LBB47_30
	s_branch .LBB47_31
.LBB47_29:
                                        ; implicit-def: $vgpr100
.LBB47_30:
	ds_read_b32 v100, v98
.LBB47_31:
	s_and_saveexec_b64 s[12:13], s[4:5]
	s_cbranch_execz .LBB47_35
; %bb.32:
	v_subrev_u32_e32 v101, 44, v0
	s_movk_i32 s59, 0x170
	s_mov_b64 s[4:5], 0
.LBB47_33:                              ; =>This Inner Loop Header: Depth=1
	v_mov_b32_e32 v102, s58
	buffer_load_dword v102, v102, s[0:3], 0 offen
	v_mov_b32_e32 v103, s59
	ds_read_b32 v103, v103
	v_add_u32_e32 v101, -1, v101
	s_add_i32 s59, s59, 4
	s_add_i32 s58, s58, 4
	v_cmp_eq_u32_e32 vcc, 0, v101
	s_or_b64 s[4:5], vcc, s[4:5]
	s_waitcnt vmcnt(0) lgkmcnt(0)
	v_fmac_f32_e32 v100, v102, v103
	s_andn2_b64 exec, exec, s[4:5]
	s_cbranch_execnz .LBB47_33
; %bb.34:
	s_or_b64 exec, exec, s[4:5]
.LBB47_35:
	s_or_b64 exec, exec, s[12:13]
	v_mov_b32_e32 v101, 0
	ds_read_b32 v101, v101 offset:172
	s_waitcnt lgkmcnt(0)
	v_mul_f32_e32 v100, v100, v101
	buffer_store_dword v100, off, s[0:3], 0 offset:172
.LBB47_36:
	;; [unrolled: 54-line block ×8, first 2 shown]
	s_or_b64 exec, exec, s[8:9]
	buffer_load_dword v100, off, s[0:3], 0 offset:144
	v_cmp_lt_u32_e64 s[4:5], 36, v0
	s_waitcnt vmcnt(0)
	ds_write_b32 v98, v100
	s_waitcnt lgkmcnt(0)
	; wave barrier
	s_and_saveexec_b64 s[8:9], s[4:5]
	s_cbranch_execz .LBB47_106
; %bb.97:
	s_andn2_b64 vcc, exec, s[10:11]
	s_cbranch_vccnz .LBB47_99
; %bb.98:
	buffer_load_dword v100, v99, s[0:3], 0 offen
	ds_read_b32 v101, v98
	s_waitcnt vmcnt(0) lgkmcnt(0)
	v_mul_f32_e32 v100, v100, v101
	s_cbranch_execz .LBB47_100
	s_branch .LBB47_101
.LBB47_99:
                                        ; implicit-def: $vgpr100
.LBB47_100:
	ds_read_b32 v100, v98
.LBB47_101:
	s_and_saveexec_b64 s[12:13], s[6:7]
	s_cbranch_execz .LBB47_105
; %bb.102:
	v_subrev_u32_e32 v101, 37, v0
	s_movk_i32 s52, 0x154
	s_mov_b64 s[6:7], 0
.LBB47_103:                             ; =>This Inner Loop Header: Depth=1
	v_mov_b32_e32 v102, s51
	buffer_load_dword v102, v102, s[0:3], 0 offen
	v_mov_b32_e32 v103, s52
	ds_read_b32 v103, v103
	v_add_u32_e32 v101, -1, v101
	s_add_i32 s52, s52, 4
	s_add_i32 s51, s51, 4
	v_cmp_eq_u32_e32 vcc, 0, v101
	s_or_b64 s[6:7], vcc, s[6:7]
	s_waitcnt vmcnt(0) lgkmcnt(0)
	v_fmac_f32_e32 v100, v102, v103
	s_andn2_b64 exec, exec, s[6:7]
	s_cbranch_execnz .LBB47_103
; %bb.104:
	s_or_b64 exec, exec, s[6:7]
.LBB47_105:
	s_or_b64 exec, exec, s[12:13]
	v_mov_b32_e32 v101, 0
	ds_read_b32 v101, v101 offset:144
	s_waitcnt lgkmcnt(0)
	v_mul_f32_e32 v100, v100, v101
	buffer_store_dword v100, off, s[0:3], 0 offset:144
.LBB47_106:
	s_or_b64 exec, exec, s[8:9]
	buffer_load_dword v100, off, s[0:3], 0 offset:140
	v_cmp_lt_u32_e64 s[6:7], 35, v0
	s_waitcnt vmcnt(0)
	ds_write_b32 v98, v100
	s_waitcnt lgkmcnt(0)
	; wave barrier
	s_and_saveexec_b64 s[8:9], s[6:7]
	s_cbranch_execz .LBB47_116
; %bb.107:
	s_andn2_b64 vcc, exec, s[10:11]
	s_cbranch_vccnz .LBB47_109
; %bb.108:
	buffer_load_dword v100, v99, s[0:3], 0 offen
	ds_read_b32 v101, v98
	s_waitcnt vmcnt(0) lgkmcnt(0)
	v_mul_f32_e32 v100, v100, v101
	s_cbranch_execz .LBB47_110
	s_branch .LBB47_111
.LBB47_109:
                                        ; implicit-def: $vgpr100
.LBB47_110:
	ds_read_b32 v100, v98
.LBB47_111:
	s_and_saveexec_b64 s[12:13], s[4:5]
	s_cbranch_execz .LBB47_115
; %bb.112:
	v_subrev_u32_e32 v101, 36, v0
	s_movk_i32 s51, 0x150
	s_mov_b64 s[4:5], 0
.LBB47_113:                             ; =>This Inner Loop Header: Depth=1
	v_mov_b32_e32 v102, s50
	buffer_load_dword v102, v102, s[0:3], 0 offen
	v_mov_b32_e32 v103, s51
	ds_read_b32 v103, v103
	v_add_u32_e32 v101, -1, v101
	s_add_i32 s51, s51, 4
	s_add_i32 s50, s50, 4
	v_cmp_eq_u32_e32 vcc, 0, v101
	s_or_b64 s[4:5], vcc, s[4:5]
	s_waitcnt vmcnt(0) lgkmcnt(0)
	v_fmac_f32_e32 v100, v102, v103
	s_andn2_b64 exec, exec, s[4:5]
	s_cbranch_execnz .LBB47_113
; %bb.114:
	s_or_b64 exec, exec, s[4:5]
.LBB47_115:
	s_or_b64 exec, exec, s[12:13]
	v_mov_b32_e32 v101, 0
	ds_read_b32 v101, v101 offset:140
	s_waitcnt lgkmcnt(0)
	v_mul_f32_e32 v100, v100, v101
	buffer_store_dword v100, off, s[0:3], 0 offset:140
.LBB47_116:
	;; [unrolled: 54-line block ×21, first 2 shown]
	s_or_b64 exec, exec, s[8:9]
	buffer_load_dword v100, off, s[0:3], 0 offset:60
	v_cmp_lt_u32_e64 s[6:7], 15, v0
	s_waitcnt vmcnt(0)
	ds_write_b32 v98, v100
	s_waitcnt lgkmcnt(0)
	; wave barrier
	s_and_saveexec_b64 s[8:9], s[6:7]
	s_cbranch_execz .LBB47_316
; %bb.307:
	s_andn2_b64 vcc, exec, s[10:11]
	s_cbranch_vccnz .LBB47_309
; %bb.308:
	buffer_load_dword v100, v99, s[0:3], 0 offen
	ds_read_b32 v101, v98
	s_waitcnt vmcnt(0) lgkmcnt(0)
	v_mul_f32_e32 v100, v100, v101
	s_cbranch_execz .LBB47_310
	s_branch .LBB47_311
.LBB47_309:
                                        ; implicit-def: $vgpr100
.LBB47_310:
	ds_read_b32 v100, v98
.LBB47_311:
	s_and_saveexec_b64 s[12:13], s[4:5]
	s_cbranch_execz .LBB47_315
; %bb.312:
	v_add_u32_e32 v101, -16, v0
	s_movk_i32 s30, 0x100
	s_mov_b64 s[4:5], 0
.LBB47_313:                             ; =>This Inner Loop Header: Depth=1
	v_mov_b32_e32 v102, s29
	buffer_load_dword v102, v102, s[0:3], 0 offen
	v_mov_b32_e32 v103, s30
	ds_read_b32 v103, v103
	v_add_u32_e32 v101, -1, v101
	s_add_i32 s30, s30, 4
	s_add_i32 s29, s29, 4
	v_cmp_eq_u32_e32 vcc, 0, v101
	s_or_b64 s[4:5], vcc, s[4:5]
	s_waitcnt vmcnt(0) lgkmcnt(0)
	v_fmac_f32_e32 v100, v102, v103
	s_andn2_b64 exec, exec, s[4:5]
	s_cbranch_execnz .LBB47_313
; %bb.314:
	s_or_b64 exec, exec, s[4:5]
.LBB47_315:
	s_or_b64 exec, exec, s[12:13]
	v_mov_b32_e32 v101, 0
	ds_read_b32 v101, v101 offset:60
	s_waitcnt lgkmcnt(0)
	v_mul_f32_e32 v100, v100, v101
	buffer_store_dword v100, off, s[0:3], 0 offset:60
.LBB47_316:
	s_or_b64 exec, exec, s[8:9]
	buffer_load_dword v100, off, s[0:3], 0 offset:56
	v_cmp_lt_u32_e64 s[4:5], 14, v0
	s_waitcnt vmcnt(0)
	ds_write_b32 v98, v100
	s_waitcnt lgkmcnt(0)
	; wave barrier
	s_and_saveexec_b64 s[8:9], s[4:5]
	s_cbranch_execz .LBB47_326
; %bb.317:
	s_andn2_b64 vcc, exec, s[10:11]
	s_cbranch_vccnz .LBB47_319
; %bb.318:
	buffer_load_dword v100, v99, s[0:3], 0 offen
	ds_read_b32 v101, v98
	s_waitcnt vmcnt(0) lgkmcnt(0)
	v_mul_f32_e32 v100, v100, v101
	s_cbranch_execz .LBB47_320
	s_branch .LBB47_321
.LBB47_319:
                                        ; implicit-def: $vgpr100
.LBB47_320:
	ds_read_b32 v100, v98
.LBB47_321:
	s_and_saveexec_b64 s[12:13], s[6:7]
	s_cbranch_execz .LBB47_325
; %bb.322:
	v_add_u32_e32 v101, -15, v0
	s_movk_i32 s29, 0xfc
	s_mov_b64 s[6:7], 0
.LBB47_323:                             ; =>This Inner Loop Header: Depth=1
	v_mov_b32_e32 v102, s28
	buffer_load_dword v102, v102, s[0:3], 0 offen
	v_mov_b32_e32 v103, s29
	ds_read_b32 v103, v103
	v_add_u32_e32 v101, -1, v101
	s_add_i32 s29, s29, 4
	s_add_i32 s28, s28, 4
	v_cmp_eq_u32_e32 vcc, 0, v101
	s_or_b64 s[6:7], vcc, s[6:7]
	s_waitcnt vmcnt(0) lgkmcnt(0)
	v_fmac_f32_e32 v100, v102, v103
	s_andn2_b64 exec, exec, s[6:7]
	s_cbranch_execnz .LBB47_323
; %bb.324:
	s_or_b64 exec, exec, s[6:7]
.LBB47_325:
	s_or_b64 exec, exec, s[12:13]
	v_mov_b32_e32 v101, 0
	ds_read_b32 v101, v101 offset:56
	s_waitcnt lgkmcnt(0)
	v_mul_f32_e32 v100, v100, v101
	buffer_store_dword v100, off, s[0:3], 0 offset:56
.LBB47_326:
	s_or_b64 exec, exec, s[8:9]
	buffer_load_dword v100, off, s[0:3], 0 offset:52
	v_cmp_lt_u32_e64 s[6:7], 13, v0
	s_waitcnt vmcnt(0)
	ds_write_b32 v98, v100
	s_waitcnt lgkmcnt(0)
	; wave barrier
	s_and_saveexec_b64 s[8:9], s[6:7]
	s_cbranch_execz .LBB47_336
; %bb.327:
	s_andn2_b64 vcc, exec, s[10:11]
	s_cbranch_vccnz .LBB47_329
; %bb.328:
	buffer_load_dword v100, v99, s[0:3], 0 offen
	ds_read_b32 v101, v98
	s_waitcnt vmcnt(0) lgkmcnt(0)
	v_mul_f32_e32 v100, v100, v101
	s_cbranch_execz .LBB47_330
	s_branch .LBB47_331
.LBB47_329:
                                        ; implicit-def: $vgpr100
.LBB47_330:
	ds_read_b32 v100, v98
.LBB47_331:
	s_and_saveexec_b64 s[12:13], s[4:5]
	s_cbranch_execz .LBB47_335
; %bb.332:
	v_add_u32_e32 v101, -14, v0
	s_movk_i32 s28, 0xf8
	s_mov_b64 s[4:5], 0
.LBB47_333:                             ; =>This Inner Loop Header: Depth=1
	v_mov_b32_e32 v102, s27
	buffer_load_dword v102, v102, s[0:3], 0 offen
	v_mov_b32_e32 v103, s28
	ds_read_b32 v103, v103
	v_add_u32_e32 v101, -1, v101
	s_add_i32 s28, s28, 4
	s_add_i32 s27, s27, 4
	v_cmp_eq_u32_e32 vcc, 0, v101
	s_or_b64 s[4:5], vcc, s[4:5]
	s_waitcnt vmcnt(0) lgkmcnt(0)
	v_fmac_f32_e32 v100, v102, v103
	s_andn2_b64 exec, exec, s[4:5]
	s_cbranch_execnz .LBB47_333
; %bb.334:
	s_or_b64 exec, exec, s[4:5]
.LBB47_335:
	s_or_b64 exec, exec, s[12:13]
	v_mov_b32_e32 v101, 0
	ds_read_b32 v101, v101 offset:52
	s_waitcnt lgkmcnt(0)
	v_mul_f32_e32 v100, v100, v101
	buffer_store_dword v100, off, s[0:3], 0 offset:52
.LBB47_336:
	s_or_b64 exec, exec, s[8:9]
	buffer_load_dword v100, off, s[0:3], 0 offset:48
	v_cmp_lt_u32_e64 s[4:5], 12, v0
	s_waitcnt vmcnt(0)
	ds_write_b32 v98, v100
	s_waitcnt lgkmcnt(0)
	; wave barrier
	s_and_saveexec_b64 s[8:9], s[4:5]
	s_cbranch_execz .LBB47_346
; %bb.337:
	s_andn2_b64 vcc, exec, s[10:11]
	s_cbranch_vccnz .LBB47_339
; %bb.338:
	buffer_load_dword v100, v99, s[0:3], 0 offen
	ds_read_b32 v101, v98
	s_waitcnt vmcnt(0) lgkmcnt(0)
	v_mul_f32_e32 v100, v100, v101
	s_cbranch_execz .LBB47_340
	s_branch .LBB47_341
.LBB47_339:
                                        ; implicit-def: $vgpr100
.LBB47_340:
	ds_read_b32 v100, v98
.LBB47_341:
	s_and_saveexec_b64 s[12:13], s[6:7]
	s_cbranch_execz .LBB47_345
; %bb.342:
	v_add_u32_e32 v101, -13, v0
	s_movk_i32 s27, 0xf4
	s_mov_b64 s[6:7], 0
.LBB47_343:                             ; =>This Inner Loop Header: Depth=1
	v_mov_b32_e32 v102, s26
	buffer_load_dword v102, v102, s[0:3], 0 offen
	v_mov_b32_e32 v103, s27
	ds_read_b32 v103, v103
	v_add_u32_e32 v101, -1, v101
	s_add_i32 s27, s27, 4
	s_add_i32 s26, s26, 4
	v_cmp_eq_u32_e32 vcc, 0, v101
	s_or_b64 s[6:7], vcc, s[6:7]
	s_waitcnt vmcnt(0) lgkmcnt(0)
	v_fmac_f32_e32 v100, v102, v103
	s_andn2_b64 exec, exec, s[6:7]
	s_cbranch_execnz .LBB47_343
; %bb.344:
	s_or_b64 exec, exec, s[6:7]
.LBB47_345:
	s_or_b64 exec, exec, s[12:13]
	v_mov_b32_e32 v101, 0
	ds_read_b32 v101, v101 offset:48
	s_waitcnt lgkmcnt(0)
	v_mul_f32_e32 v100, v100, v101
	buffer_store_dword v100, off, s[0:3], 0 offset:48
.LBB47_346:
	s_or_b64 exec, exec, s[8:9]
	buffer_load_dword v100, off, s[0:3], 0 offset:44
	v_cmp_lt_u32_e64 s[6:7], 11, v0
	s_waitcnt vmcnt(0)
	ds_write_b32 v98, v100
	s_waitcnt lgkmcnt(0)
	; wave barrier
	s_and_saveexec_b64 s[8:9], s[6:7]
	s_cbranch_execz .LBB47_356
; %bb.347:
	s_andn2_b64 vcc, exec, s[10:11]
	s_cbranch_vccnz .LBB47_349
; %bb.348:
	buffer_load_dword v100, v99, s[0:3], 0 offen
	ds_read_b32 v101, v98
	s_waitcnt vmcnt(0) lgkmcnt(0)
	v_mul_f32_e32 v100, v100, v101
	s_cbranch_execz .LBB47_350
	s_branch .LBB47_351
.LBB47_349:
                                        ; implicit-def: $vgpr100
.LBB47_350:
	ds_read_b32 v100, v98
.LBB47_351:
	s_and_saveexec_b64 s[12:13], s[4:5]
	s_cbranch_execz .LBB47_355
; %bb.352:
	v_add_u32_e32 v101, -12, v0
	s_movk_i32 s26, 0xf0
	s_mov_b64 s[4:5], 0
.LBB47_353:                             ; =>This Inner Loop Header: Depth=1
	v_mov_b32_e32 v102, s25
	buffer_load_dword v102, v102, s[0:3], 0 offen
	v_mov_b32_e32 v103, s26
	ds_read_b32 v103, v103
	v_add_u32_e32 v101, -1, v101
	s_add_i32 s26, s26, 4
	s_add_i32 s25, s25, 4
	v_cmp_eq_u32_e32 vcc, 0, v101
	s_or_b64 s[4:5], vcc, s[4:5]
	s_waitcnt vmcnt(0) lgkmcnt(0)
	v_fmac_f32_e32 v100, v102, v103
	s_andn2_b64 exec, exec, s[4:5]
	s_cbranch_execnz .LBB47_353
; %bb.354:
	s_or_b64 exec, exec, s[4:5]
.LBB47_355:
	s_or_b64 exec, exec, s[12:13]
	v_mov_b32_e32 v101, 0
	ds_read_b32 v101, v101 offset:44
	s_waitcnt lgkmcnt(0)
	v_mul_f32_e32 v100, v100, v101
	buffer_store_dword v100, off, s[0:3], 0 offset:44
.LBB47_356:
	s_or_b64 exec, exec, s[8:9]
	buffer_load_dword v100, off, s[0:3], 0 offset:40
	v_cmp_lt_u32_e64 s[4:5], 10, v0
	s_waitcnt vmcnt(0)
	ds_write_b32 v98, v100
	s_waitcnt lgkmcnt(0)
	; wave barrier
	s_and_saveexec_b64 s[8:9], s[4:5]
	s_cbranch_execz .LBB47_366
; %bb.357:
	s_andn2_b64 vcc, exec, s[10:11]
	s_cbranch_vccnz .LBB47_359
; %bb.358:
	buffer_load_dword v100, v99, s[0:3], 0 offen
	ds_read_b32 v101, v98
	s_waitcnt vmcnt(0) lgkmcnt(0)
	v_mul_f32_e32 v100, v100, v101
	s_cbranch_execz .LBB47_360
	s_branch .LBB47_361
.LBB47_359:
                                        ; implicit-def: $vgpr100
.LBB47_360:
	ds_read_b32 v100, v98
.LBB47_361:
	s_and_saveexec_b64 s[12:13], s[6:7]
	s_cbranch_execz .LBB47_365
; %bb.362:
	v_add_u32_e32 v101, -11, v0
	s_movk_i32 s25, 0xec
	s_mov_b64 s[6:7], 0
.LBB47_363:                             ; =>This Inner Loop Header: Depth=1
	v_mov_b32_e32 v102, s24
	buffer_load_dword v102, v102, s[0:3], 0 offen
	v_mov_b32_e32 v103, s25
	ds_read_b32 v103, v103
	v_add_u32_e32 v101, -1, v101
	s_add_i32 s25, s25, 4
	s_add_i32 s24, s24, 4
	v_cmp_eq_u32_e32 vcc, 0, v101
	s_or_b64 s[6:7], vcc, s[6:7]
	s_waitcnt vmcnt(0) lgkmcnt(0)
	v_fmac_f32_e32 v100, v102, v103
	s_andn2_b64 exec, exec, s[6:7]
	s_cbranch_execnz .LBB47_363
; %bb.364:
	s_or_b64 exec, exec, s[6:7]
.LBB47_365:
	s_or_b64 exec, exec, s[12:13]
	v_mov_b32_e32 v101, 0
	ds_read_b32 v101, v101 offset:40
	s_waitcnt lgkmcnt(0)
	v_mul_f32_e32 v100, v100, v101
	buffer_store_dword v100, off, s[0:3], 0 offset:40
.LBB47_366:
	s_or_b64 exec, exec, s[8:9]
	buffer_load_dword v100, off, s[0:3], 0 offset:36
	v_cmp_lt_u32_e64 s[6:7], 9, v0
	s_waitcnt vmcnt(0)
	ds_write_b32 v98, v100
	s_waitcnt lgkmcnt(0)
	; wave barrier
	s_and_saveexec_b64 s[8:9], s[6:7]
	s_cbranch_execz .LBB47_376
; %bb.367:
	s_andn2_b64 vcc, exec, s[10:11]
	s_cbranch_vccnz .LBB47_369
; %bb.368:
	buffer_load_dword v100, v99, s[0:3], 0 offen
	ds_read_b32 v101, v98
	s_waitcnt vmcnt(0) lgkmcnt(0)
	v_mul_f32_e32 v100, v100, v101
	s_cbranch_execz .LBB47_370
	s_branch .LBB47_371
.LBB47_369:
                                        ; implicit-def: $vgpr100
.LBB47_370:
	ds_read_b32 v100, v98
.LBB47_371:
	s_and_saveexec_b64 s[12:13], s[4:5]
	s_cbranch_execz .LBB47_375
; %bb.372:
	v_add_u32_e32 v101, -10, v0
	s_movk_i32 s24, 0xe8
	s_mov_b64 s[4:5], 0
.LBB47_373:                             ; =>This Inner Loop Header: Depth=1
	v_mov_b32_e32 v102, s23
	buffer_load_dword v102, v102, s[0:3], 0 offen
	v_mov_b32_e32 v103, s24
	ds_read_b32 v103, v103
	v_add_u32_e32 v101, -1, v101
	s_add_i32 s24, s24, 4
	s_add_i32 s23, s23, 4
	v_cmp_eq_u32_e32 vcc, 0, v101
	s_or_b64 s[4:5], vcc, s[4:5]
	s_waitcnt vmcnt(0) lgkmcnt(0)
	v_fmac_f32_e32 v100, v102, v103
	s_andn2_b64 exec, exec, s[4:5]
	s_cbranch_execnz .LBB47_373
; %bb.374:
	s_or_b64 exec, exec, s[4:5]
.LBB47_375:
	s_or_b64 exec, exec, s[12:13]
	v_mov_b32_e32 v101, 0
	ds_read_b32 v101, v101 offset:36
	s_waitcnt lgkmcnt(0)
	v_mul_f32_e32 v100, v100, v101
	buffer_store_dword v100, off, s[0:3], 0 offset:36
.LBB47_376:
	s_or_b64 exec, exec, s[8:9]
	buffer_load_dword v100, off, s[0:3], 0 offset:32
	v_cmp_lt_u32_e64 s[4:5], 8, v0
	s_waitcnt vmcnt(0)
	ds_write_b32 v98, v100
	s_waitcnt lgkmcnt(0)
	; wave barrier
	s_and_saveexec_b64 s[8:9], s[4:5]
	s_cbranch_execz .LBB47_386
; %bb.377:
	s_andn2_b64 vcc, exec, s[10:11]
	s_cbranch_vccnz .LBB47_379
; %bb.378:
	buffer_load_dword v100, v99, s[0:3], 0 offen
	ds_read_b32 v101, v98
	s_waitcnt vmcnt(0) lgkmcnt(0)
	v_mul_f32_e32 v100, v100, v101
	s_cbranch_execz .LBB47_380
	s_branch .LBB47_381
.LBB47_379:
                                        ; implicit-def: $vgpr100
.LBB47_380:
	ds_read_b32 v100, v98
.LBB47_381:
	s_and_saveexec_b64 s[12:13], s[6:7]
	s_cbranch_execz .LBB47_385
; %bb.382:
	v_add_u32_e32 v101, -9, v0
	s_movk_i32 s23, 0xe4
	s_mov_b64 s[6:7], 0
.LBB47_383:                             ; =>This Inner Loop Header: Depth=1
	v_mov_b32_e32 v102, s22
	buffer_load_dword v102, v102, s[0:3], 0 offen
	v_mov_b32_e32 v103, s23
	ds_read_b32 v103, v103
	v_add_u32_e32 v101, -1, v101
	s_add_i32 s23, s23, 4
	s_add_i32 s22, s22, 4
	v_cmp_eq_u32_e32 vcc, 0, v101
	s_or_b64 s[6:7], vcc, s[6:7]
	s_waitcnt vmcnt(0) lgkmcnt(0)
	v_fmac_f32_e32 v100, v102, v103
	s_andn2_b64 exec, exec, s[6:7]
	s_cbranch_execnz .LBB47_383
; %bb.384:
	s_or_b64 exec, exec, s[6:7]
.LBB47_385:
	s_or_b64 exec, exec, s[12:13]
	v_mov_b32_e32 v101, 0
	ds_read_b32 v101, v101 offset:32
	s_waitcnt lgkmcnt(0)
	v_mul_f32_e32 v100, v100, v101
	buffer_store_dword v100, off, s[0:3], 0 offset:32
.LBB47_386:
	s_or_b64 exec, exec, s[8:9]
	buffer_load_dword v100, off, s[0:3], 0 offset:28
	v_cmp_lt_u32_e64 s[6:7], 7, v0
	s_waitcnt vmcnt(0)
	ds_write_b32 v98, v100
	s_waitcnt lgkmcnt(0)
	; wave barrier
	s_and_saveexec_b64 s[8:9], s[6:7]
	s_cbranch_execz .LBB47_396
; %bb.387:
	s_andn2_b64 vcc, exec, s[10:11]
	s_cbranch_vccnz .LBB47_389
; %bb.388:
	buffer_load_dword v100, v99, s[0:3], 0 offen
	ds_read_b32 v101, v98
	s_waitcnt vmcnt(0) lgkmcnt(0)
	v_mul_f32_e32 v100, v100, v101
	s_cbranch_execz .LBB47_390
	s_branch .LBB47_391
.LBB47_389:
                                        ; implicit-def: $vgpr100
.LBB47_390:
	ds_read_b32 v100, v98
.LBB47_391:
	s_and_saveexec_b64 s[12:13], s[4:5]
	s_cbranch_execz .LBB47_395
; %bb.392:
	v_add_u32_e32 v101, -8, v0
	s_movk_i32 s22, 0xe0
	s_mov_b64 s[4:5], 0
.LBB47_393:                             ; =>This Inner Loop Header: Depth=1
	v_mov_b32_e32 v102, s21
	buffer_load_dword v102, v102, s[0:3], 0 offen
	v_mov_b32_e32 v103, s22
	ds_read_b32 v103, v103
	v_add_u32_e32 v101, -1, v101
	s_add_i32 s22, s22, 4
	s_add_i32 s21, s21, 4
	v_cmp_eq_u32_e32 vcc, 0, v101
	s_or_b64 s[4:5], vcc, s[4:5]
	s_waitcnt vmcnt(0) lgkmcnt(0)
	v_fmac_f32_e32 v100, v102, v103
	s_andn2_b64 exec, exec, s[4:5]
	s_cbranch_execnz .LBB47_393
; %bb.394:
	s_or_b64 exec, exec, s[4:5]
.LBB47_395:
	s_or_b64 exec, exec, s[12:13]
	v_mov_b32_e32 v101, 0
	ds_read_b32 v101, v101 offset:28
	s_waitcnt lgkmcnt(0)
	v_mul_f32_e32 v100, v100, v101
	buffer_store_dword v100, off, s[0:3], 0 offset:28
.LBB47_396:
	s_or_b64 exec, exec, s[8:9]
	buffer_load_dword v100, off, s[0:3], 0 offset:24
	v_cmp_lt_u32_e64 s[4:5], 6, v0
	s_waitcnt vmcnt(0)
	ds_write_b32 v98, v100
	s_waitcnt lgkmcnt(0)
	; wave barrier
	s_and_saveexec_b64 s[8:9], s[4:5]
	s_cbranch_execz .LBB47_406
; %bb.397:
	s_andn2_b64 vcc, exec, s[10:11]
	s_cbranch_vccnz .LBB47_399
; %bb.398:
	buffer_load_dword v100, v99, s[0:3], 0 offen
	ds_read_b32 v101, v98
	s_waitcnt vmcnt(0) lgkmcnt(0)
	v_mul_f32_e32 v100, v100, v101
	s_cbranch_execz .LBB47_400
	s_branch .LBB47_401
.LBB47_399:
                                        ; implicit-def: $vgpr100
.LBB47_400:
	ds_read_b32 v100, v98
.LBB47_401:
	s_and_saveexec_b64 s[12:13], s[6:7]
	s_cbranch_execz .LBB47_405
; %bb.402:
	v_add_u32_e32 v101, -7, v0
	s_movk_i32 s21, 0xdc
	s_mov_b64 s[6:7], 0
.LBB47_403:                             ; =>This Inner Loop Header: Depth=1
	v_mov_b32_e32 v102, s20
	buffer_load_dword v102, v102, s[0:3], 0 offen
	v_mov_b32_e32 v103, s21
	ds_read_b32 v103, v103
	v_add_u32_e32 v101, -1, v101
	s_add_i32 s21, s21, 4
	s_add_i32 s20, s20, 4
	v_cmp_eq_u32_e32 vcc, 0, v101
	s_or_b64 s[6:7], vcc, s[6:7]
	s_waitcnt vmcnt(0) lgkmcnt(0)
	v_fmac_f32_e32 v100, v102, v103
	s_andn2_b64 exec, exec, s[6:7]
	s_cbranch_execnz .LBB47_403
; %bb.404:
	s_or_b64 exec, exec, s[6:7]
.LBB47_405:
	s_or_b64 exec, exec, s[12:13]
	v_mov_b32_e32 v101, 0
	ds_read_b32 v101, v101 offset:24
	s_waitcnt lgkmcnt(0)
	v_mul_f32_e32 v100, v100, v101
	buffer_store_dword v100, off, s[0:3], 0 offset:24
.LBB47_406:
	s_or_b64 exec, exec, s[8:9]
	buffer_load_dword v100, off, s[0:3], 0 offset:20
	v_cmp_lt_u32_e64 s[6:7], 5, v0
	s_waitcnt vmcnt(0)
	ds_write_b32 v98, v100
	s_waitcnt lgkmcnt(0)
	; wave barrier
	s_and_saveexec_b64 s[8:9], s[6:7]
	s_cbranch_execz .LBB47_416
; %bb.407:
	s_andn2_b64 vcc, exec, s[10:11]
	s_cbranch_vccnz .LBB47_409
; %bb.408:
	buffer_load_dword v100, v99, s[0:3], 0 offen
	ds_read_b32 v101, v98
	s_waitcnt vmcnt(0) lgkmcnt(0)
	v_mul_f32_e32 v100, v100, v101
	s_cbranch_execz .LBB47_410
	s_branch .LBB47_411
.LBB47_409:
                                        ; implicit-def: $vgpr100
.LBB47_410:
	ds_read_b32 v100, v98
.LBB47_411:
	s_and_saveexec_b64 s[12:13], s[4:5]
	s_cbranch_execz .LBB47_415
; %bb.412:
	v_add_u32_e32 v101, -6, v0
	s_movk_i32 s20, 0xd8
	s_mov_b64 s[4:5], 0
.LBB47_413:                             ; =>This Inner Loop Header: Depth=1
	v_mov_b32_e32 v102, s19
	buffer_load_dword v102, v102, s[0:3], 0 offen
	v_mov_b32_e32 v103, s20
	ds_read_b32 v103, v103
	v_add_u32_e32 v101, -1, v101
	s_add_i32 s20, s20, 4
	s_add_i32 s19, s19, 4
	v_cmp_eq_u32_e32 vcc, 0, v101
	s_or_b64 s[4:5], vcc, s[4:5]
	s_waitcnt vmcnt(0) lgkmcnt(0)
	v_fmac_f32_e32 v100, v102, v103
	s_andn2_b64 exec, exec, s[4:5]
	s_cbranch_execnz .LBB47_413
; %bb.414:
	s_or_b64 exec, exec, s[4:5]
.LBB47_415:
	s_or_b64 exec, exec, s[12:13]
	v_mov_b32_e32 v101, 0
	ds_read_b32 v101, v101 offset:20
	s_waitcnt lgkmcnt(0)
	v_mul_f32_e32 v100, v100, v101
	buffer_store_dword v100, off, s[0:3], 0 offset:20
.LBB47_416:
	s_or_b64 exec, exec, s[8:9]
	buffer_load_dword v100, off, s[0:3], 0 offset:16
	v_cmp_lt_u32_e64 s[4:5], 4, v0
	s_waitcnt vmcnt(0)
	ds_write_b32 v98, v100
	s_waitcnt lgkmcnt(0)
	; wave barrier
	s_and_saveexec_b64 s[8:9], s[4:5]
	s_cbranch_execz .LBB47_426
; %bb.417:
	s_andn2_b64 vcc, exec, s[10:11]
	s_cbranch_vccnz .LBB47_419
; %bb.418:
	buffer_load_dword v100, v99, s[0:3], 0 offen
	ds_read_b32 v101, v98
	s_waitcnt vmcnt(0) lgkmcnt(0)
	v_mul_f32_e32 v100, v100, v101
	s_cbranch_execz .LBB47_420
	s_branch .LBB47_421
.LBB47_419:
                                        ; implicit-def: $vgpr100
.LBB47_420:
	ds_read_b32 v100, v98
.LBB47_421:
	s_and_saveexec_b64 s[12:13], s[6:7]
	s_cbranch_execz .LBB47_425
; %bb.422:
	v_add_u32_e32 v101, -5, v0
	s_movk_i32 s19, 0xd4
	s_mov_b64 s[6:7], 0
.LBB47_423:                             ; =>This Inner Loop Header: Depth=1
	v_mov_b32_e32 v102, s18
	buffer_load_dword v102, v102, s[0:3], 0 offen
	v_mov_b32_e32 v103, s19
	ds_read_b32 v103, v103
	v_add_u32_e32 v101, -1, v101
	s_add_i32 s19, s19, 4
	s_add_i32 s18, s18, 4
	v_cmp_eq_u32_e32 vcc, 0, v101
	s_or_b64 s[6:7], vcc, s[6:7]
	s_waitcnt vmcnt(0) lgkmcnt(0)
	v_fmac_f32_e32 v100, v102, v103
	s_andn2_b64 exec, exec, s[6:7]
	s_cbranch_execnz .LBB47_423
; %bb.424:
	s_or_b64 exec, exec, s[6:7]
.LBB47_425:
	s_or_b64 exec, exec, s[12:13]
	v_mov_b32_e32 v101, 0
	ds_read_b32 v101, v101 offset:16
	s_waitcnt lgkmcnt(0)
	v_mul_f32_e32 v100, v100, v101
	buffer_store_dword v100, off, s[0:3], 0 offset:16
.LBB47_426:
	s_or_b64 exec, exec, s[8:9]
	buffer_load_dword v100, off, s[0:3], 0 offset:12
	v_cmp_lt_u32_e64 s[6:7], 3, v0
	s_waitcnt vmcnt(0)
	ds_write_b32 v98, v100
	s_waitcnt lgkmcnt(0)
	; wave barrier
	s_and_saveexec_b64 s[8:9], s[6:7]
	s_cbranch_execz .LBB47_436
; %bb.427:
	s_andn2_b64 vcc, exec, s[10:11]
	s_cbranch_vccnz .LBB47_429
; %bb.428:
	buffer_load_dword v100, v99, s[0:3], 0 offen
	ds_read_b32 v101, v98
	s_waitcnt vmcnt(0) lgkmcnt(0)
	v_mul_f32_e32 v100, v100, v101
	s_cbranch_execz .LBB47_430
	s_branch .LBB47_431
.LBB47_429:
                                        ; implicit-def: $vgpr100
.LBB47_430:
	ds_read_b32 v100, v98
.LBB47_431:
	s_and_saveexec_b64 s[12:13], s[4:5]
	s_cbranch_execz .LBB47_435
; %bb.432:
	v_add_u32_e32 v101, -4, v0
	s_movk_i32 s18, 0xd0
	s_mov_b64 s[4:5], 0
.LBB47_433:                             ; =>This Inner Loop Header: Depth=1
	v_mov_b32_e32 v102, s17
	buffer_load_dword v102, v102, s[0:3], 0 offen
	v_mov_b32_e32 v103, s18
	ds_read_b32 v103, v103
	v_add_u32_e32 v101, -1, v101
	s_add_i32 s18, s18, 4
	s_add_i32 s17, s17, 4
	v_cmp_eq_u32_e32 vcc, 0, v101
	s_or_b64 s[4:5], vcc, s[4:5]
	s_waitcnt vmcnt(0) lgkmcnt(0)
	v_fmac_f32_e32 v100, v102, v103
	s_andn2_b64 exec, exec, s[4:5]
	s_cbranch_execnz .LBB47_433
; %bb.434:
	s_or_b64 exec, exec, s[4:5]
.LBB47_435:
	s_or_b64 exec, exec, s[12:13]
	v_mov_b32_e32 v101, 0
	ds_read_b32 v101, v101 offset:12
	s_waitcnt lgkmcnt(0)
	v_mul_f32_e32 v100, v100, v101
	buffer_store_dword v100, off, s[0:3], 0 offset:12
.LBB47_436:
	s_or_b64 exec, exec, s[8:9]
	buffer_load_dword v100, off, s[0:3], 0 offset:8
	v_cmp_lt_u32_e64 s[4:5], 2, v0
	s_waitcnt vmcnt(0)
	ds_write_b32 v98, v100
	s_waitcnt lgkmcnt(0)
	; wave barrier
	s_and_saveexec_b64 s[8:9], s[4:5]
	s_cbranch_execz .LBB47_446
; %bb.437:
	s_andn2_b64 vcc, exec, s[10:11]
	s_cbranch_vccnz .LBB47_439
; %bb.438:
	buffer_load_dword v100, v99, s[0:3], 0 offen
	ds_read_b32 v101, v98
	s_waitcnt vmcnt(0) lgkmcnt(0)
	v_mul_f32_e32 v100, v100, v101
	s_cbranch_execz .LBB47_440
	s_branch .LBB47_441
.LBB47_439:
                                        ; implicit-def: $vgpr100
.LBB47_440:
	ds_read_b32 v100, v98
.LBB47_441:
	s_and_saveexec_b64 s[12:13], s[6:7]
	s_cbranch_execz .LBB47_445
; %bb.442:
	v_add_u32_e32 v101, -3, v0
	s_movk_i32 s17, 0xcc
	s_mov_b64 s[6:7], 0
.LBB47_443:                             ; =>This Inner Loop Header: Depth=1
	v_mov_b32_e32 v102, s16
	buffer_load_dword v102, v102, s[0:3], 0 offen
	v_mov_b32_e32 v103, s17
	ds_read_b32 v103, v103
	v_add_u32_e32 v101, -1, v101
	s_add_i32 s17, s17, 4
	s_add_i32 s16, s16, 4
	v_cmp_eq_u32_e32 vcc, 0, v101
	s_or_b64 s[6:7], vcc, s[6:7]
	s_waitcnt vmcnt(0) lgkmcnt(0)
	v_fmac_f32_e32 v100, v102, v103
	s_andn2_b64 exec, exec, s[6:7]
	s_cbranch_execnz .LBB47_443
; %bb.444:
	s_or_b64 exec, exec, s[6:7]
.LBB47_445:
	s_or_b64 exec, exec, s[12:13]
	v_mov_b32_e32 v101, 0
	ds_read_b32 v101, v101 offset:8
	s_waitcnt lgkmcnt(0)
	v_mul_f32_e32 v100, v100, v101
	buffer_store_dword v100, off, s[0:3], 0 offset:8
.LBB47_446:
	s_or_b64 exec, exec, s[8:9]
	buffer_load_dword v100, off, s[0:3], 0 offset:4
	v_cmp_lt_u32_e64 s[6:7], 1, v0
	s_waitcnt vmcnt(0)
	ds_write_b32 v98, v100
	s_waitcnt lgkmcnt(0)
	; wave barrier
	s_and_saveexec_b64 s[8:9], s[6:7]
	s_cbranch_execz .LBB47_456
; %bb.447:
	s_andn2_b64 vcc, exec, s[10:11]
	s_cbranch_vccnz .LBB47_449
; %bb.448:
	buffer_load_dword v100, v99, s[0:3], 0 offen
	ds_read_b32 v101, v98
	s_waitcnt vmcnt(0) lgkmcnt(0)
	v_mul_f32_e32 v100, v100, v101
	s_cbranch_execz .LBB47_450
	s_branch .LBB47_451
.LBB47_449:
                                        ; implicit-def: $vgpr100
.LBB47_450:
	ds_read_b32 v100, v98
.LBB47_451:
	s_and_saveexec_b64 s[12:13], s[4:5]
	s_cbranch_execz .LBB47_455
; %bb.452:
	v_add_u32_e32 v101, -2, v0
	s_movk_i32 s16, 0xc8
	s_mov_b64 s[4:5], 0
.LBB47_453:                             ; =>This Inner Loop Header: Depth=1
	v_mov_b32_e32 v102, s15
	buffer_load_dword v102, v102, s[0:3], 0 offen
	v_mov_b32_e32 v103, s16
	ds_read_b32 v103, v103
	v_add_u32_e32 v101, -1, v101
	s_add_i32 s16, s16, 4
	s_add_i32 s15, s15, 4
	v_cmp_eq_u32_e32 vcc, 0, v101
	s_or_b64 s[4:5], vcc, s[4:5]
	s_waitcnt vmcnt(0) lgkmcnt(0)
	v_fmac_f32_e32 v100, v102, v103
	s_andn2_b64 exec, exec, s[4:5]
	s_cbranch_execnz .LBB47_453
; %bb.454:
	s_or_b64 exec, exec, s[4:5]
.LBB47_455:
	s_or_b64 exec, exec, s[12:13]
	v_mov_b32_e32 v101, 0
	ds_read_b32 v101, v101 offset:4
	s_waitcnt lgkmcnt(0)
	v_mul_f32_e32 v100, v100, v101
	buffer_store_dword v100, off, s[0:3], 0 offset:4
.LBB47_456:
	s_or_b64 exec, exec, s[8:9]
	buffer_load_dword v100, off, s[0:3], 0
	v_cmp_ne_u32_e32 vcc, 0, v0
	s_waitcnt vmcnt(0)
	ds_write_b32 v98, v100
	s_waitcnt lgkmcnt(0)
	; wave barrier
	s_and_saveexec_b64 s[4:5], vcc
	s_cbranch_execz .LBB47_466
; %bb.457:
	s_andn2_b64 vcc, exec, s[10:11]
	s_cbranch_vccnz .LBB47_459
; %bb.458:
	buffer_load_dword v100, v99, s[0:3], 0 offen
	ds_read_b32 v101, v98
	s_waitcnt vmcnt(0) lgkmcnt(0)
	v_mul_f32_e32 v100, v100, v101
	s_cbranch_execz .LBB47_460
	s_branch .LBB47_461
.LBB47_459:
                                        ; implicit-def: $vgpr100
.LBB47_460:
	ds_read_b32 v100, v98
.LBB47_461:
	s_and_saveexec_b64 s[8:9], s[6:7]
	s_cbranch_execz .LBB47_465
; %bb.462:
	v_add_u32_e32 v101, -1, v0
	s_movk_i32 s12, 0xc4
	s_mov_b64 s[6:7], 0
.LBB47_463:                             ; =>This Inner Loop Header: Depth=1
	v_mov_b32_e32 v102, s14
	buffer_load_dword v102, v102, s[0:3], 0 offen
	v_mov_b32_e32 v103, s12
	ds_read_b32 v103, v103
	v_add_u32_e32 v101, -1, v101
	s_add_i32 s12, s12, 4
	s_add_i32 s14, s14, 4
	v_cmp_eq_u32_e32 vcc, 0, v101
	s_or_b64 s[6:7], vcc, s[6:7]
	s_waitcnt vmcnt(0) lgkmcnt(0)
	v_fmac_f32_e32 v100, v102, v103
	s_andn2_b64 exec, exec, s[6:7]
	s_cbranch_execnz .LBB47_463
; %bb.464:
	s_or_b64 exec, exec, s[6:7]
.LBB47_465:
	s_or_b64 exec, exec, s[8:9]
	v_mov_b32_e32 v101, 0
	ds_read_b32 v101, v101
	s_waitcnt lgkmcnt(0)
	v_mul_f32_e32 v100, v100, v101
	buffer_store_dword v100, off, s[0:3], 0
.LBB47_466:
	s_or_b64 exec, exec, s[4:5]
	s_mov_b64 s[4:5], 0
.LBB47_467:
	s_and_b64 vcc, exec, s[4:5]
	s_cbranch_vccz .LBB47_929
; %bb.468:
	buffer_load_dword v100, off, s[0:3], 0 offset:4
	v_cmp_eq_u32_e64 s[6:7], 0, v0
	s_waitcnt vmcnt(0)
	ds_write_b32 v98, v100
	s_waitcnt lgkmcnt(0)
	; wave barrier
	s_and_saveexec_b64 s[4:5], s[6:7]
	s_cbranch_execz .LBB47_474
; %bb.469:
	s_and_b64 vcc, exec, s[10:11]
	s_cbranch_vccz .LBB47_471
; %bb.470:
	buffer_load_dword v100, v99, s[0:3], 0 offen
	ds_read_b32 v101, v98
	s_waitcnt vmcnt(0) lgkmcnt(0)
	v_mul_f32_e32 v100, v100, v101
	s_cbranch_execz .LBB47_472
	s_branch .LBB47_473
.LBB47_471:
                                        ; implicit-def: $vgpr100
.LBB47_472:
	ds_read_b32 v100, v98
.LBB47_473:
	v_mov_b32_e32 v101, 0
	ds_read_b32 v101, v101 offset:4
	s_waitcnt lgkmcnt(0)
	v_mul_f32_e32 v100, v100, v101
	buffer_store_dword v100, off, s[0:3], 0 offset:4
.LBB47_474:
	s_or_b64 exec, exec, s[4:5]
	buffer_load_dword v100, off, s[0:3], 0 offset:8
	v_cndmask_b32_e64 v101, 0, 1, s[10:11]
	v_cmp_gt_u32_e32 vcc, 2, v0
	v_cmp_ne_u32_e64 s[4:5], 1, v101
	s_waitcnt vmcnt(0)
	ds_write_b32 v98, v100
	s_waitcnt lgkmcnt(0)
	; wave barrier
	s_and_saveexec_b64 s[8:9], vcc
	s_cbranch_execz .LBB47_480
; %bb.475:
	s_and_b64 vcc, exec, s[4:5]
	s_cbranch_vccnz .LBB47_477
; %bb.476:
	buffer_load_dword v100, v99, s[0:3], 0 offen
	ds_read_b32 v101, v98
	s_waitcnt vmcnt(0) lgkmcnt(0)
	v_mul_f32_e32 v100, v100, v101
	s_cbranch_execz .LBB47_478
	s_branch .LBB47_479
.LBB47_477:
                                        ; implicit-def: $vgpr100
.LBB47_478:
	ds_read_b32 v100, v98
.LBB47_479:
	buffer_load_dword v103, off, s[0:3], 0 offset:4
	v_mov_b32_e32 v101, 0
	ds_read2_b32 v[101:102], v101 offset0:2 offset1:49
	s_waitcnt vmcnt(0) lgkmcnt(0)
	v_fma_f32 v102, v103, v102, v100
	v_cndmask_b32_e64 v100, v100, v102, s[6:7]
	v_mul_f32_e32 v100, v100, v101
	buffer_store_dword v100, off, s[0:3], 0 offset:8
.LBB47_480:
	s_or_b64 exec, exec, s[8:9]
	buffer_load_dword v100, off, s[0:3], 0 offset:12
	v_cmp_gt_u32_e32 vcc, 3, v0
	s_waitcnt vmcnt(0)
	ds_write_b32 v98, v100
	s_waitcnt lgkmcnt(0)
	; wave barrier
	s_and_saveexec_b64 s[8:9], vcc
	s_cbranch_execz .LBB47_488
; %bb.481:
	s_and_b64 vcc, exec, s[4:5]
	s_cbranch_vccnz .LBB47_483
; %bb.482:
	buffer_load_dword v100, v99, s[0:3], 0 offen
	ds_read_b32 v101, v98
	s_waitcnt vmcnt(0) lgkmcnt(0)
	v_mul_f32_e32 v100, v100, v101
	s_cbranch_execz .LBB47_484
	s_branch .LBB47_485
.LBB47_483:
                                        ; implicit-def: $vgpr100
.LBB47_484:
	ds_read_b32 v100, v98
.LBB47_485:
	v_cmp_ne_u32_e32 vcc, 2, v0
	s_and_saveexec_b64 s[10:11], vcc
	s_cbranch_execz .LBB47_487
; %bb.486:
	buffer_load_dword v101, v99, s[0:3], 0 offen offset:4
	buffer_load_dword v102, off, s[0:3], 0 offset:8
	v_mov_b32_e32 v103, 0
	ds_read_b32 v104, v98 offset:4
	ds_read_b32 v103, v103 offset:200
	s_waitcnt vmcnt(1) lgkmcnt(1)
	v_fmac_f32_e32 v100, v101, v104
	s_waitcnt vmcnt(0) lgkmcnt(0)
	v_fma_f32 v101, v102, v103, v100
	v_cndmask_b32_e64 v100, v100, v101, s[6:7]
.LBB47_487:
	s_or_b64 exec, exec, s[10:11]
	v_mov_b32_e32 v101, 0
	ds_read_b32 v101, v101 offset:12
	s_waitcnt lgkmcnt(0)
	v_mul_f32_e32 v100, v100, v101
	buffer_store_dword v100, off, s[0:3], 0 offset:12
.LBB47_488:
	s_or_b64 exec, exec, s[8:9]
	buffer_load_dword v100, off, s[0:3], 0 offset:16
	v_cmp_gt_u32_e32 vcc, 4, v0
	s_waitcnt vmcnt(0)
	ds_write_b32 v98, v100
	s_waitcnt lgkmcnt(0)
	; wave barrier
	s_and_saveexec_b64 s[6:7], vcc
	s_cbranch_execz .LBB47_498
; %bb.489:
	s_and_b64 vcc, exec, s[4:5]
	s_cbranch_vccnz .LBB47_491
; %bb.490:
	buffer_load_dword v100, v99, s[0:3], 0 offen
	ds_read_b32 v101, v98
	s_waitcnt vmcnt(0) lgkmcnt(0)
	v_mul_f32_e32 v100, v100, v101
	s_cbranch_execz .LBB47_492
	s_branch .LBB47_493
.LBB47_491:
                                        ; implicit-def: $vgpr100
.LBB47_492:
	ds_read_b32 v100, v98
.LBB47_493:
	v_cmp_ne_u32_e32 vcc, 3, v0
	s_and_saveexec_b64 s[8:9], vcc
	s_cbranch_execz .LBB47_497
; %bb.494:
	s_mov_b32 s10, 0
	v_add_u32_e32 v101, 0xc4, v97
	v_add3_u32 v102, v97, s10, 4
	s_mov_b64 s[10:11], 0
	v_mov_b32_e32 v103, v0
.LBB47_495:                             ; =>This Inner Loop Header: Depth=1
	buffer_load_dword v104, v102, s[0:3], 0 offen
	ds_read_b32 v105, v101
	v_add_u32_e32 v103, 1, v103
	v_cmp_lt_u32_e32 vcc, 2, v103
	v_add_u32_e32 v101, 4, v101
	v_add_u32_e32 v102, 4, v102
	s_or_b64 s[10:11], vcc, s[10:11]
	s_waitcnt vmcnt(0) lgkmcnt(0)
	v_fmac_f32_e32 v100, v104, v105
	s_andn2_b64 exec, exec, s[10:11]
	s_cbranch_execnz .LBB47_495
; %bb.496:
	s_or_b64 exec, exec, s[10:11]
.LBB47_497:
	s_or_b64 exec, exec, s[8:9]
	v_mov_b32_e32 v101, 0
	ds_read_b32 v101, v101 offset:16
	s_waitcnt lgkmcnt(0)
	v_mul_f32_e32 v100, v100, v101
	buffer_store_dword v100, off, s[0:3], 0 offset:16
.LBB47_498:
	s_or_b64 exec, exec, s[6:7]
	buffer_load_dword v100, off, s[0:3], 0 offset:20
	v_cmp_gt_u32_e32 vcc, 5, v0
	s_waitcnt vmcnt(0)
	ds_write_b32 v98, v100
	s_waitcnt lgkmcnt(0)
	; wave barrier
	s_and_saveexec_b64 s[6:7], vcc
	s_cbranch_execz .LBB47_508
; %bb.499:
	s_and_b64 vcc, exec, s[4:5]
	s_cbranch_vccnz .LBB47_501
; %bb.500:
	buffer_load_dword v100, v99, s[0:3], 0 offen
	ds_read_b32 v101, v98
	s_waitcnt vmcnt(0) lgkmcnt(0)
	v_mul_f32_e32 v100, v100, v101
	s_cbranch_execz .LBB47_502
	s_branch .LBB47_503
.LBB47_501:
                                        ; implicit-def: $vgpr100
.LBB47_502:
	ds_read_b32 v100, v98
.LBB47_503:
	v_cmp_ne_u32_e32 vcc, 4, v0
	s_and_saveexec_b64 s[8:9], vcc
	s_cbranch_execz .LBB47_507
; %bb.504:
	s_mov_b32 s10, 0
	v_add_u32_e32 v101, 0xc4, v97
	v_add3_u32 v102, v97, s10, 4
	s_mov_b64 s[10:11], 0
	v_mov_b32_e32 v103, v0
.LBB47_505:                             ; =>This Inner Loop Header: Depth=1
	buffer_load_dword v104, v102, s[0:3], 0 offen
	ds_read_b32 v105, v101
	v_add_u32_e32 v103, 1, v103
	v_cmp_lt_u32_e32 vcc, 3, v103
	v_add_u32_e32 v101, 4, v101
	v_add_u32_e32 v102, 4, v102
	s_or_b64 s[10:11], vcc, s[10:11]
	s_waitcnt vmcnt(0) lgkmcnt(0)
	v_fmac_f32_e32 v100, v104, v105
	s_andn2_b64 exec, exec, s[10:11]
	s_cbranch_execnz .LBB47_505
; %bb.506:
	s_or_b64 exec, exec, s[10:11]
.LBB47_507:
	s_or_b64 exec, exec, s[8:9]
	v_mov_b32_e32 v101, 0
	ds_read_b32 v101, v101 offset:20
	s_waitcnt lgkmcnt(0)
	v_mul_f32_e32 v100, v100, v101
	buffer_store_dword v100, off, s[0:3], 0 offset:20
.LBB47_508:
	;; [unrolled: 55-line block ×42, first 2 shown]
	s_or_b64 exec, exec, s[6:7]
	buffer_load_dword v100, off, s[0:3], 0 offset:184
	v_cmp_gt_u32_e64 s[6:7], 46, v0
	s_waitcnt vmcnt(0)
	ds_write_b32 v98, v100
	s_waitcnt lgkmcnt(0)
	; wave barrier
	s_and_saveexec_b64 s[8:9], s[6:7]
	s_cbranch_execz .LBB47_918
; %bb.909:
	s_and_b64 vcc, exec, s[4:5]
	s_cbranch_vccnz .LBB47_911
; %bb.910:
	buffer_load_dword v100, v99, s[0:3], 0 offen
	ds_read_b32 v101, v98
	s_waitcnt vmcnt(0) lgkmcnt(0)
	v_mul_f32_e32 v100, v100, v101
	s_cbranch_execz .LBB47_912
	s_branch .LBB47_913
.LBB47_911:
                                        ; implicit-def: $vgpr100
.LBB47_912:
	ds_read_b32 v100, v98
.LBB47_913:
	v_cmp_ne_u32_e32 vcc, 45, v0
	s_and_saveexec_b64 s[10:11], vcc
	s_cbranch_execz .LBB47_917
; %bb.914:
	s_mov_b32 s12, 0
	v_add_u32_e32 v101, 0xc4, v97
	v_add3_u32 v102, v97, s12, 4
	s_mov_b64 s[12:13], 0
	v_mov_b32_e32 v103, v0
.LBB47_915:                             ; =>This Inner Loop Header: Depth=1
	buffer_load_dword v104, v102, s[0:3], 0 offen
	ds_read_b32 v105, v101
	v_add_u32_e32 v103, 1, v103
	v_cmp_lt_u32_e32 vcc, 44, v103
	v_add_u32_e32 v101, 4, v101
	v_add_u32_e32 v102, 4, v102
	s_or_b64 s[12:13], vcc, s[12:13]
	s_waitcnt vmcnt(0) lgkmcnt(0)
	v_fmac_f32_e32 v100, v104, v105
	s_andn2_b64 exec, exec, s[12:13]
	s_cbranch_execnz .LBB47_915
; %bb.916:
	s_or_b64 exec, exec, s[12:13]
.LBB47_917:
	s_or_b64 exec, exec, s[10:11]
	v_mov_b32_e32 v101, 0
	ds_read_b32 v101, v101 offset:184
	s_waitcnt lgkmcnt(0)
	v_mul_f32_e32 v100, v100, v101
	buffer_store_dword v100, off, s[0:3], 0 offset:184
.LBB47_918:
	s_or_b64 exec, exec, s[8:9]
	buffer_load_dword v100, off, s[0:3], 0 offset:188
	v_cmp_ne_u32_e32 vcc, 47, v0
	s_waitcnt vmcnt(0)
	ds_write_b32 v98, v100
	s_waitcnt lgkmcnt(0)
	; wave barrier
	s_and_saveexec_b64 s[8:9], vcc
	s_cbranch_execz .LBB47_928
; %bb.919:
	s_and_b64 vcc, exec, s[4:5]
	s_cbranch_vccnz .LBB47_921
; %bb.920:
	buffer_load_dword v99, v99, s[0:3], 0 offen
	ds_read_b32 v100, v98
	s_waitcnt vmcnt(0) lgkmcnt(0)
	v_mul_f32_e32 v99, v99, v100
	s_cbranch_execz .LBB47_922
	s_branch .LBB47_923
.LBB47_921:
                                        ; implicit-def: $vgpr99
.LBB47_922:
	ds_read_b32 v99, v98
.LBB47_923:
	s_and_saveexec_b64 s[4:5], s[6:7]
	s_cbranch_execz .LBB47_927
; %bb.924:
	s_mov_b32 s6, 0
	v_add_u32_e32 v98, 0xc4, v97
	v_add3_u32 v97, v97, s6, 4
	s_mov_b64 s[6:7], 0
.LBB47_925:                             ; =>This Inner Loop Header: Depth=1
	buffer_load_dword v100, v97, s[0:3], 0 offen
	ds_read_b32 v101, v98
	v_add_u32_e32 v0, 1, v0
	v_cmp_lt_u32_e32 vcc, 45, v0
	v_add_u32_e32 v98, 4, v98
	v_add_u32_e32 v97, 4, v97
	s_or_b64 s[6:7], vcc, s[6:7]
	s_waitcnt vmcnt(0) lgkmcnt(0)
	v_fmac_f32_e32 v99, v100, v101
	s_andn2_b64 exec, exec, s[6:7]
	s_cbranch_execnz .LBB47_925
; %bb.926:
	s_or_b64 exec, exec, s[6:7]
.LBB47_927:
	s_or_b64 exec, exec, s[4:5]
	v_mov_b32_e32 v0, 0
	ds_read_b32 v0, v0 offset:188
	s_waitcnt lgkmcnt(0)
	v_mul_f32_e32 v0, v99, v0
	buffer_store_dword v0, off, s[0:3], 0 offset:188
.LBB47_928:
	s_or_b64 exec, exec, s[8:9]
.LBB47_929:
	buffer_load_dword v0, off, s[0:3], 0
	buffer_load_dword v97, off, s[0:3], 0 offset:4
	buffer_load_dword v98, off, s[0:3], 0 offset:8
	buffer_load_dword v99, off, s[0:3], 0 offset:12
	buffer_load_dword v100, off, s[0:3], 0 offset:16
	buffer_load_dword v101, off, s[0:3], 0 offset:20
	buffer_load_dword v102, off, s[0:3], 0 offset:24
	buffer_load_dword v103, off, s[0:3], 0 offset:28
	buffer_load_dword v104, off, s[0:3], 0 offset:32
	buffer_load_dword v105, off, s[0:3], 0 offset:36
	buffer_load_dword v106, off, s[0:3], 0 offset:40
	buffer_load_dword v107, off, s[0:3], 0 offset:44
	buffer_load_dword v108, off, s[0:3], 0 offset:48
	buffer_load_dword v109, off, s[0:3], 0 offset:52
	buffer_load_dword v110, off, s[0:3], 0 offset:56
	buffer_load_dword v111, off, s[0:3], 0 offset:60
	buffer_load_dword v112, off, s[0:3], 0 offset:64
	buffer_load_dword v113, off, s[0:3], 0 offset:68
	buffer_load_dword v114, off, s[0:3], 0 offset:72
	buffer_load_dword v115, off, s[0:3], 0 offset:76
	buffer_load_dword v116, off, s[0:3], 0 offset:80
	buffer_load_dword v117, off, s[0:3], 0 offset:84
	buffer_load_dword v118, off, s[0:3], 0 offset:88
	buffer_load_dword v119, off, s[0:3], 0 offset:92
	s_waitcnt vmcnt(23)
	global_store_dword v[81:82], v0, off
	s_waitcnt vmcnt(23)
	global_store_dword v[87:88], v97, off
	buffer_load_dword v0, off, s[0:3], 0 offset:96
	buffer_load_dword v81, off, s[0:3], 0 offset:100
	;; [unrolled: 1-line block ×3, first 2 shown]
	s_nop 0
	buffer_load_dword v87, off, s[0:3], 0 offset:108
	buffer_load_dword v88, off, s[0:3], 0 offset:112
	;; [unrolled: 1-line block ×5, first 2 shown]
	s_waitcnt vmcnt(31)
	global_store_dword v[1:2], v98, off
	s_waitcnt vmcnt(31)
	global_store_dword v[5:6], v99, off
	buffer_load_dword v1, off, s[0:3], 0 offset:128
	buffer_load_dword v2, off, s[0:3], 0 offset:132
	s_nop 0
	buffer_load_dword v5, off, s[0:3], 0 offset:136
	buffer_load_dword v6, off, s[0:3], 0 offset:140
	;; [unrolled: 1-line block ×6, first 2 shown]
	s_waitcnt vmcnt(39)
	global_store_dword v[3:4], v100, off
	s_waitcnt vmcnt(39)
	global_store_dword v[7:8], v101, off
	;; [unrolled: 2-line block ×3, first 2 shown]
	buffer_load_dword v3, off, s[0:3], 0 offset:160
	buffer_load_dword v4, off, s[0:3], 0 offset:164
	;; [unrolled: 1-line block ×4, first 2 shown]
	s_nop 0
	buffer_load_dword v11, off, s[0:3], 0 offset:176
	buffer_load_dword v12, off, s[0:3], 0 offset:180
	;; [unrolled: 1-line block ×4, first 2 shown]
	s_waitcnt vmcnt(47)
	global_store_dword v[9:10], v103, off
	s_waitcnt vmcnt(47)
	global_store_dword v[13:14], v104, off
	;; [unrolled: 2-line block ×41, first 2 shown]
.LBB47_930:
	s_endpgm
	.section	.rodata,"a",@progbits
	.p2align	6, 0x0
	.amdhsa_kernel _ZN9rocsolver6v33100L18trti2_kernel_smallILi48EfPfEEv13rocblas_fill_17rocblas_diagonal_T1_iil
		.amdhsa_group_segment_fixed_size 384
		.amdhsa_private_segment_fixed_size 208
		.amdhsa_kernarg_size 32
		.amdhsa_user_sgpr_count 6
		.amdhsa_user_sgpr_private_segment_buffer 1
		.amdhsa_user_sgpr_dispatch_ptr 0
		.amdhsa_user_sgpr_queue_ptr 0
		.amdhsa_user_sgpr_kernarg_segment_ptr 1
		.amdhsa_user_sgpr_dispatch_id 0
		.amdhsa_user_sgpr_flat_scratch_init 0
		.amdhsa_user_sgpr_private_segment_size 0
		.amdhsa_uses_dynamic_stack 0
		.amdhsa_system_sgpr_private_segment_wavefront_offset 1
		.amdhsa_system_sgpr_workgroup_id_x 1
		.amdhsa_system_sgpr_workgroup_id_y 0
		.amdhsa_system_sgpr_workgroup_id_z 0
		.amdhsa_system_sgpr_workgroup_info 0
		.amdhsa_system_vgpr_workitem_id 0
		.amdhsa_next_free_vgpr 124
		.amdhsa_next_free_sgpr 61
		.amdhsa_reserve_vcc 1
		.amdhsa_reserve_flat_scratch 0
		.amdhsa_float_round_mode_32 0
		.amdhsa_float_round_mode_16_64 0
		.amdhsa_float_denorm_mode_32 3
		.amdhsa_float_denorm_mode_16_64 3
		.amdhsa_dx10_clamp 1
		.amdhsa_ieee_mode 1
		.amdhsa_fp16_overflow 0
		.amdhsa_exception_fp_ieee_invalid_op 0
		.amdhsa_exception_fp_denorm_src 0
		.amdhsa_exception_fp_ieee_div_zero 0
		.amdhsa_exception_fp_ieee_overflow 0
		.amdhsa_exception_fp_ieee_underflow 0
		.amdhsa_exception_fp_ieee_inexact 0
		.amdhsa_exception_int_div_zero 0
	.end_amdhsa_kernel
	.section	.text._ZN9rocsolver6v33100L18trti2_kernel_smallILi48EfPfEEv13rocblas_fill_17rocblas_diagonal_T1_iil,"axG",@progbits,_ZN9rocsolver6v33100L18trti2_kernel_smallILi48EfPfEEv13rocblas_fill_17rocblas_diagonal_T1_iil,comdat
.Lfunc_end47:
	.size	_ZN9rocsolver6v33100L18trti2_kernel_smallILi48EfPfEEv13rocblas_fill_17rocblas_diagonal_T1_iil, .Lfunc_end47-_ZN9rocsolver6v33100L18trti2_kernel_smallILi48EfPfEEv13rocblas_fill_17rocblas_diagonal_T1_iil
                                        ; -- End function
	.set _ZN9rocsolver6v33100L18trti2_kernel_smallILi48EfPfEEv13rocblas_fill_17rocblas_diagonal_T1_iil.num_vgpr, 124
	.set _ZN9rocsolver6v33100L18trti2_kernel_smallILi48EfPfEEv13rocblas_fill_17rocblas_diagonal_T1_iil.num_agpr, 0
	.set _ZN9rocsolver6v33100L18trti2_kernel_smallILi48EfPfEEv13rocblas_fill_17rocblas_diagonal_T1_iil.numbered_sgpr, 61
	.set _ZN9rocsolver6v33100L18trti2_kernel_smallILi48EfPfEEv13rocblas_fill_17rocblas_diagonal_T1_iil.num_named_barrier, 0
	.set _ZN9rocsolver6v33100L18trti2_kernel_smallILi48EfPfEEv13rocblas_fill_17rocblas_diagonal_T1_iil.private_seg_size, 208
	.set _ZN9rocsolver6v33100L18trti2_kernel_smallILi48EfPfEEv13rocblas_fill_17rocblas_diagonal_T1_iil.uses_vcc, 1
	.set _ZN9rocsolver6v33100L18trti2_kernel_smallILi48EfPfEEv13rocblas_fill_17rocblas_diagonal_T1_iil.uses_flat_scratch, 0
	.set _ZN9rocsolver6v33100L18trti2_kernel_smallILi48EfPfEEv13rocblas_fill_17rocblas_diagonal_T1_iil.has_dyn_sized_stack, 0
	.set _ZN9rocsolver6v33100L18trti2_kernel_smallILi48EfPfEEv13rocblas_fill_17rocblas_diagonal_T1_iil.has_recursion, 0
	.set _ZN9rocsolver6v33100L18trti2_kernel_smallILi48EfPfEEv13rocblas_fill_17rocblas_diagonal_T1_iil.has_indirect_call, 0
	.section	.AMDGPU.csdata,"",@progbits
; Kernel info:
; codeLenInByte = 23308
; TotalNumSgprs: 65
; NumVgprs: 124
; ScratchSize: 208
; MemoryBound: 0
; FloatMode: 240
; IeeeMode: 1
; LDSByteSize: 384 bytes/workgroup (compile time only)
; SGPRBlocks: 8
; VGPRBlocks: 30
; NumSGPRsForWavesPerEU: 65
; NumVGPRsForWavesPerEU: 124
; Occupancy: 2
; WaveLimiterHint : 0
; COMPUTE_PGM_RSRC2:SCRATCH_EN: 1
; COMPUTE_PGM_RSRC2:USER_SGPR: 6
; COMPUTE_PGM_RSRC2:TRAP_HANDLER: 0
; COMPUTE_PGM_RSRC2:TGID_X_EN: 1
; COMPUTE_PGM_RSRC2:TGID_Y_EN: 0
; COMPUTE_PGM_RSRC2:TGID_Z_EN: 0
; COMPUTE_PGM_RSRC2:TIDIG_COMP_CNT: 0
	.section	.text._ZN9rocsolver6v33100L18trti2_kernel_smallILi49EfPfEEv13rocblas_fill_17rocblas_diagonal_T1_iil,"axG",@progbits,_ZN9rocsolver6v33100L18trti2_kernel_smallILi49EfPfEEv13rocblas_fill_17rocblas_diagonal_T1_iil,comdat
	.globl	_ZN9rocsolver6v33100L18trti2_kernel_smallILi49EfPfEEv13rocblas_fill_17rocblas_diagonal_T1_iil ; -- Begin function _ZN9rocsolver6v33100L18trti2_kernel_smallILi49EfPfEEv13rocblas_fill_17rocblas_diagonal_T1_iil
	.p2align	8
	.type	_ZN9rocsolver6v33100L18trti2_kernel_smallILi49EfPfEEv13rocblas_fill_17rocblas_diagonal_T1_iil,@function
_ZN9rocsolver6v33100L18trti2_kernel_smallILi49EfPfEEv13rocblas_fill_17rocblas_diagonal_T1_iil: ; @_ZN9rocsolver6v33100L18trti2_kernel_smallILi49EfPfEEv13rocblas_fill_17rocblas_diagonal_T1_iil
; %bb.0:
	s_add_u32 s0, s0, s7
	s_addc_u32 s1, s1, 0
	v_cmp_gt_u32_e32 vcc, 49, v0
	s_and_saveexec_b64 s[8:9], vcc
	s_cbranch_execz .LBB48_950
; %bb.1:
	s_load_dwordx8 s[8:15], s[4:5], 0x0
	s_ashr_i32 s7, s6, 31
	v_lshlrev_b32_e32 v99, 2, v0
	s_waitcnt lgkmcnt(0)
	s_ashr_i32 s5, s12, 31
	s_mov_b32 s4, s12
	s_mul_hi_u32 s12, s14, s6
	s_mul_i32 s7, s14, s7
	s_add_i32 s7, s12, s7
	s_mul_i32 s12, s15, s6
	s_add_i32 s7, s7, s12
	s_mul_i32 s6, s14, s6
	s_lshl_b64 s[6:7], s[6:7], 2
	s_add_u32 s6, s10, s6
	s_addc_u32 s7, s11, s7
	s_lshl_b64 s[4:5], s[4:5], 2
	s_add_u32 s4, s6, s4
	s_addc_u32 s5, s7, s5
	s_add_i32 s6, s13, s13
	v_add_u32_e32 v3, s6, v0
	v_ashrrev_i32_e32 v4, 31, v3
	v_lshlrev_b64 v[1:2], 2, v[3:4]
	v_add_u32_e32 v5, s13, v3
	v_mov_b32_e32 v4, s5
	v_add_co_u32_e32 v1, vcc, s4, v1
	v_ashrrev_i32_e32 v6, 31, v5
	v_addc_co_u32_e32 v2, vcc, v4, v2, vcc
	v_lshlrev_b64 v[3:4], 2, v[5:6]
	v_mov_b32_e32 v6, s5
	v_add_co_u32_e32 v3, vcc, s4, v3
	v_add_u32_e32 v5, s13, v5
	v_addc_co_u32_e32 v4, vcc, v6, v4, vcc
	v_ashrrev_i32_e32 v6, 31, v5
	v_lshlrev_b64 v[7:8], 2, v[5:6]
	v_add_u32_e32 v9, s13, v5
	v_mov_b32_e32 v6, s5
	v_add_co_u32_e32 v7, vcc, s4, v7
	v_ashrrev_i32_e32 v10, 31, v9
	v_addc_co_u32_e32 v8, vcc, v6, v8, vcc
	v_lshlrev_b64 v[5:6], 2, v[9:10]
	v_add_u32_e32 v11, s13, v9
	v_mov_b32_e32 v10, s5
	v_add_co_u32_e32 v5, vcc, s4, v5
	v_ashrrev_i32_e32 v12, 31, v11
	v_addc_co_u32_e32 v6, vcc, v10, v6, vcc
	v_lshlrev_b64 v[9:10], 2, v[11:12]
	v_mov_b32_e32 v12, s5
	v_add_co_u32_e32 v9, vcc, s4, v9
	v_add_u32_e32 v11, s13, v11
	v_addc_co_u32_e32 v10, vcc, v12, v10, vcc
	v_ashrrev_i32_e32 v12, 31, v11
	v_lshlrev_b64 v[13:14], 2, v[11:12]
	v_add_u32_e32 v15, s13, v11
	v_mov_b32_e32 v12, s5
	v_add_co_u32_e32 v13, vcc, s4, v13
	v_ashrrev_i32_e32 v16, 31, v15
	v_addc_co_u32_e32 v14, vcc, v12, v14, vcc
	v_lshlrev_b64 v[11:12], 2, v[15:16]
	v_add_u32_e32 v17, s13, v15
	v_mov_b32_e32 v16, s5
	v_add_co_u32_e32 v11, vcc, s4, v11
	v_ashrrev_i32_e32 v18, 31, v17
	v_addc_co_u32_e32 v12, vcc, v16, v12, vcc
	;; [unrolled: 6-line block ×3, first 2 shown]
	v_lshlrev_b64 v[17:18], 2, v[19:20]
	v_mov_b32_e32 v21, s5
	v_add_co_u32_e32 v17, vcc, s4, v17
	v_addc_co_u32_e32 v18, vcc, v21, v18, vcc
	v_add_u32_e32 v21, s13, v19
	v_ashrrev_i32_e32 v22, 31, v21
	v_lshlrev_b64 v[19:20], 2, v[21:22]
	v_mov_b32_e32 v23, s5
	v_add_co_u32_e32 v19, vcc, s4, v19
	v_addc_co_u32_e32 v20, vcc, v23, v20, vcc
	v_add_u32_e32 v23, s13, v21
	v_ashrrev_i32_e32 v24, 31, v23
	;; [unrolled: 6-line block ×22, first 2 shown]
	v_lshlrev_b64 v[61:62], 2, v[63:64]
	v_mov_b32_e32 v65, s5
	v_add_co_u32_e32 v61, vcc, s4, v61
	v_addc_co_u32_e32 v62, vcc, v65, v62, vcc
	v_add_u32_e32 v65, s13, v63
	global_load_dword v97, v99, s[4:5]
	v_ashrrev_i32_e32 v66, 31, v65
	v_lshlrev_b64 v[63:64], 2, v[65:66]
	v_mov_b32_e32 v67, s5
	v_add_co_u32_e32 v63, vcc, s4, v63
	v_addc_co_u32_e32 v64, vcc, v67, v64, vcc
	v_add_u32_e32 v67, s13, v65
	v_ashrrev_i32_e32 v68, 31, v67
	v_lshlrev_b64 v[65:66], 2, v[67:68]
	v_mov_b32_e32 v69, s5
	v_add_co_u32_e32 v65, vcc, s4, v65
	v_addc_co_u32_e32 v66, vcc, v69, v66, vcc
	v_add_u32_e32 v69, s13, v67
	;; [unrolled: 6-line block ×14, first 2 shown]
	v_ashrrev_i32_e32 v94, 31, v93
	v_lshlrev_b64 v[91:92], 2, v[93:94]
	v_add_u32_e32 v93, s13, v93
	v_ashrrev_i32_e32 v94, 31, v93
	v_mov_b32_e32 v95, s5
	v_add_co_u32_e32 v91, vcc, s4, v91
	v_lshlrev_b64 v[93:94], 2, v[93:94]
	v_addc_co_u32_e32 v92, vcc, v95, v92, vcc
	v_add_co_u32_e32 v93, vcc, s4, v93
	v_addc_co_u32_e32 v94, vcc, v95, v94, vcc
	v_mov_b32_e32 v96, s5
	v_add_co_u32_e32 v95, vcc, s4, v99
	s_ashr_i32 s5, s13, 31
	s_mov_b32 s4, s13
	v_addc_co_u32_e32 v96, vcc, 0, v96, vcc
	s_lshl_b64 s[4:5], s[4:5], 2
	s_waitcnt vmcnt(0)
	buffer_store_dword v97, off, s[0:3], 0
	v_mov_b32_e32 v98, s5
	v_add_co_u32_e32 v97, vcc, s4, v95
	v_addc_co_u32_e32 v98, vcc, v96, v98, vcc
	global_load_dword v100, v[97:98], off
	global_load_dword v101, v[1:2], off
	;; [unrolled: 1-line block ×24, first 2 shown]
	s_waitcnt vmcnt(23)
	buffer_store_dword v100, off, s[0:3], 0 offset:4
	s_waitcnt vmcnt(23)
	buffer_store_dword v101, off, s[0:3], 0 offset:8
	;; [unrolled: 2-line block ×24, first 2 shown]
	global_load_dword v100, v[47:48], off
	global_load_dword v101, v[49:50], off
	;; [unrolled: 1-line block ×24, first 2 shown]
	s_cmpk_lg_i32 s9, 0x84
	s_waitcnt vmcnt(23)
	buffer_store_dword v100, off, s[0:3], 0 offset:100
	s_waitcnt vmcnt(23)
	buffer_store_dword v101, off, s[0:3], 0 offset:104
	;; [unrolled: 2-line block ×24, first 2 shown]
	s_movk_i32 s12, 0x84
	s_cselect_b64 s[10:11], -1, 0
	s_cmpk_eq_i32 s9, 0x84
	v_mov_b32_e32 v100, -1.0
	s_cbranch_scc1 .LBB48_3
; %bb.2:
	v_mov_b32_e32 v100, 0
	v_lshl_add_u32 v100, v0, 2, v100
	buffer_load_dword v101, v100, s[0:3], 0 offen
	s_waitcnt vmcnt(0)
	v_div_scale_f32 v102, s[4:5], v101, v101, 1.0
	v_div_scale_f32 v103, vcc, 1.0, v101, 1.0
	v_rcp_f32_e32 v104, v102
	v_fma_f32 v105, -v102, v104, 1.0
	v_fmac_f32_e32 v104, v105, v104
	v_mul_f32_e32 v105, v103, v104
	v_fma_f32 v106, -v102, v105, v103
	v_fmac_f32_e32 v105, v106, v104
	v_fma_f32 v102, -v102, v105, v103
	v_div_fmas_f32 v102, v102, v104, v105
	v_div_fixup_f32 v101, v102, v101, 1.0
	buffer_store_dword v101, v100, s[0:3], 0 offen
	v_xor_b32_e32 v100, 0x80000000, v101
.LBB48_3:
	ds_write_b32 v99, v100
	s_cmpk_eq_i32 s8, 0x79
	v_add_u32_e32 v100, 0xd0, v99
	v_mov_b32_e32 v101, v99
	s_mov_b64 s[4:5], -1
	s_cbranch_scc1 .LBB48_477
; %bb.4:
	buffer_load_dword v102, off, s[0:3], 0 offset:188
	s_movk_i32 s30, 0x44
	s_movk_i32 s31, 0x48
	;; [unrolled: 1-line block ×29, first 2 shown]
	v_cmp_eq_u32_e64 s[4:5], 48, v0
	s_waitcnt vmcnt(0)
	ds_write_b32 v100, v102
	s_waitcnt lgkmcnt(0)
	; wave barrier
	s_and_saveexec_b64 s[6:7], s[4:5]
	s_cbranch_execz .LBB48_10
; %bb.5:
	s_and_b64 vcc, exec, s[10:11]
	s_cbranch_vccz .LBB48_7
; %bb.6:
	buffer_load_dword v102, v101, s[0:3], 0 offen
	ds_read_b32 v103, v100
	s_waitcnt vmcnt(0) lgkmcnt(0)
	v_mul_f32_e32 v102, v102, v103
	s_cbranch_execz .LBB48_8
	s_branch .LBB48_9
.LBB48_7:
                                        ; implicit-def: $vgpr102
.LBB48_8:
	ds_read_b32 v102, v100
.LBB48_9:
	v_mov_b32_e32 v103, 0
	ds_read_b32 v103, v103 offset:188
	s_waitcnt lgkmcnt(0)
	v_mul_f32_e32 v102, v102, v103
	buffer_store_dword v102, off, s[0:3], 0 offset:188
.LBB48_10:
	s_or_b64 exec, exec, s[6:7]
	buffer_load_dword v102, off, s[0:3], 0 offset:184
	s_or_b32 s14, 0, 4
	s_or_b32 s15, 0, 8
	;; [unrolled: 1-line block ×3, first 2 shown]
	s_mov_b32 s17, 16
	s_mov_b32 s18, 20
	;; [unrolled: 1-line block ×15, first 2 shown]
	v_cmp_lt_u32_e64 s[6:7], 46, v0
	s_waitcnt vmcnt(0)
	ds_write_b32 v100, v102
	s_waitcnt lgkmcnt(0)
	; wave barrier
	s_and_saveexec_b64 s[8:9], s[6:7]
	s_cbranch_execz .LBB48_16
; %bb.11:
	s_andn2_b64 vcc, exec, s[10:11]
	s_cbranch_vccnz .LBB48_13
; %bb.12:
	buffer_load_dword v102, v101, s[0:3], 0 offen
	ds_read_b32 v103, v100
	s_waitcnt vmcnt(0) lgkmcnt(0)
	v_mul_f32_e32 v102, v102, v103
	s_cbranch_execz .LBB48_14
	s_branch .LBB48_15
.LBB48_13:
                                        ; implicit-def: $vgpr102
.LBB48_14:
	ds_read_b32 v102, v100
.LBB48_15:
	buffer_load_dword v105, off, s[0:3], 0 offset:188
	v_mov_b32_e32 v103, 0
	ds_read2_b32 v[103:104], v103 offset0:46 offset1:99
	s_waitcnt vmcnt(0) lgkmcnt(0)
	v_fma_f32 v104, v105, v104, v102
	v_cndmask_b32_e64 v102, v102, v104, s[4:5]
	v_mul_f32_e32 v102, v102, v103
	buffer_store_dword v102, off, s[0:3], 0 offset:184
.LBB48_16:
	s_or_b64 exec, exec, s[8:9]
	buffer_load_dword v102, off, s[0:3], 0 offset:180
	v_cmp_lt_u32_e64 s[4:5], 45, v0
	s_waitcnt vmcnt(0)
	ds_write_b32 v100, v102
	s_waitcnt lgkmcnt(0)
	; wave barrier
	s_and_saveexec_b64 s[8:9], s[4:5]
	s_cbranch_execz .LBB48_26
; %bb.17:
	s_andn2_b64 vcc, exec, s[10:11]
	s_cbranch_vccnz .LBB48_19
; %bb.18:
	buffer_load_dword v102, v101, s[0:3], 0 offen
	ds_read_b32 v103, v100
	s_waitcnt vmcnt(0) lgkmcnt(0)
	v_mul_f32_e32 v102, v102, v103
	s_cbranch_execz .LBB48_20
	s_branch .LBB48_21
.LBB48_19:
                                        ; implicit-def: $vgpr102
.LBB48_20:
	ds_read_b32 v102, v100
.LBB48_21:
	s_and_saveexec_b64 s[12:13], s[6:7]
	s_cbranch_execz .LBB48_25
; %bb.22:
	v_subrev_u32_e32 v103, 46, v0
	s_movk_i32 s61, 0x188
	s_mov_b64 s[6:7], 0
.LBB48_23:                              ; =>This Inner Loop Header: Depth=1
	v_mov_b32_e32 v104, s60
	buffer_load_dword v104, v104, s[0:3], 0 offen
	v_mov_b32_e32 v105, s61
	ds_read_b32 v105, v105
	v_add_u32_e32 v103, -1, v103
	s_add_i32 s61, s61, 4
	s_add_i32 s60, s60, 4
	v_cmp_eq_u32_e32 vcc, 0, v103
	s_or_b64 s[6:7], vcc, s[6:7]
	s_waitcnt vmcnt(0) lgkmcnt(0)
	v_fmac_f32_e32 v102, v104, v105
	s_andn2_b64 exec, exec, s[6:7]
	s_cbranch_execnz .LBB48_23
; %bb.24:
	s_or_b64 exec, exec, s[6:7]
.LBB48_25:
	s_or_b64 exec, exec, s[12:13]
	v_mov_b32_e32 v103, 0
	ds_read_b32 v103, v103 offset:180
	s_waitcnt lgkmcnt(0)
	v_mul_f32_e32 v102, v102, v103
	buffer_store_dword v102, off, s[0:3], 0 offset:180
.LBB48_26:
	s_or_b64 exec, exec, s[8:9]
	buffer_load_dword v102, off, s[0:3], 0 offset:176
	v_cmp_lt_u32_e64 s[6:7], 44, v0
	s_waitcnt vmcnt(0)
	ds_write_b32 v100, v102
	s_waitcnt lgkmcnt(0)
	; wave barrier
	s_and_saveexec_b64 s[8:9], s[6:7]
	s_cbranch_execz .LBB48_36
; %bb.27:
	s_andn2_b64 vcc, exec, s[10:11]
	s_cbranch_vccnz .LBB48_29
; %bb.28:
	buffer_load_dword v102, v101, s[0:3], 0 offen
	ds_read_b32 v103, v100
	s_waitcnt vmcnt(0) lgkmcnt(0)
	v_mul_f32_e32 v102, v102, v103
	s_cbranch_execz .LBB48_30
	s_branch .LBB48_31
.LBB48_29:
                                        ; implicit-def: $vgpr102
.LBB48_30:
	ds_read_b32 v102, v100
.LBB48_31:
	s_and_saveexec_b64 s[12:13], s[4:5]
	s_cbranch_execz .LBB48_35
; %bb.32:
	v_subrev_u32_e32 v103, 45, v0
	s_movk_i32 s60, 0x184
	s_mov_b64 s[4:5], 0
.LBB48_33:                              ; =>This Inner Loop Header: Depth=1
	v_mov_b32_e32 v104, s59
	buffer_load_dword v104, v104, s[0:3], 0 offen
	v_mov_b32_e32 v105, s60
	ds_read_b32 v105, v105
	v_add_u32_e32 v103, -1, v103
	s_add_i32 s60, s60, 4
	s_add_i32 s59, s59, 4
	v_cmp_eq_u32_e32 vcc, 0, v103
	s_or_b64 s[4:5], vcc, s[4:5]
	s_waitcnt vmcnt(0) lgkmcnt(0)
	v_fmac_f32_e32 v102, v104, v105
	s_andn2_b64 exec, exec, s[4:5]
	s_cbranch_execnz .LBB48_33
; %bb.34:
	s_or_b64 exec, exec, s[4:5]
.LBB48_35:
	s_or_b64 exec, exec, s[12:13]
	v_mov_b32_e32 v103, 0
	ds_read_b32 v103, v103 offset:176
	s_waitcnt lgkmcnt(0)
	v_mul_f32_e32 v102, v102, v103
	buffer_store_dword v102, off, s[0:3], 0 offset:176
.LBB48_36:
	;; [unrolled: 54-line block ×8, first 2 shown]
	s_or_b64 exec, exec, s[8:9]
	buffer_load_dword v102, off, s[0:3], 0 offset:148
	v_cmp_lt_u32_e64 s[4:5], 37, v0
	s_waitcnt vmcnt(0)
	ds_write_b32 v100, v102
	s_waitcnt lgkmcnt(0)
	; wave barrier
	s_and_saveexec_b64 s[8:9], s[4:5]
	s_cbranch_execz .LBB48_106
; %bb.97:
	s_andn2_b64 vcc, exec, s[10:11]
	s_cbranch_vccnz .LBB48_99
; %bb.98:
	buffer_load_dword v102, v101, s[0:3], 0 offen
	ds_read_b32 v103, v100
	s_waitcnt vmcnt(0) lgkmcnt(0)
	v_mul_f32_e32 v102, v102, v103
	s_cbranch_execz .LBB48_100
	s_branch .LBB48_101
.LBB48_99:
                                        ; implicit-def: $vgpr102
.LBB48_100:
	ds_read_b32 v102, v100
.LBB48_101:
	s_and_saveexec_b64 s[12:13], s[6:7]
	s_cbranch_execz .LBB48_105
; %bb.102:
	v_subrev_u32_e32 v103, 38, v0
	s_movk_i32 s53, 0x168
	s_mov_b64 s[6:7], 0
.LBB48_103:                             ; =>This Inner Loop Header: Depth=1
	v_mov_b32_e32 v104, s52
	buffer_load_dword v104, v104, s[0:3], 0 offen
	v_mov_b32_e32 v105, s53
	ds_read_b32 v105, v105
	v_add_u32_e32 v103, -1, v103
	s_add_i32 s53, s53, 4
	s_add_i32 s52, s52, 4
	v_cmp_eq_u32_e32 vcc, 0, v103
	s_or_b64 s[6:7], vcc, s[6:7]
	s_waitcnt vmcnt(0) lgkmcnt(0)
	v_fmac_f32_e32 v102, v104, v105
	s_andn2_b64 exec, exec, s[6:7]
	s_cbranch_execnz .LBB48_103
; %bb.104:
	s_or_b64 exec, exec, s[6:7]
.LBB48_105:
	s_or_b64 exec, exec, s[12:13]
	v_mov_b32_e32 v103, 0
	ds_read_b32 v103, v103 offset:148
	s_waitcnt lgkmcnt(0)
	v_mul_f32_e32 v102, v102, v103
	buffer_store_dword v102, off, s[0:3], 0 offset:148
.LBB48_106:
	s_or_b64 exec, exec, s[8:9]
	buffer_load_dword v102, off, s[0:3], 0 offset:144
	v_cmp_lt_u32_e64 s[6:7], 36, v0
	s_waitcnt vmcnt(0)
	ds_write_b32 v100, v102
	s_waitcnt lgkmcnt(0)
	; wave barrier
	s_and_saveexec_b64 s[8:9], s[6:7]
	s_cbranch_execz .LBB48_116
; %bb.107:
	s_andn2_b64 vcc, exec, s[10:11]
	s_cbranch_vccnz .LBB48_109
; %bb.108:
	buffer_load_dword v102, v101, s[0:3], 0 offen
	ds_read_b32 v103, v100
	s_waitcnt vmcnt(0) lgkmcnt(0)
	v_mul_f32_e32 v102, v102, v103
	s_cbranch_execz .LBB48_110
	s_branch .LBB48_111
.LBB48_109:
                                        ; implicit-def: $vgpr102
.LBB48_110:
	ds_read_b32 v102, v100
.LBB48_111:
	s_and_saveexec_b64 s[12:13], s[4:5]
	s_cbranch_execz .LBB48_115
; %bb.112:
	v_subrev_u32_e32 v103, 37, v0
	s_movk_i32 s52, 0x164
	s_mov_b64 s[4:5], 0
.LBB48_113:                             ; =>This Inner Loop Header: Depth=1
	v_mov_b32_e32 v104, s51
	buffer_load_dword v104, v104, s[0:3], 0 offen
	v_mov_b32_e32 v105, s52
	ds_read_b32 v105, v105
	v_add_u32_e32 v103, -1, v103
	s_add_i32 s52, s52, 4
	s_add_i32 s51, s51, 4
	v_cmp_eq_u32_e32 vcc, 0, v103
	s_or_b64 s[4:5], vcc, s[4:5]
	s_waitcnt vmcnt(0) lgkmcnt(0)
	v_fmac_f32_e32 v102, v104, v105
	s_andn2_b64 exec, exec, s[4:5]
	s_cbranch_execnz .LBB48_113
; %bb.114:
	s_or_b64 exec, exec, s[4:5]
.LBB48_115:
	s_or_b64 exec, exec, s[12:13]
	v_mov_b32_e32 v103, 0
	ds_read_b32 v103, v103 offset:144
	s_waitcnt lgkmcnt(0)
	v_mul_f32_e32 v102, v102, v103
	buffer_store_dword v102, off, s[0:3], 0 offset:144
.LBB48_116:
	;; [unrolled: 54-line block ×22, first 2 shown]
	s_or_b64 exec, exec, s[8:9]
	buffer_load_dword v102, off, s[0:3], 0 offset:60
	v_cmp_lt_u32_e64 s[4:5], 15, v0
	s_waitcnt vmcnt(0)
	ds_write_b32 v100, v102
	s_waitcnt lgkmcnt(0)
	; wave barrier
	s_and_saveexec_b64 s[8:9], s[4:5]
	s_cbranch_execz .LBB48_326
; %bb.317:
	s_andn2_b64 vcc, exec, s[10:11]
	s_cbranch_vccnz .LBB48_319
; %bb.318:
	buffer_load_dword v102, v101, s[0:3], 0 offen
	ds_read_b32 v103, v100
	s_waitcnt vmcnt(0) lgkmcnt(0)
	v_mul_f32_e32 v102, v102, v103
	s_cbranch_execz .LBB48_320
	s_branch .LBB48_321
.LBB48_319:
                                        ; implicit-def: $vgpr102
.LBB48_320:
	ds_read_b32 v102, v100
.LBB48_321:
	s_and_saveexec_b64 s[12:13], s[6:7]
	s_cbranch_execz .LBB48_325
; %bb.322:
	v_add_u32_e32 v103, -16, v0
	s_movk_i32 s30, 0x110
	s_mov_b64 s[6:7], 0
.LBB48_323:                             ; =>This Inner Loop Header: Depth=1
	v_mov_b32_e32 v104, s29
	buffer_load_dword v104, v104, s[0:3], 0 offen
	v_mov_b32_e32 v105, s30
	ds_read_b32 v105, v105
	v_add_u32_e32 v103, -1, v103
	s_add_i32 s30, s30, 4
	s_add_i32 s29, s29, 4
	v_cmp_eq_u32_e32 vcc, 0, v103
	s_or_b64 s[6:7], vcc, s[6:7]
	s_waitcnt vmcnt(0) lgkmcnt(0)
	v_fmac_f32_e32 v102, v104, v105
	s_andn2_b64 exec, exec, s[6:7]
	s_cbranch_execnz .LBB48_323
; %bb.324:
	s_or_b64 exec, exec, s[6:7]
.LBB48_325:
	s_or_b64 exec, exec, s[12:13]
	v_mov_b32_e32 v103, 0
	ds_read_b32 v103, v103 offset:60
	s_waitcnt lgkmcnt(0)
	v_mul_f32_e32 v102, v102, v103
	buffer_store_dword v102, off, s[0:3], 0 offset:60
.LBB48_326:
	s_or_b64 exec, exec, s[8:9]
	buffer_load_dword v102, off, s[0:3], 0 offset:56
	v_cmp_lt_u32_e64 s[6:7], 14, v0
	s_waitcnt vmcnt(0)
	ds_write_b32 v100, v102
	s_waitcnt lgkmcnt(0)
	; wave barrier
	s_and_saveexec_b64 s[8:9], s[6:7]
	s_cbranch_execz .LBB48_336
; %bb.327:
	s_andn2_b64 vcc, exec, s[10:11]
	s_cbranch_vccnz .LBB48_329
; %bb.328:
	buffer_load_dword v102, v101, s[0:3], 0 offen
	ds_read_b32 v103, v100
	s_waitcnt vmcnt(0) lgkmcnt(0)
	v_mul_f32_e32 v102, v102, v103
	s_cbranch_execz .LBB48_330
	s_branch .LBB48_331
.LBB48_329:
                                        ; implicit-def: $vgpr102
.LBB48_330:
	ds_read_b32 v102, v100
.LBB48_331:
	s_and_saveexec_b64 s[12:13], s[4:5]
	s_cbranch_execz .LBB48_335
; %bb.332:
	v_add_u32_e32 v103, -15, v0
	s_movk_i32 s29, 0x10c
	s_mov_b64 s[4:5], 0
.LBB48_333:                             ; =>This Inner Loop Header: Depth=1
	v_mov_b32_e32 v104, s28
	buffer_load_dword v104, v104, s[0:3], 0 offen
	v_mov_b32_e32 v105, s29
	ds_read_b32 v105, v105
	v_add_u32_e32 v103, -1, v103
	s_add_i32 s29, s29, 4
	s_add_i32 s28, s28, 4
	v_cmp_eq_u32_e32 vcc, 0, v103
	s_or_b64 s[4:5], vcc, s[4:5]
	s_waitcnt vmcnt(0) lgkmcnt(0)
	v_fmac_f32_e32 v102, v104, v105
	s_andn2_b64 exec, exec, s[4:5]
	s_cbranch_execnz .LBB48_333
; %bb.334:
	s_or_b64 exec, exec, s[4:5]
.LBB48_335:
	s_or_b64 exec, exec, s[12:13]
	v_mov_b32_e32 v103, 0
	ds_read_b32 v103, v103 offset:56
	s_waitcnt lgkmcnt(0)
	v_mul_f32_e32 v102, v102, v103
	buffer_store_dword v102, off, s[0:3], 0 offset:56
.LBB48_336:
	;; [unrolled: 54-line block ×15, first 2 shown]
	s_or_b64 exec, exec, s[8:9]
	buffer_load_dword v102, off, s[0:3], 0
	v_cmp_ne_u32_e32 vcc, 0, v0
	s_waitcnt vmcnt(0)
	ds_write_b32 v100, v102
	s_waitcnt lgkmcnt(0)
	; wave barrier
	s_and_saveexec_b64 s[6:7], vcc
	s_cbranch_execz .LBB48_476
; %bb.467:
	s_andn2_b64 vcc, exec, s[10:11]
	s_cbranch_vccnz .LBB48_469
; %bb.468:
	buffer_load_dword v102, v101, s[0:3], 0 offen
	ds_read_b32 v103, v100
	s_waitcnt vmcnt(0) lgkmcnt(0)
	v_mul_f32_e32 v102, v102, v103
	s_cbranch_execz .LBB48_470
	s_branch .LBB48_471
.LBB48_469:
                                        ; implicit-def: $vgpr102
.LBB48_470:
	ds_read_b32 v102, v100
.LBB48_471:
	s_and_saveexec_b64 s[8:9], s[4:5]
	s_cbranch_execz .LBB48_475
; %bb.472:
	v_add_u32_e32 v103, -1, v0
	s_movk_i32 s12, 0xd4
	s_mov_b64 s[4:5], 0
.LBB48_473:                             ; =>This Inner Loop Header: Depth=1
	v_mov_b32_e32 v104, s14
	buffer_load_dword v104, v104, s[0:3], 0 offen
	v_mov_b32_e32 v105, s12
	ds_read_b32 v105, v105
	v_add_u32_e32 v103, -1, v103
	s_add_i32 s12, s12, 4
	s_add_i32 s14, s14, 4
	v_cmp_eq_u32_e32 vcc, 0, v103
	s_or_b64 s[4:5], vcc, s[4:5]
	s_waitcnt vmcnt(0) lgkmcnt(0)
	v_fmac_f32_e32 v102, v104, v105
	s_andn2_b64 exec, exec, s[4:5]
	s_cbranch_execnz .LBB48_473
; %bb.474:
	s_or_b64 exec, exec, s[4:5]
.LBB48_475:
	s_or_b64 exec, exec, s[8:9]
	v_mov_b32_e32 v103, 0
	ds_read_b32 v103, v103
	s_waitcnt lgkmcnt(0)
	v_mul_f32_e32 v102, v102, v103
	buffer_store_dword v102, off, s[0:3], 0
.LBB48_476:
	s_or_b64 exec, exec, s[6:7]
	s_mov_b64 s[4:5], 0
.LBB48_477:
	s_and_b64 vcc, exec, s[4:5]
	s_cbranch_vccz .LBB48_949
; %bb.478:
	buffer_load_dword v102, off, s[0:3], 0 offset:4
	v_cmp_eq_u32_e64 s[6:7], 0, v0
	s_waitcnt vmcnt(0)
	ds_write_b32 v100, v102
	s_waitcnt lgkmcnt(0)
	; wave barrier
	s_and_saveexec_b64 s[4:5], s[6:7]
	s_cbranch_execz .LBB48_484
; %bb.479:
	s_and_b64 vcc, exec, s[10:11]
	s_cbranch_vccz .LBB48_481
; %bb.480:
	buffer_load_dword v102, v101, s[0:3], 0 offen
	ds_read_b32 v103, v100
	s_waitcnt vmcnt(0) lgkmcnt(0)
	v_mul_f32_e32 v102, v102, v103
	s_cbranch_execz .LBB48_482
	s_branch .LBB48_483
.LBB48_481:
                                        ; implicit-def: $vgpr102
.LBB48_482:
	ds_read_b32 v102, v100
.LBB48_483:
	v_mov_b32_e32 v103, 0
	ds_read_b32 v103, v103 offset:4
	s_waitcnt lgkmcnt(0)
	v_mul_f32_e32 v102, v102, v103
	buffer_store_dword v102, off, s[0:3], 0 offset:4
.LBB48_484:
	s_or_b64 exec, exec, s[4:5]
	buffer_load_dword v102, off, s[0:3], 0 offset:8
	v_cndmask_b32_e64 v103, 0, 1, s[10:11]
	v_cmp_gt_u32_e32 vcc, 2, v0
	v_cmp_ne_u32_e64 s[4:5], 1, v103
	s_waitcnt vmcnt(0)
	ds_write_b32 v100, v102
	s_waitcnt lgkmcnt(0)
	; wave barrier
	s_and_saveexec_b64 s[8:9], vcc
	s_cbranch_execz .LBB48_490
; %bb.485:
	s_and_b64 vcc, exec, s[4:5]
	s_cbranch_vccnz .LBB48_487
; %bb.486:
	buffer_load_dword v102, v101, s[0:3], 0 offen
	ds_read_b32 v103, v100
	s_waitcnt vmcnt(0) lgkmcnt(0)
	v_mul_f32_e32 v102, v102, v103
	s_cbranch_execz .LBB48_488
	s_branch .LBB48_489
.LBB48_487:
                                        ; implicit-def: $vgpr102
.LBB48_488:
	ds_read_b32 v102, v100
.LBB48_489:
	buffer_load_dword v105, off, s[0:3], 0 offset:4
	v_mov_b32_e32 v103, 0
	ds_read2_b32 v[103:104], v103 offset0:2 offset1:53
	s_waitcnt vmcnt(0) lgkmcnt(0)
	v_fma_f32 v104, v105, v104, v102
	v_cndmask_b32_e64 v102, v102, v104, s[6:7]
	v_mul_f32_e32 v102, v102, v103
	buffer_store_dword v102, off, s[0:3], 0 offset:8
.LBB48_490:
	s_or_b64 exec, exec, s[8:9]
	buffer_load_dword v102, off, s[0:3], 0 offset:12
	v_cmp_gt_u32_e32 vcc, 3, v0
	s_waitcnt vmcnt(0)
	ds_write_b32 v100, v102
	s_waitcnt lgkmcnt(0)
	; wave barrier
	s_and_saveexec_b64 s[8:9], vcc
	s_cbranch_execz .LBB48_498
; %bb.491:
	s_and_b64 vcc, exec, s[4:5]
	s_cbranch_vccnz .LBB48_493
; %bb.492:
	buffer_load_dword v102, v101, s[0:3], 0 offen
	ds_read_b32 v103, v100
	s_waitcnt vmcnt(0) lgkmcnt(0)
	v_mul_f32_e32 v102, v102, v103
	s_cbranch_execz .LBB48_494
	s_branch .LBB48_495
.LBB48_493:
                                        ; implicit-def: $vgpr102
.LBB48_494:
	ds_read_b32 v102, v100
.LBB48_495:
	v_cmp_ne_u32_e32 vcc, 2, v0
	s_and_saveexec_b64 s[10:11], vcc
	s_cbranch_execz .LBB48_497
; %bb.496:
	buffer_load_dword v103, v101, s[0:3], 0 offen offset:4
	buffer_load_dword v104, off, s[0:3], 0 offset:8
	v_mov_b32_e32 v105, 0
	ds_read_b32 v106, v100 offset:4
	ds_read_b32 v105, v105 offset:216
	s_waitcnt vmcnt(1) lgkmcnt(1)
	v_fmac_f32_e32 v102, v103, v106
	s_waitcnt vmcnt(0) lgkmcnt(0)
	v_fma_f32 v103, v104, v105, v102
	v_cndmask_b32_e64 v102, v102, v103, s[6:7]
.LBB48_497:
	s_or_b64 exec, exec, s[10:11]
	v_mov_b32_e32 v103, 0
	ds_read_b32 v103, v103 offset:12
	s_waitcnt lgkmcnt(0)
	v_mul_f32_e32 v102, v102, v103
	buffer_store_dword v102, off, s[0:3], 0 offset:12
.LBB48_498:
	s_or_b64 exec, exec, s[8:9]
	buffer_load_dword v102, off, s[0:3], 0 offset:16
	v_cmp_gt_u32_e32 vcc, 4, v0
	s_waitcnt vmcnt(0)
	ds_write_b32 v100, v102
	s_waitcnt lgkmcnt(0)
	; wave barrier
	s_and_saveexec_b64 s[6:7], vcc
	s_cbranch_execz .LBB48_508
; %bb.499:
	s_and_b64 vcc, exec, s[4:5]
	s_cbranch_vccnz .LBB48_501
; %bb.500:
	buffer_load_dword v102, v101, s[0:3], 0 offen
	ds_read_b32 v103, v100
	s_waitcnt vmcnt(0) lgkmcnt(0)
	v_mul_f32_e32 v102, v102, v103
	s_cbranch_execz .LBB48_502
	s_branch .LBB48_503
.LBB48_501:
                                        ; implicit-def: $vgpr102
.LBB48_502:
	ds_read_b32 v102, v100
.LBB48_503:
	v_cmp_ne_u32_e32 vcc, 3, v0
	s_and_saveexec_b64 s[8:9], vcc
	s_cbranch_execz .LBB48_507
; %bb.504:
	s_mov_b32 s10, 0
	v_add_u32_e32 v103, 0xd4, v99
	v_add3_u32 v104, v99, s10, 4
	s_mov_b64 s[10:11], 0
	v_mov_b32_e32 v105, v0
.LBB48_505:                             ; =>This Inner Loop Header: Depth=1
	buffer_load_dword v106, v104, s[0:3], 0 offen
	ds_read_b32 v107, v103
	v_add_u32_e32 v105, 1, v105
	v_cmp_lt_u32_e32 vcc, 2, v105
	v_add_u32_e32 v103, 4, v103
	v_add_u32_e32 v104, 4, v104
	s_or_b64 s[10:11], vcc, s[10:11]
	s_waitcnt vmcnt(0) lgkmcnt(0)
	v_fmac_f32_e32 v102, v106, v107
	s_andn2_b64 exec, exec, s[10:11]
	s_cbranch_execnz .LBB48_505
; %bb.506:
	s_or_b64 exec, exec, s[10:11]
.LBB48_507:
	s_or_b64 exec, exec, s[8:9]
	v_mov_b32_e32 v103, 0
	ds_read_b32 v103, v103 offset:16
	s_waitcnt lgkmcnt(0)
	v_mul_f32_e32 v102, v102, v103
	buffer_store_dword v102, off, s[0:3], 0 offset:16
.LBB48_508:
	s_or_b64 exec, exec, s[6:7]
	buffer_load_dword v102, off, s[0:3], 0 offset:20
	v_cmp_gt_u32_e32 vcc, 5, v0
	s_waitcnt vmcnt(0)
	ds_write_b32 v100, v102
	s_waitcnt lgkmcnt(0)
	; wave barrier
	s_and_saveexec_b64 s[6:7], vcc
	s_cbranch_execz .LBB48_518
; %bb.509:
	s_and_b64 vcc, exec, s[4:5]
	s_cbranch_vccnz .LBB48_511
; %bb.510:
	buffer_load_dword v102, v101, s[0:3], 0 offen
	ds_read_b32 v103, v100
	s_waitcnt vmcnt(0) lgkmcnt(0)
	v_mul_f32_e32 v102, v102, v103
	s_cbranch_execz .LBB48_512
	s_branch .LBB48_513
.LBB48_511:
                                        ; implicit-def: $vgpr102
.LBB48_512:
	ds_read_b32 v102, v100
.LBB48_513:
	v_cmp_ne_u32_e32 vcc, 4, v0
	s_and_saveexec_b64 s[8:9], vcc
	s_cbranch_execz .LBB48_517
; %bb.514:
	s_mov_b32 s10, 0
	v_add_u32_e32 v103, 0xd4, v99
	v_add3_u32 v104, v99, s10, 4
	s_mov_b64 s[10:11], 0
	v_mov_b32_e32 v105, v0
.LBB48_515:                             ; =>This Inner Loop Header: Depth=1
	buffer_load_dword v106, v104, s[0:3], 0 offen
	ds_read_b32 v107, v103
	v_add_u32_e32 v105, 1, v105
	v_cmp_lt_u32_e32 vcc, 3, v105
	v_add_u32_e32 v103, 4, v103
	v_add_u32_e32 v104, 4, v104
	s_or_b64 s[10:11], vcc, s[10:11]
	s_waitcnt vmcnt(0) lgkmcnt(0)
	v_fmac_f32_e32 v102, v106, v107
	s_andn2_b64 exec, exec, s[10:11]
	s_cbranch_execnz .LBB48_515
; %bb.516:
	s_or_b64 exec, exec, s[10:11]
.LBB48_517:
	s_or_b64 exec, exec, s[8:9]
	v_mov_b32_e32 v103, 0
	ds_read_b32 v103, v103 offset:20
	s_waitcnt lgkmcnt(0)
	v_mul_f32_e32 v102, v102, v103
	buffer_store_dword v102, off, s[0:3], 0 offset:20
.LBB48_518:
	;; [unrolled: 55-line block ×43, first 2 shown]
	s_or_b64 exec, exec, s[6:7]
	buffer_load_dword v102, off, s[0:3], 0 offset:188
	v_cmp_gt_u32_e64 s[6:7], 47, v0
	s_waitcnt vmcnt(0)
	ds_write_b32 v100, v102
	s_waitcnt lgkmcnt(0)
	; wave barrier
	s_and_saveexec_b64 s[8:9], s[6:7]
	s_cbranch_execz .LBB48_938
; %bb.929:
	s_and_b64 vcc, exec, s[4:5]
	s_cbranch_vccnz .LBB48_931
; %bb.930:
	buffer_load_dword v102, v101, s[0:3], 0 offen
	ds_read_b32 v103, v100
	s_waitcnt vmcnt(0) lgkmcnt(0)
	v_mul_f32_e32 v102, v102, v103
	s_cbranch_execz .LBB48_932
	s_branch .LBB48_933
.LBB48_931:
                                        ; implicit-def: $vgpr102
.LBB48_932:
	ds_read_b32 v102, v100
.LBB48_933:
	v_cmp_ne_u32_e32 vcc, 46, v0
	s_and_saveexec_b64 s[10:11], vcc
	s_cbranch_execz .LBB48_937
; %bb.934:
	s_mov_b32 s12, 0
	v_add_u32_e32 v103, 0xd4, v99
	v_add3_u32 v104, v99, s12, 4
	s_mov_b64 s[12:13], 0
	v_mov_b32_e32 v105, v0
.LBB48_935:                             ; =>This Inner Loop Header: Depth=1
	buffer_load_dword v106, v104, s[0:3], 0 offen
	ds_read_b32 v107, v103
	v_add_u32_e32 v105, 1, v105
	v_cmp_lt_u32_e32 vcc, 45, v105
	v_add_u32_e32 v103, 4, v103
	v_add_u32_e32 v104, 4, v104
	s_or_b64 s[12:13], vcc, s[12:13]
	s_waitcnt vmcnt(0) lgkmcnt(0)
	v_fmac_f32_e32 v102, v106, v107
	s_andn2_b64 exec, exec, s[12:13]
	s_cbranch_execnz .LBB48_935
; %bb.936:
	s_or_b64 exec, exec, s[12:13]
.LBB48_937:
	s_or_b64 exec, exec, s[10:11]
	v_mov_b32_e32 v103, 0
	ds_read_b32 v103, v103 offset:188
	s_waitcnt lgkmcnt(0)
	v_mul_f32_e32 v102, v102, v103
	buffer_store_dword v102, off, s[0:3], 0 offset:188
.LBB48_938:
	s_or_b64 exec, exec, s[8:9]
	buffer_load_dword v102, off, s[0:3], 0 offset:192
	v_cmp_ne_u32_e32 vcc, 48, v0
	s_waitcnt vmcnt(0)
	ds_write_b32 v100, v102
	s_waitcnt lgkmcnt(0)
	; wave barrier
	s_and_saveexec_b64 s[8:9], vcc
	s_cbranch_execz .LBB48_948
; %bb.939:
	s_and_b64 vcc, exec, s[4:5]
	s_cbranch_vccnz .LBB48_941
; %bb.940:
	buffer_load_dword v101, v101, s[0:3], 0 offen
	ds_read_b32 v102, v100
	s_waitcnt vmcnt(0) lgkmcnt(0)
	v_mul_f32_e32 v101, v101, v102
	s_cbranch_execz .LBB48_942
	s_branch .LBB48_943
.LBB48_941:
                                        ; implicit-def: $vgpr101
.LBB48_942:
	ds_read_b32 v101, v100
.LBB48_943:
	s_and_saveexec_b64 s[4:5], s[6:7]
	s_cbranch_execz .LBB48_947
; %bb.944:
	s_mov_b32 s6, 0
	v_add_u32_e32 v100, 0xd4, v99
	v_add3_u32 v99, v99, s6, 4
	s_mov_b64 s[6:7], 0
.LBB48_945:                             ; =>This Inner Loop Header: Depth=1
	buffer_load_dword v102, v99, s[0:3], 0 offen
	ds_read_b32 v103, v100
	v_add_u32_e32 v0, 1, v0
	v_cmp_lt_u32_e32 vcc, 46, v0
	v_add_u32_e32 v100, 4, v100
	v_add_u32_e32 v99, 4, v99
	s_or_b64 s[6:7], vcc, s[6:7]
	s_waitcnt vmcnt(0) lgkmcnt(0)
	v_fmac_f32_e32 v101, v102, v103
	s_andn2_b64 exec, exec, s[6:7]
	s_cbranch_execnz .LBB48_945
; %bb.946:
	s_or_b64 exec, exec, s[6:7]
.LBB48_947:
	s_or_b64 exec, exec, s[4:5]
	v_mov_b32_e32 v0, 0
	ds_read_b32 v0, v0 offset:192
	s_waitcnt lgkmcnt(0)
	v_mul_f32_e32 v0, v101, v0
	buffer_store_dword v0, off, s[0:3], 0 offset:192
.LBB48_948:
	s_or_b64 exec, exec, s[8:9]
.LBB48_949:
	buffer_load_dword v0, off, s[0:3], 0
	buffer_load_dword v99, off, s[0:3], 0 offset:4
	buffer_load_dword v100, off, s[0:3], 0 offset:8
	;; [unrolled: 1-line block ×23, first 2 shown]
	s_waitcnt vmcnt(23)
	global_store_dword v[95:96], v0, off
	s_waitcnt vmcnt(23)
	global_store_dword v[97:98], v99, off
	buffer_load_dword v0, off, s[0:3], 0 offset:96
	buffer_load_dword v95, off, s[0:3], 0 offset:100
	;; [unrolled: 1-line block ×3, first 2 shown]
	s_nop 0
	buffer_load_dword v97, off, s[0:3], 0 offset:108
	buffer_load_dword v98, off, s[0:3], 0 offset:112
	;; [unrolled: 1-line block ×5, first 2 shown]
	s_waitcnt vmcnt(31)
	global_store_dword v[1:2], v100, off
	s_waitcnt vmcnt(31)
	global_store_dword v[3:4], v101, off
	;; [unrolled: 2-line block ×3, first 2 shown]
	buffer_load_dword v1, off, s[0:3], 0 offset:128
	buffer_load_dword v2, off, s[0:3], 0 offset:132
	buffer_load_dword v3, off, s[0:3], 0 offset:136
	buffer_load_dword v4, off, s[0:3], 0 offset:140
	s_nop 0
	buffer_load_dword v7, off, s[0:3], 0 offset:144
	buffer_load_dword v8, off, s[0:3], 0 offset:148
	;; [unrolled: 1-line block ×4, first 2 shown]
	s_waitcnt vmcnt(39)
	global_store_dword v[5:6], v103, off
	s_waitcnt vmcnt(39)
	global_store_dword v[9:10], v104, off
	;; [unrolled: 2-line block ×3, first 2 shown]
	buffer_load_dword v5, off, s[0:3], 0 offset:160
	buffer_load_dword v6, off, s[0:3], 0 offset:164
	;; [unrolled: 1-line block ×4, first 2 shown]
	s_nop 0
	buffer_load_dword v13, off, s[0:3], 0 offset:176
	buffer_load_dword v14, off, s[0:3], 0 offset:180
	;; [unrolled: 1-line block ×5, first 2 shown]
	s_waitcnt vmcnt(48)
	global_store_dword v[11:12], v106, off
	s_waitcnt vmcnt(48)
	global_store_dword v[15:16], v107, off
	s_waitcnt vmcnt(48)
	global_store_dword v[17:18], v108, off
	s_waitcnt vmcnt(48)
	global_store_dword v[19:20], v109, off
	s_waitcnt vmcnt(48)
	global_store_dword v[21:22], v110, off
	s_waitcnt vmcnt(48)
	global_store_dword v[23:24], v111, off
	s_waitcnt vmcnt(48)
	global_store_dword v[25:26], v112, off
	s_waitcnt vmcnt(48)
	global_store_dword v[27:28], v113, off
	s_waitcnt vmcnt(48)
	global_store_dword v[29:30], v114, off
	s_waitcnt vmcnt(48)
	global_store_dword v[31:32], v115, off
	s_waitcnt vmcnt(48)
	global_store_dword v[33:34], v116, off
	s_waitcnt vmcnt(48)
	global_store_dword v[35:36], v117, off
	s_waitcnt vmcnt(48)
	global_store_dword v[37:38], v118, off
	s_waitcnt vmcnt(48)
	global_store_dword v[39:40], v119, off
	s_waitcnt vmcnt(48)
	global_store_dword v[41:42], v120, off
	s_waitcnt vmcnt(48)
	global_store_dword v[43:44], v121, off
	s_waitcnt vmcnt(46)
	global_store_dword v[45:46], v0, off
	s_waitcnt vmcnt(46)
	global_store_dword v[47:48], v95, off
	s_waitcnt vmcnt(46)
	global_store_dword v[49:50], v96, off
	s_waitcnt vmcnt(46)
	global_store_dword v[51:52], v97, off
	s_waitcnt vmcnt(46)
	global_store_dword v[53:54], v98, off
	s_waitcnt vmcnt(46)
	global_store_dword v[55:56], v99, off
	s_waitcnt vmcnt(46)
	global_store_dword v[57:58], v122, off
	s_waitcnt vmcnt(46)
	global_store_dword v[59:60], v123, off
	s_waitcnt vmcnt(43)
	global_store_dword v[61:62], v1, off
	s_waitcnt vmcnt(43)
	global_store_dword v[63:64], v2, off
	s_waitcnt vmcnt(43)
	global_store_dword v[65:66], v3, off
	s_waitcnt vmcnt(43)
	global_store_dword v[67:68], v4, off
	s_waitcnt vmcnt(43)
	global_store_dword v[69:70], v7, off
	s_waitcnt vmcnt(43)
	global_store_dword v[71:72], v8, off
	s_waitcnt vmcnt(43)
	global_store_dword v[73:74], v100, off
	s_waitcnt vmcnt(43)
	global_store_dword v[75:76], v101, off
	s_waitcnt vmcnt(40)
	global_store_dword v[77:78], v5, off
	s_waitcnt vmcnt(40)
	global_store_dword v[79:80], v6, off
	s_waitcnt vmcnt(40)
	global_store_dword v[81:82], v9, off
	s_waitcnt vmcnt(40)
	global_store_dword v[83:84], v10, off
	s_waitcnt vmcnt(40)
	global_store_dword v[85:86], v13, off
	s_waitcnt vmcnt(40)
	global_store_dword v[87:88], v14, off
	s_waitcnt vmcnt(40)
	global_store_dword v[89:90], v102, off
	s_waitcnt vmcnt(40)
	global_store_dword v[91:92], v103, off
	s_waitcnt vmcnt(40)
	global_store_dword v[93:94], v104, off
.LBB48_950:
	s_endpgm
	.section	.rodata,"a",@progbits
	.p2align	6, 0x0
	.amdhsa_kernel _ZN9rocsolver6v33100L18trti2_kernel_smallILi49EfPfEEv13rocblas_fill_17rocblas_diagonal_T1_iil
		.amdhsa_group_segment_fixed_size 404
		.amdhsa_private_segment_fixed_size 208
		.amdhsa_kernarg_size 32
		.amdhsa_user_sgpr_count 6
		.amdhsa_user_sgpr_private_segment_buffer 1
		.amdhsa_user_sgpr_dispatch_ptr 0
		.amdhsa_user_sgpr_queue_ptr 0
		.amdhsa_user_sgpr_kernarg_segment_ptr 1
		.amdhsa_user_sgpr_dispatch_id 0
		.amdhsa_user_sgpr_flat_scratch_init 0
		.amdhsa_user_sgpr_private_segment_size 0
		.amdhsa_uses_dynamic_stack 0
		.amdhsa_system_sgpr_private_segment_wavefront_offset 1
		.amdhsa_system_sgpr_workgroup_id_x 1
		.amdhsa_system_sgpr_workgroup_id_y 0
		.amdhsa_system_sgpr_workgroup_id_z 0
		.amdhsa_system_sgpr_workgroup_info 0
		.amdhsa_system_vgpr_workitem_id 0
		.amdhsa_next_free_vgpr 124
		.amdhsa_next_free_sgpr 62
		.amdhsa_reserve_vcc 1
		.amdhsa_reserve_flat_scratch 0
		.amdhsa_float_round_mode_32 0
		.amdhsa_float_round_mode_16_64 0
		.amdhsa_float_denorm_mode_32 3
		.amdhsa_float_denorm_mode_16_64 3
		.amdhsa_dx10_clamp 1
		.amdhsa_ieee_mode 1
		.amdhsa_fp16_overflow 0
		.amdhsa_exception_fp_ieee_invalid_op 0
		.amdhsa_exception_fp_denorm_src 0
		.amdhsa_exception_fp_ieee_div_zero 0
		.amdhsa_exception_fp_ieee_overflow 0
		.amdhsa_exception_fp_ieee_underflow 0
		.amdhsa_exception_fp_ieee_inexact 0
		.amdhsa_exception_int_div_zero 0
	.end_amdhsa_kernel
	.section	.text._ZN9rocsolver6v33100L18trti2_kernel_smallILi49EfPfEEv13rocblas_fill_17rocblas_diagonal_T1_iil,"axG",@progbits,_ZN9rocsolver6v33100L18trti2_kernel_smallILi49EfPfEEv13rocblas_fill_17rocblas_diagonal_T1_iil,comdat
.Lfunc_end48:
	.size	_ZN9rocsolver6v33100L18trti2_kernel_smallILi49EfPfEEv13rocblas_fill_17rocblas_diagonal_T1_iil, .Lfunc_end48-_ZN9rocsolver6v33100L18trti2_kernel_smallILi49EfPfEEv13rocblas_fill_17rocblas_diagonal_T1_iil
                                        ; -- End function
	.set _ZN9rocsolver6v33100L18trti2_kernel_smallILi49EfPfEEv13rocblas_fill_17rocblas_diagonal_T1_iil.num_vgpr, 124
	.set _ZN9rocsolver6v33100L18trti2_kernel_smallILi49EfPfEEv13rocblas_fill_17rocblas_diagonal_T1_iil.num_agpr, 0
	.set _ZN9rocsolver6v33100L18trti2_kernel_smallILi49EfPfEEv13rocblas_fill_17rocblas_diagonal_T1_iil.numbered_sgpr, 62
	.set _ZN9rocsolver6v33100L18trti2_kernel_smallILi49EfPfEEv13rocblas_fill_17rocblas_diagonal_T1_iil.num_named_barrier, 0
	.set _ZN9rocsolver6v33100L18trti2_kernel_smallILi49EfPfEEv13rocblas_fill_17rocblas_diagonal_T1_iil.private_seg_size, 208
	.set _ZN9rocsolver6v33100L18trti2_kernel_smallILi49EfPfEEv13rocblas_fill_17rocblas_diagonal_T1_iil.uses_vcc, 1
	.set _ZN9rocsolver6v33100L18trti2_kernel_smallILi49EfPfEEv13rocblas_fill_17rocblas_diagonal_T1_iil.uses_flat_scratch, 0
	.set _ZN9rocsolver6v33100L18trti2_kernel_smallILi49EfPfEEv13rocblas_fill_17rocblas_diagonal_T1_iil.has_dyn_sized_stack, 0
	.set _ZN9rocsolver6v33100L18trti2_kernel_smallILi49EfPfEEv13rocblas_fill_17rocblas_diagonal_T1_iil.has_recursion, 0
	.set _ZN9rocsolver6v33100L18trti2_kernel_smallILi49EfPfEEv13rocblas_fill_17rocblas_diagonal_T1_iil.has_indirect_call, 0
	.section	.AMDGPU.csdata,"",@progbits
; Kernel info:
; codeLenInByte = 23808
; TotalNumSgprs: 66
; NumVgprs: 124
; ScratchSize: 208
; MemoryBound: 0
; FloatMode: 240
; IeeeMode: 1
; LDSByteSize: 404 bytes/workgroup (compile time only)
; SGPRBlocks: 8
; VGPRBlocks: 30
; NumSGPRsForWavesPerEU: 66
; NumVGPRsForWavesPerEU: 124
; Occupancy: 2
; WaveLimiterHint : 0
; COMPUTE_PGM_RSRC2:SCRATCH_EN: 1
; COMPUTE_PGM_RSRC2:USER_SGPR: 6
; COMPUTE_PGM_RSRC2:TRAP_HANDLER: 0
; COMPUTE_PGM_RSRC2:TGID_X_EN: 1
; COMPUTE_PGM_RSRC2:TGID_Y_EN: 0
; COMPUTE_PGM_RSRC2:TGID_Z_EN: 0
; COMPUTE_PGM_RSRC2:TIDIG_COMP_CNT: 0
	.section	.text._ZN9rocsolver6v33100L18trti2_kernel_smallILi50EfPfEEv13rocblas_fill_17rocblas_diagonal_T1_iil,"axG",@progbits,_ZN9rocsolver6v33100L18trti2_kernel_smallILi50EfPfEEv13rocblas_fill_17rocblas_diagonal_T1_iil,comdat
	.globl	_ZN9rocsolver6v33100L18trti2_kernel_smallILi50EfPfEEv13rocblas_fill_17rocblas_diagonal_T1_iil ; -- Begin function _ZN9rocsolver6v33100L18trti2_kernel_smallILi50EfPfEEv13rocblas_fill_17rocblas_diagonal_T1_iil
	.p2align	8
	.type	_ZN9rocsolver6v33100L18trti2_kernel_smallILi50EfPfEEv13rocblas_fill_17rocblas_diagonal_T1_iil,@function
_ZN9rocsolver6v33100L18trti2_kernel_smallILi50EfPfEEv13rocblas_fill_17rocblas_diagonal_T1_iil: ; @_ZN9rocsolver6v33100L18trti2_kernel_smallILi50EfPfEEv13rocblas_fill_17rocblas_diagonal_T1_iil
; %bb.0:
	s_add_u32 s0, s0, s7
	s_addc_u32 s1, s1, 0
	v_cmp_gt_u32_e32 vcc, 50, v0
	s_and_saveexec_b64 s[8:9], vcc
	s_cbranch_execz .LBB49_970
; %bb.1:
	s_load_dwordx8 s[8:15], s[4:5], 0x0
	s_ashr_i32 s7, s6, 31
	v_lshlrev_b32_e32 v101, 2, v0
	s_waitcnt lgkmcnt(0)
	s_ashr_i32 s5, s12, 31
	s_mov_b32 s4, s12
	s_mul_hi_u32 s12, s14, s6
	s_mul_i32 s7, s14, s7
	s_add_i32 s7, s12, s7
	s_mul_i32 s12, s15, s6
	s_add_i32 s7, s7, s12
	s_mul_i32 s6, s14, s6
	s_lshl_b64 s[6:7], s[6:7], 2
	s_add_u32 s6, s10, s6
	s_addc_u32 s7, s11, s7
	s_lshl_b64 s[4:5], s[4:5], 2
	s_add_u32 s4, s6, s4
	s_addc_u32 s5, s7, s5
	s_add_i32 s6, s13, s13
	v_add_u32_e32 v1, s6, v0
	v_ashrrev_i32_e32 v2, 31, v1
	v_lshlrev_b64 v[3:4], 2, v[1:2]
	v_add_u32_e32 v5, s13, v1
	v_mov_b32_e32 v2, s5
	v_add_co_u32_e32 v3, vcc, s4, v3
	v_ashrrev_i32_e32 v6, 31, v5
	v_addc_co_u32_e32 v4, vcc, v2, v4, vcc
	v_lshlrev_b64 v[1:2], 2, v[5:6]
	v_add_u32_e32 v7, s13, v5
	v_mov_b32_e32 v6, s5
	v_add_co_u32_e32 v1, vcc, s4, v1
	v_ashrrev_i32_e32 v8, 31, v7
	v_addc_co_u32_e32 v2, vcc, v6, v2, vcc
	v_lshlrev_b64 v[5:6], 2, v[7:8]
	v_mov_b32_e32 v8, s5
	v_add_co_u32_e32 v5, vcc, s4, v5
	v_add_u32_e32 v7, s13, v7
	v_addc_co_u32_e32 v6, vcc, v8, v6, vcc
	v_ashrrev_i32_e32 v8, 31, v7
	v_lshlrev_b64 v[9:10], 2, v[7:8]
	v_add_u32_e32 v11, s13, v7
	v_mov_b32_e32 v8, s5
	v_add_co_u32_e32 v9, vcc, s4, v9
	v_ashrrev_i32_e32 v12, 31, v11
	v_addc_co_u32_e32 v10, vcc, v8, v10, vcc
	v_lshlrev_b64 v[7:8], 2, v[11:12]
	v_mov_b32_e32 v12, s5
	v_add_co_u32_e32 v7, vcc, s4, v7
	v_add_u32_e32 v11, s13, v11
	v_addc_co_u32_e32 v8, vcc, v12, v8, vcc
	v_ashrrev_i32_e32 v12, 31, v11
	v_lshlrev_b64 v[13:14], 2, v[11:12]
	v_add_u32_e32 v15, s13, v11
	v_mov_b32_e32 v12, s5
	v_add_co_u32_e32 v13, vcc, s4, v13
	v_ashrrev_i32_e32 v16, 31, v15
	v_addc_co_u32_e32 v14, vcc, v12, v14, vcc
	v_lshlrev_b64 v[11:12], 2, v[15:16]
	v_add_u32_e32 v17, s13, v15
	v_mov_b32_e32 v16, s5
	v_add_co_u32_e32 v11, vcc, s4, v11
	v_ashrrev_i32_e32 v18, 31, v17
	v_addc_co_u32_e32 v12, vcc, v16, v12, vcc
	;; [unrolled: 6-line block ×3, first 2 shown]
	v_lshlrev_b64 v[17:18], 2, v[19:20]
	v_mov_b32_e32 v21, s5
	v_add_co_u32_e32 v17, vcc, s4, v17
	v_addc_co_u32_e32 v18, vcc, v21, v18, vcc
	v_add_u32_e32 v21, s13, v19
	v_ashrrev_i32_e32 v22, 31, v21
	v_lshlrev_b64 v[19:20], 2, v[21:22]
	v_mov_b32_e32 v23, s5
	v_add_co_u32_e32 v19, vcc, s4, v19
	v_addc_co_u32_e32 v20, vcc, v23, v20, vcc
	v_add_u32_e32 v23, s13, v21
	v_ashrrev_i32_e32 v24, 31, v23
	;; [unrolled: 6-line block ×30, first 2 shown]
	v_lshlrev_b64 v[77:78], 2, v[79:80]
	v_mov_b32_e32 v81, s5
	v_add_co_u32_e32 v77, vcc, s4, v77
	v_addc_co_u32_e32 v78, vcc, v81, v78, vcc
	v_add_u32_e32 v81, s13, v79
	v_mov_b32_e32 v79, s5
	v_add_co_u32_e32 v97, vcc, s4, v101
	s_ashr_i32 s7, s13, 31
	s_mov_b32 s6, s13
	v_addc_co_u32_e32 v98, vcc, 0, v79, vcc
	s_lshl_b64 s[6:7], s[6:7], 2
	v_mov_b32_e32 v79, s7
	v_add_co_u32_e32 v99, vcc, s6, v97
	global_load_dword v102, v101, s[4:5]
	v_addc_co_u32_e32 v100, vcc, v98, v79, vcc
	global_load_dword v103, v[99:100], off
	global_load_dword v104, v[3:4], off
	;; [unrolled: 1-line block ×6, first 2 shown]
	v_ashrrev_i32_e32 v82, 31, v81
	v_lshlrev_b64 v[79:80], 2, v[81:82]
	v_mov_b32_e32 v83, s5
	v_add_co_u32_e32 v79, vcc, s4, v79
	v_addc_co_u32_e32 v80, vcc, v83, v80, vcc
	v_add_u32_e32 v83, s13, v81
	v_ashrrev_i32_e32 v84, 31, v83
	v_lshlrev_b64 v[81:82], 2, v[83:84]
	v_mov_b32_e32 v85, s5
	v_add_co_u32_e32 v81, vcc, s4, v81
	v_addc_co_u32_e32 v82, vcc, v85, v82, vcc
	v_add_u32_e32 v85, s13, v83
	;; [unrolled: 6-line block ×7, first 2 shown]
	v_ashrrev_i32_e32 v96, 31, v95
	v_lshlrev_b64 v[93:94], 2, v[95:96]
	v_add_u32_e32 v95, s13, v95
	v_ashrrev_i32_e32 v96, 31, v95
	v_mov_b32_e32 v109, s5
	v_add_co_u32_e32 v93, vcc, s4, v93
	v_lshlrev_b64 v[95:96], 2, v[95:96]
	v_addc_co_u32_e32 v94, vcc, v109, v94, vcc
	v_add_co_u32_e32 v95, vcc, s4, v95
	v_addc_co_u32_e32 v96, vcc, v109, v96, vcc
	global_load_dword v109, v[95:96], off
	s_cmpk_lg_i32 s9, 0x84
	s_movk_i32 s12, 0x84
	s_cselect_b64 s[10:11], -1, 0
	s_cmpk_eq_i32 s9, 0x84
	s_waitcnt vmcnt(7)
	buffer_store_dword v102, off, s[0:3], 0
	global_load_dword v102, v[13:14], off
	s_nop 0
	global_load_dword v110, v[11:12], off
	s_waitcnt vmcnt(9)
	buffer_store_dword v103, off, s[0:3], 0 offset:4
	s_waitcnt vmcnt(9)
	buffer_store_dword v104, off, s[0:3], 0 offset:8
	;; [unrolled: 2-line block ×3, first 2 shown]
	global_load_dword v103, v[15:16], off
	global_load_dword v104, v[17:18], off
	s_nop 0
	global_load_dword v105, v[19:20], off
	global_load_dword v111, v[21:22], off
	;; [unrolled: 1-line block ×14, first 2 shown]
	s_waitcnt vmcnt(25)
	buffer_store_dword v106, off, s[0:3], 0 offset:16
	s_waitcnt vmcnt(25)
	buffer_store_dword v107, off, s[0:3], 0 offset:20
	;; [unrolled: 2-line block ×3, first 2 shown]
	global_load_dword v106, v[47:48], off
	global_load_dword v107, v[49:50], off
	s_nop 0
	global_load_dword v108, v[51:52], off
	s_waitcnt vmcnt(26)
	buffer_store_dword v102, off, s[0:3], 0 offset:28
	s_waitcnt vmcnt(26)
	buffer_store_dword v110, off, s[0:3], 0 offset:32
	;; [unrolled: 2-line block ×18, first 2 shown]
	global_load_dword v102, v[53:54], off
	global_load_dword v103, v[55:56], off
	;; [unrolled: 1-line block ×5, first 2 shown]
	s_waitcnt vmcnt(25)
	buffer_store_dword v106, off, s[0:3], 0 offset:100
	s_waitcnt vmcnt(25)
	buffer_store_dword v107, off, s[0:3], 0 offset:104
	;; [unrolled: 2-line block ×3, first 2 shown]
	global_load_dword v106, v[63:64], off
	global_load_dword v107, v[65:66], off
	s_nop 0
	global_load_dword v108, v[67:68], off
	global_load_dword v111, v[69:70], off
	;; [unrolled: 1-line block ×14, first 2 shown]
	s_waitcnt vmcnt(23)
	buffer_store_dword v102, off, s[0:3], 0 offset:112
	s_waitcnt vmcnt(23)
	buffer_store_dword v103, off, s[0:3], 0 offset:116
	;; [unrolled: 2-line block ×21, first 2 shown]
	buffer_store_dword v109, off, s[0:3], 0 offset:196
	v_mov_b32_e32 v102, -1.0
	s_cbranch_scc1 .LBB49_3
; %bb.2:
	v_mov_b32_e32 v102, 0
	v_lshl_add_u32 v102, v0, 2, v102
	buffer_load_dword v103, v102, s[0:3], 0 offen
	s_waitcnt vmcnt(0)
	v_div_scale_f32 v104, s[4:5], v103, v103, 1.0
	v_div_scale_f32 v105, vcc, 1.0, v103, 1.0
	v_rcp_f32_e32 v106, v104
	v_fma_f32 v107, -v104, v106, 1.0
	v_fmac_f32_e32 v106, v107, v106
	v_mul_f32_e32 v107, v105, v106
	v_fma_f32 v108, -v104, v107, v105
	v_fmac_f32_e32 v107, v108, v106
	v_fma_f32 v104, -v104, v107, v105
	v_div_fmas_f32 v104, v104, v106, v107
	v_div_fixup_f32 v103, v104, v103, 1.0
	buffer_store_dword v103, v102, s[0:3], 0 offen
	v_xor_b32_e32 v102, 0x80000000, v103
.LBB49_3:
	ds_write_b32 v101, v102
	s_cmpk_eq_i32 s8, 0x79
	v_add_u32_e32 v102, 0xd0, v101
	v_mov_b32_e32 v103, v101
	s_mov_b64 s[4:5], -1
	s_cbranch_scc1 .LBB49_487
; %bb.4:
	buffer_load_dword v104, off, s[0:3], 0 offset:192
	s_movk_i32 s30, 0x44
	s_movk_i32 s31, 0x48
	;; [unrolled: 1-line block ×30, first 2 shown]
	v_cmp_eq_u32_e64 s[4:5], 49, v0
	s_waitcnt vmcnt(0)
	ds_write_b32 v102, v104
	s_waitcnt lgkmcnt(0)
	; wave barrier
	s_and_saveexec_b64 s[6:7], s[4:5]
	s_cbranch_execz .LBB49_10
; %bb.5:
	s_and_b64 vcc, exec, s[10:11]
	s_cbranch_vccz .LBB49_7
; %bb.6:
	buffer_load_dword v104, v103, s[0:3], 0 offen
	ds_read_b32 v105, v102
	s_waitcnt vmcnt(0) lgkmcnt(0)
	v_mul_f32_e32 v104, v104, v105
	s_cbranch_execz .LBB49_8
	s_branch .LBB49_9
.LBB49_7:
                                        ; implicit-def: $vgpr104
.LBB49_8:
	ds_read_b32 v104, v102
.LBB49_9:
	v_mov_b32_e32 v105, 0
	ds_read_b32 v105, v105 offset:192
	s_waitcnt lgkmcnt(0)
	v_mul_f32_e32 v104, v104, v105
	buffer_store_dword v104, off, s[0:3], 0 offset:192
.LBB49_10:
	s_or_b64 exec, exec, s[6:7]
	buffer_load_dword v104, off, s[0:3], 0 offset:188
	s_or_b32 s14, 0, 4
	s_or_b32 s15, 0, 8
	;; [unrolled: 1-line block ×3, first 2 shown]
	s_mov_b32 s17, 16
	s_mov_b32 s18, 20
	;; [unrolled: 1-line block ×15, first 2 shown]
	v_cmp_lt_u32_e64 s[6:7], 47, v0
	s_waitcnt vmcnt(0)
	ds_write_b32 v102, v104
	s_waitcnt lgkmcnt(0)
	; wave barrier
	s_and_saveexec_b64 s[8:9], s[6:7]
	s_cbranch_execz .LBB49_16
; %bb.11:
	s_andn2_b64 vcc, exec, s[10:11]
	s_cbranch_vccnz .LBB49_13
; %bb.12:
	buffer_load_dword v104, v103, s[0:3], 0 offen
	ds_read_b32 v105, v102
	s_waitcnt vmcnt(0) lgkmcnt(0)
	v_mul_f32_e32 v104, v104, v105
	s_cbranch_execz .LBB49_14
	s_branch .LBB49_15
.LBB49_13:
                                        ; implicit-def: $vgpr104
.LBB49_14:
	ds_read_b32 v104, v102
.LBB49_15:
	buffer_load_dword v107, off, s[0:3], 0 offset:192
	v_mov_b32_e32 v105, 0
	ds_read2_b32 v[105:106], v105 offset0:47 offset1:100
	s_waitcnt vmcnt(0) lgkmcnt(0)
	v_fma_f32 v106, v107, v106, v104
	v_cndmask_b32_e64 v104, v104, v106, s[4:5]
	v_mul_f32_e32 v104, v104, v105
	buffer_store_dword v104, off, s[0:3], 0 offset:188
.LBB49_16:
	s_or_b64 exec, exec, s[8:9]
	buffer_load_dword v104, off, s[0:3], 0 offset:184
	v_cmp_lt_u32_e64 s[4:5], 46, v0
	s_waitcnt vmcnt(0)
	ds_write_b32 v102, v104
	s_waitcnt lgkmcnt(0)
	; wave barrier
	s_and_saveexec_b64 s[8:9], s[4:5]
	s_cbranch_execz .LBB49_26
; %bb.17:
	s_andn2_b64 vcc, exec, s[10:11]
	s_cbranch_vccnz .LBB49_19
; %bb.18:
	buffer_load_dword v104, v103, s[0:3], 0 offen
	ds_read_b32 v105, v102
	s_waitcnt vmcnt(0) lgkmcnt(0)
	v_mul_f32_e32 v104, v104, v105
	s_cbranch_execz .LBB49_20
	s_branch .LBB49_21
.LBB49_19:
                                        ; implicit-def: $vgpr104
.LBB49_20:
	ds_read_b32 v104, v102
.LBB49_21:
	s_and_saveexec_b64 s[12:13], s[6:7]
	s_cbranch_execz .LBB49_25
; %bb.22:
	v_subrev_u32_e32 v105, 47, v0
	s_movk_i32 s62, 0x18c
	s_mov_b64 s[6:7], 0
.LBB49_23:                              ; =>This Inner Loop Header: Depth=1
	v_mov_b32_e32 v106, s61
	buffer_load_dword v106, v106, s[0:3], 0 offen
	v_mov_b32_e32 v107, s62
	ds_read_b32 v107, v107
	v_add_u32_e32 v105, -1, v105
	s_add_i32 s62, s62, 4
	s_add_i32 s61, s61, 4
	v_cmp_eq_u32_e32 vcc, 0, v105
	s_or_b64 s[6:7], vcc, s[6:7]
	s_waitcnt vmcnt(0) lgkmcnt(0)
	v_fmac_f32_e32 v104, v106, v107
	s_andn2_b64 exec, exec, s[6:7]
	s_cbranch_execnz .LBB49_23
; %bb.24:
	s_or_b64 exec, exec, s[6:7]
.LBB49_25:
	s_or_b64 exec, exec, s[12:13]
	v_mov_b32_e32 v105, 0
	ds_read_b32 v105, v105 offset:184
	s_waitcnt lgkmcnt(0)
	v_mul_f32_e32 v104, v104, v105
	buffer_store_dword v104, off, s[0:3], 0 offset:184
.LBB49_26:
	s_or_b64 exec, exec, s[8:9]
	buffer_load_dword v104, off, s[0:3], 0 offset:180
	v_cmp_lt_u32_e64 s[6:7], 45, v0
	s_waitcnt vmcnt(0)
	ds_write_b32 v102, v104
	s_waitcnt lgkmcnt(0)
	; wave barrier
	s_and_saveexec_b64 s[8:9], s[6:7]
	s_cbranch_execz .LBB49_36
; %bb.27:
	s_andn2_b64 vcc, exec, s[10:11]
	s_cbranch_vccnz .LBB49_29
; %bb.28:
	buffer_load_dword v104, v103, s[0:3], 0 offen
	ds_read_b32 v105, v102
	s_waitcnt vmcnt(0) lgkmcnt(0)
	v_mul_f32_e32 v104, v104, v105
	s_cbranch_execz .LBB49_30
	s_branch .LBB49_31
.LBB49_29:
                                        ; implicit-def: $vgpr104
.LBB49_30:
	ds_read_b32 v104, v102
.LBB49_31:
	s_and_saveexec_b64 s[12:13], s[4:5]
	s_cbranch_execz .LBB49_35
; %bb.32:
	v_subrev_u32_e32 v105, 46, v0
	s_movk_i32 s61, 0x188
	s_mov_b64 s[4:5], 0
.LBB49_33:                              ; =>This Inner Loop Header: Depth=1
	v_mov_b32_e32 v106, s60
	buffer_load_dword v106, v106, s[0:3], 0 offen
	v_mov_b32_e32 v107, s61
	ds_read_b32 v107, v107
	v_add_u32_e32 v105, -1, v105
	s_add_i32 s61, s61, 4
	s_add_i32 s60, s60, 4
	v_cmp_eq_u32_e32 vcc, 0, v105
	s_or_b64 s[4:5], vcc, s[4:5]
	s_waitcnt vmcnt(0) lgkmcnt(0)
	v_fmac_f32_e32 v104, v106, v107
	s_andn2_b64 exec, exec, s[4:5]
	s_cbranch_execnz .LBB49_33
; %bb.34:
	s_or_b64 exec, exec, s[4:5]
.LBB49_35:
	s_or_b64 exec, exec, s[12:13]
	v_mov_b32_e32 v105, 0
	ds_read_b32 v105, v105 offset:180
	s_waitcnt lgkmcnt(0)
	v_mul_f32_e32 v104, v104, v105
	buffer_store_dword v104, off, s[0:3], 0 offset:180
.LBB49_36:
	;; [unrolled: 54-line block ×8, first 2 shown]
	s_or_b64 exec, exec, s[8:9]
	buffer_load_dword v104, off, s[0:3], 0 offset:152
	v_cmp_lt_u32_e64 s[4:5], 38, v0
	s_waitcnt vmcnt(0)
	ds_write_b32 v102, v104
	s_waitcnt lgkmcnt(0)
	; wave barrier
	s_and_saveexec_b64 s[8:9], s[4:5]
	s_cbranch_execz .LBB49_106
; %bb.97:
	s_andn2_b64 vcc, exec, s[10:11]
	s_cbranch_vccnz .LBB49_99
; %bb.98:
	buffer_load_dword v104, v103, s[0:3], 0 offen
	ds_read_b32 v105, v102
	s_waitcnt vmcnt(0) lgkmcnt(0)
	v_mul_f32_e32 v104, v104, v105
	s_cbranch_execz .LBB49_100
	s_branch .LBB49_101
.LBB49_99:
                                        ; implicit-def: $vgpr104
.LBB49_100:
	ds_read_b32 v104, v102
.LBB49_101:
	s_and_saveexec_b64 s[12:13], s[6:7]
	s_cbranch_execz .LBB49_105
; %bb.102:
	v_subrev_u32_e32 v105, 39, v0
	s_movk_i32 s54, 0x16c
	s_mov_b64 s[6:7], 0
.LBB49_103:                             ; =>This Inner Loop Header: Depth=1
	v_mov_b32_e32 v106, s53
	buffer_load_dword v106, v106, s[0:3], 0 offen
	v_mov_b32_e32 v107, s54
	ds_read_b32 v107, v107
	v_add_u32_e32 v105, -1, v105
	s_add_i32 s54, s54, 4
	s_add_i32 s53, s53, 4
	v_cmp_eq_u32_e32 vcc, 0, v105
	s_or_b64 s[6:7], vcc, s[6:7]
	s_waitcnt vmcnt(0) lgkmcnt(0)
	v_fmac_f32_e32 v104, v106, v107
	s_andn2_b64 exec, exec, s[6:7]
	s_cbranch_execnz .LBB49_103
; %bb.104:
	s_or_b64 exec, exec, s[6:7]
.LBB49_105:
	s_or_b64 exec, exec, s[12:13]
	v_mov_b32_e32 v105, 0
	ds_read_b32 v105, v105 offset:152
	s_waitcnt lgkmcnt(0)
	v_mul_f32_e32 v104, v104, v105
	buffer_store_dword v104, off, s[0:3], 0 offset:152
.LBB49_106:
	s_or_b64 exec, exec, s[8:9]
	buffer_load_dword v104, off, s[0:3], 0 offset:148
	v_cmp_lt_u32_e64 s[6:7], 37, v0
	s_waitcnt vmcnt(0)
	ds_write_b32 v102, v104
	s_waitcnt lgkmcnt(0)
	; wave barrier
	s_and_saveexec_b64 s[8:9], s[6:7]
	s_cbranch_execz .LBB49_116
; %bb.107:
	s_andn2_b64 vcc, exec, s[10:11]
	s_cbranch_vccnz .LBB49_109
; %bb.108:
	buffer_load_dword v104, v103, s[0:3], 0 offen
	ds_read_b32 v105, v102
	s_waitcnt vmcnt(0) lgkmcnt(0)
	v_mul_f32_e32 v104, v104, v105
	s_cbranch_execz .LBB49_110
	s_branch .LBB49_111
.LBB49_109:
                                        ; implicit-def: $vgpr104
.LBB49_110:
	ds_read_b32 v104, v102
.LBB49_111:
	s_and_saveexec_b64 s[12:13], s[4:5]
	s_cbranch_execz .LBB49_115
; %bb.112:
	v_subrev_u32_e32 v105, 38, v0
	s_movk_i32 s53, 0x168
	s_mov_b64 s[4:5], 0
.LBB49_113:                             ; =>This Inner Loop Header: Depth=1
	v_mov_b32_e32 v106, s52
	buffer_load_dword v106, v106, s[0:3], 0 offen
	v_mov_b32_e32 v107, s53
	ds_read_b32 v107, v107
	v_add_u32_e32 v105, -1, v105
	s_add_i32 s53, s53, 4
	s_add_i32 s52, s52, 4
	v_cmp_eq_u32_e32 vcc, 0, v105
	s_or_b64 s[4:5], vcc, s[4:5]
	s_waitcnt vmcnt(0) lgkmcnt(0)
	v_fmac_f32_e32 v104, v106, v107
	s_andn2_b64 exec, exec, s[4:5]
	s_cbranch_execnz .LBB49_113
; %bb.114:
	s_or_b64 exec, exec, s[4:5]
.LBB49_115:
	s_or_b64 exec, exec, s[12:13]
	v_mov_b32_e32 v105, 0
	ds_read_b32 v105, v105 offset:148
	s_waitcnt lgkmcnt(0)
	v_mul_f32_e32 v104, v104, v105
	buffer_store_dword v104, off, s[0:3], 0 offset:148
.LBB49_116:
	;; [unrolled: 54-line block ×23, first 2 shown]
	s_or_b64 exec, exec, s[8:9]
	buffer_load_dword v104, off, s[0:3], 0 offset:60
	v_cmp_lt_u32_e64 s[6:7], 15, v0
	s_waitcnt vmcnt(0)
	ds_write_b32 v102, v104
	s_waitcnt lgkmcnt(0)
	; wave barrier
	s_and_saveexec_b64 s[8:9], s[6:7]
	s_cbranch_execz .LBB49_336
; %bb.327:
	s_andn2_b64 vcc, exec, s[10:11]
	s_cbranch_vccnz .LBB49_329
; %bb.328:
	buffer_load_dword v104, v103, s[0:3], 0 offen
	ds_read_b32 v105, v102
	s_waitcnt vmcnt(0) lgkmcnt(0)
	v_mul_f32_e32 v104, v104, v105
	s_cbranch_execz .LBB49_330
	s_branch .LBB49_331
.LBB49_329:
                                        ; implicit-def: $vgpr104
.LBB49_330:
	ds_read_b32 v104, v102
.LBB49_331:
	s_and_saveexec_b64 s[12:13], s[4:5]
	s_cbranch_execz .LBB49_335
; %bb.332:
	v_add_u32_e32 v105, -16, v0
	s_movk_i32 s30, 0x110
	s_mov_b64 s[4:5], 0
.LBB49_333:                             ; =>This Inner Loop Header: Depth=1
	v_mov_b32_e32 v106, s29
	buffer_load_dword v106, v106, s[0:3], 0 offen
	v_mov_b32_e32 v107, s30
	ds_read_b32 v107, v107
	v_add_u32_e32 v105, -1, v105
	s_add_i32 s30, s30, 4
	s_add_i32 s29, s29, 4
	v_cmp_eq_u32_e32 vcc, 0, v105
	s_or_b64 s[4:5], vcc, s[4:5]
	s_waitcnt vmcnt(0) lgkmcnt(0)
	v_fmac_f32_e32 v104, v106, v107
	s_andn2_b64 exec, exec, s[4:5]
	s_cbranch_execnz .LBB49_333
; %bb.334:
	s_or_b64 exec, exec, s[4:5]
.LBB49_335:
	s_or_b64 exec, exec, s[12:13]
	v_mov_b32_e32 v105, 0
	ds_read_b32 v105, v105 offset:60
	s_waitcnt lgkmcnt(0)
	v_mul_f32_e32 v104, v104, v105
	buffer_store_dword v104, off, s[0:3], 0 offset:60
.LBB49_336:
	s_or_b64 exec, exec, s[8:9]
	buffer_load_dword v104, off, s[0:3], 0 offset:56
	v_cmp_lt_u32_e64 s[4:5], 14, v0
	s_waitcnt vmcnt(0)
	ds_write_b32 v102, v104
	s_waitcnt lgkmcnt(0)
	; wave barrier
	s_and_saveexec_b64 s[8:9], s[4:5]
	s_cbranch_execz .LBB49_346
; %bb.337:
	s_andn2_b64 vcc, exec, s[10:11]
	s_cbranch_vccnz .LBB49_339
; %bb.338:
	buffer_load_dword v104, v103, s[0:3], 0 offen
	ds_read_b32 v105, v102
	s_waitcnt vmcnt(0) lgkmcnt(0)
	v_mul_f32_e32 v104, v104, v105
	s_cbranch_execz .LBB49_340
	s_branch .LBB49_341
.LBB49_339:
                                        ; implicit-def: $vgpr104
.LBB49_340:
	ds_read_b32 v104, v102
.LBB49_341:
	s_and_saveexec_b64 s[12:13], s[6:7]
	s_cbranch_execz .LBB49_345
; %bb.342:
	v_add_u32_e32 v105, -15, v0
	s_movk_i32 s29, 0x10c
	s_mov_b64 s[6:7], 0
.LBB49_343:                             ; =>This Inner Loop Header: Depth=1
	v_mov_b32_e32 v106, s28
	buffer_load_dword v106, v106, s[0:3], 0 offen
	v_mov_b32_e32 v107, s29
	ds_read_b32 v107, v107
	v_add_u32_e32 v105, -1, v105
	s_add_i32 s29, s29, 4
	s_add_i32 s28, s28, 4
	v_cmp_eq_u32_e32 vcc, 0, v105
	s_or_b64 s[6:7], vcc, s[6:7]
	s_waitcnt vmcnt(0) lgkmcnt(0)
	v_fmac_f32_e32 v104, v106, v107
	s_andn2_b64 exec, exec, s[6:7]
	s_cbranch_execnz .LBB49_343
; %bb.344:
	s_or_b64 exec, exec, s[6:7]
.LBB49_345:
	s_or_b64 exec, exec, s[12:13]
	v_mov_b32_e32 v105, 0
	ds_read_b32 v105, v105 offset:56
	s_waitcnt lgkmcnt(0)
	v_mul_f32_e32 v104, v104, v105
	buffer_store_dword v104, off, s[0:3], 0 offset:56
.LBB49_346:
	;; [unrolled: 54-line block ×15, first 2 shown]
	s_or_b64 exec, exec, s[8:9]
	buffer_load_dword v104, off, s[0:3], 0
	v_cmp_ne_u32_e32 vcc, 0, v0
	s_waitcnt vmcnt(0)
	ds_write_b32 v102, v104
	s_waitcnt lgkmcnt(0)
	; wave barrier
	s_and_saveexec_b64 s[4:5], vcc
	s_cbranch_execz .LBB49_486
; %bb.477:
	s_andn2_b64 vcc, exec, s[10:11]
	s_cbranch_vccnz .LBB49_479
; %bb.478:
	buffer_load_dword v104, v103, s[0:3], 0 offen
	ds_read_b32 v105, v102
	s_waitcnt vmcnt(0) lgkmcnt(0)
	v_mul_f32_e32 v104, v104, v105
	s_cbranch_execz .LBB49_480
	s_branch .LBB49_481
.LBB49_479:
                                        ; implicit-def: $vgpr104
.LBB49_480:
	ds_read_b32 v104, v102
.LBB49_481:
	s_and_saveexec_b64 s[8:9], s[6:7]
	s_cbranch_execz .LBB49_485
; %bb.482:
	v_add_u32_e32 v105, -1, v0
	s_movk_i32 s12, 0xd4
	s_mov_b64 s[6:7], 0
.LBB49_483:                             ; =>This Inner Loop Header: Depth=1
	v_mov_b32_e32 v106, s14
	buffer_load_dword v106, v106, s[0:3], 0 offen
	v_mov_b32_e32 v107, s12
	ds_read_b32 v107, v107
	v_add_u32_e32 v105, -1, v105
	s_add_i32 s12, s12, 4
	s_add_i32 s14, s14, 4
	v_cmp_eq_u32_e32 vcc, 0, v105
	s_or_b64 s[6:7], vcc, s[6:7]
	s_waitcnt vmcnt(0) lgkmcnt(0)
	v_fmac_f32_e32 v104, v106, v107
	s_andn2_b64 exec, exec, s[6:7]
	s_cbranch_execnz .LBB49_483
; %bb.484:
	s_or_b64 exec, exec, s[6:7]
.LBB49_485:
	s_or_b64 exec, exec, s[8:9]
	v_mov_b32_e32 v105, 0
	ds_read_b32 v105, v105
	s_waitcnt lgkmcnt(0)
	v_mul_f32_e32 v104, v104, v105
	buffer_store_dword v104, off, s[0:3], 0
.LBB49_486:
	s_or_b64 exec, exec, s[4:5]
	s_mov_b64 s[4:5], 0
.LBB49_487:
	s_and_b64 vcc, exec, s[4:5]
	s_cbranch_vccz .LBB49_969
; %bb.488:
	buffer_load_dword v104, off, s[0:3], 0 offset:4
	v_cmp_eq_u32_e64 s[6:7], 0, v0
	s_waitcnt vmcnt(0)
	ds_write_b32 v102, v104
	s_waitcnt lgkmcnt(0)
	; wave barrier
	s_and_saveexec_b64 s[4:5], s[6:7]
	s_cbranch_execz .LBB49_494
; %bb.489:
	s_and_b64 vcc, exec, s[10:11]
	s_cbranch_vccz .LBB49_491
; %bb.490:
	buffer_load_dword v104, v103, s[0:3], 0 offen
	ds_read_b32 v105, v102
	s_waitcnt vmcnt(0) lgkmcnt(0)
	v_mul_f32_e32 v104, v104, v105
	s_cbranch_execz .LBB49_492
	s_branch .LBB49_493
.LBB49_491:
                                        ; implicit-def: $vgpr104
.LBB49_492:
	ds_read_b32 v104, v102
.LBB49_493:
	v_mov_b32_e32 v105, 0
	ds_read_b32 v105, v105 offset:4
	s_waitcnt lgkmcnt(0)
	v_mul_f32_e32 v104, v104, v105
	buffer_store_dword v104, off, s[0:3], 0 offset:4
.LBB49_494:
	s_or_b64 exec, exec, s[4:5]
	buffer_load_dword v104, off, s[0:3], 0 offset:8
	v_cndmask_b32_e64 v105, 0, 1, s[10:11]
	v_cmp_gt_u32_e32 vcc, 2, v0
	v_cmp_ne_u32_e64 s[4:5], 1, v105
	s_waitcnt vmcnt(0)
	ds_write_b32 v102, v104
	s_waitcnt lgkmcnt(0)
	; wave barrier
	s_and_saveexec_b64 s[8:9], vcc
	s_cbranch_execz .LBB49_500
; %bb.495:
	s_and_b64 vcc, exec, s[4:5]
	s_cbranch_vccnz .LBB49_497
; %bb.496:
	buffer_load_dword v104, v103, s[0:3], 0 offen
	ds_read_b32 v105, v102
	s_waitcnt vmcnt(0) lgkmcnt(0)
	v_mul_f32_e32 v104, v104, v105
	s_cbranch_execz .LBB49_498
	s_branch .LBB49_499
.LBB49_497:
                                        ; implicit-def: $vgpr104
.LBB49_498:
	ds_read_b32 v104, v102
.LBB49_499:
	buffer_load_dword v107, off, s[0:3], 0 offset:4
	v_mov_b32_e32 v105, 0
	ds_read2_b32 v[105:106], v105 offset0:2 offset1:53
	s_waitcnt vmcnt(0) lgkmcnt(0)
	v_fma_f32 v106, v107, v106, v104
	v_cndmask_b32_e64 v104, v104, v106, s[6:7]
	v_mul_f32_e32 v104, v104, v105
	buffer_store_dword v104, off, s[0:3], 0 offset:8
.LBB49_500:
	s_or_b64 exec, exec, s[8:9]
	buffer_load_dword v104, off, s[0:3], 0 offset:12
	v_cmp_gt_u32_e32 vcc, 3, v0
	s_waitcnt vmcnt(0)
	ds_write_b32 v102, v104
	s_waitcnt lgkmcnt(0)
	; wave barrier
	s_and_saveexec_b64 s[8:9], vcc
	s_cbranch_execz .LBB49_508
; %bb.501:
	s_and_b64 vcc, exec, s[4:5]
	s_cbranch_vccnz .LBB49_503
; %bb.502:
	buffer_load_dword v104, v103, s[0:3], 0 offen
	ds_read_b32 v105, v102
	s_waitcnt vmcnt(0) lgkmcnt(0)
	v_mul_f32_e32 v104, v104, v105
	s_cbranch_execz .LBB49_504
	s_branch .LBB49_505
.LBB49_503:
                                        ; implicit-def: $vgpr104
.LBB49_504:
	ds_read_b32 v104, v102
.LBB49_505:
	v_cmp_ne_u32_e32 vcc, 2, v0
	s_and_saveexec_b64 s[10:11], vcc
	s_cbranch_execz .LBB49_507
; %bb.506:
	buffer_load_dword v105, v103, s[0:3], 0 offen offset:4
	buffer_load_dword v106, off, s[0:3], 0 offset:8
	v_mov_b32_e32 v107, 0
	ds_read_b32 v108, v102 offset:4
	ds_read_b32 v107, v107 offset:216
	s_waitcnt vmcnt(1) lgkmcnt(1)
	v_fmac_f32_e32 v104, v105, v108
	s_waitcnt vmcnt(0) lgkmcnt(0)
	v_fma_f32 v105, v106, v107, v104
	v_cndmask_b32_e64 v104, v104, v105, s[6:7]
.LBB49_507:
	s_or_b64 exec, exec, s[10:11]
	v_mov_b32_e32 v105, 0
	ds_read_b32 v105, v105 offset:12
	s_waitcnt lgkmcnt(0)
	v_mul_f32_e32 v104, v104, v105
	buffer_store_dword v104, off, s[0:3], 0 offset:12
.LBB49_508:
	s_or_b64 exec, exec, s[8:9]
	buffer_load_dword v104, off, s[0:3], 0 offset:16
	v_cmp_gt_u32_e32 vcc, 4, v0
	s_waitcnt vmcnt(0)
	ds_write_b32 v102, v104
	s_waitcnt lgkmcnt(0)
	; wave barrier
	s_and_saveexec_b64 s[6:7], vcc
	s_cbranch_execz .LBB49_518
; %bb.509:
	s_and_b64 vcc, exec, s[4:5]
	s_cbranch_vccnz .LBB49_511
; %bb.510:
	buffer_load_dword v104, v103, s[0:3], 0 offen
	ds_read_b32 v105, v102
	s_waitcnt vmcnt(0) lgkmcnt(0)
	v_mul_f32_e32 v104, v104, v105
	s_cbranch_execz .LBB49_512
	s_branch .LBB49_513
.LBB49_511:
                                        ; implicit-def: $vgpr104
.LBB49_512:
	ds_read_b32 v104, v102
.LBB49_513:
	v_cmp_ne_u32_e32 vcc, 3, v0
	s_and_saveexec_b64 s[8:9], vcc
	s_cbranch_execz .LBB49_517
; %bb.514:
	s_mov_b32 s10, 0
	v_add_u32_e32 v105, 0xd4, v101
	v_add3_u32 v106, v101, s10, 4
	s_mov_b64 s[10:11], 0
	v_mov_b32_e32 v107, v0
.LBB49_515:                             ; =>This Inner Loop Header: Depth=1
	buffer_load_dword v108, v106, s[0:3], 0 offen
	ds_read_b32 v109, v105
	v_add_u32_e32 v107, 1, v107
	v_cmp_lt_u32_e32 vcc, 2, v107
	v_add_u32_e32 v105, 4, v105
	v_add_u32_e32 v106, 4, v106
	s_or_b64 s[10:11], vcc, s[10:11]
	s_waitcnt vmcnt(0) lgkmcnt(0)
	v_fmac_f32_e32 v104, v108, v109
	s_andn2_b64 exec, exec, s[10:11]
	s_cbranch_execnz .LBB49_515
; %bb.516:
	s_or_b64 exec, exec, s[10:11]
.LBB49_517:
	s_or_b64 exec, exec, s[8:9]
	v_mov_b32_e32 v105, 0
	ds_read_b32 v105, v105 offset:16
	s_waitcnt lgkmcnt(0)
	v_mul_f32_e32 v104, v104, v105
	buffer_store_dword v104, off, s[0:3], 0 offset:16
.LBB49_518:
	s_or_b64 exec, exec, s[6:7]
	buffer_load_dword v104, off, s[0:3], 0 offset:20
	v_cmp_gt_u32_e32 vcc, 5, v0
	s_waitcnt vmcnt(0)
	ds_write_b32 v102, v104
	s_waitcnt lgkmcnt(0)
	; wave barrier
	s_and_saveexec_b64 s[6:7], vcc
	s_cbranch_execz .LBB49_528
; %bb.519:
	s_and_b64 vcc, exec, s[4:5]
	s_cbranch_vccnz .LBB49_521
; %bb.520:
	buffer_load_dword v104, v103, s[0:3], 0 offen
	ds_read_b32 v105, v102
	s_waitcnt vmcnt(0) lgkmcnt(0)
	v_mul_f32_e32 v104, v104, v105
	s_cbranch_execz .LBB49_522
	s_branch .LBB49_523
.LBB49_521:
                                        ; implicit-def: $vgpr104
.LBB49_522:
	ds_read_b32 v104, v102
.LBB49_523:
	v_cmp_ne_u32_e32 vcc, 4, v0
	s_and_saveexec_b64 s[8:9], vcc
	s_cbranch_execz .LBB49_527
; %bb.524:
	s_mov_b32 s10, 0
	v_add_u32_e32 v105, 0xd4, v101
	v_add3_u32 v106, v101, s10, 4
	s_mov_b64 s[10:11], 0
	v_mov_b32_e32 v107, v0
.LBB49_525:                             ; =>This Inner Loop Header: Depth=1
	buffer_load_dword v108, v106, s[0:3], 0 offen
	ds_read_b32 v109, v105
	v_add_u32_e32 v107, 1, v107
	v_cmp_lt_u32_e32 vcc, 3, v107
	v_add_u32_e32 v105, 4, v105
	v_add_u32_e32 v106, 4, v106
	s_or_b64 s[10:11], vcc, s[10:11]
	s_waitcnt vmcnt(0) lgkmcnt(0)
	v_fmac_f32_e32 v104, v108, v109
	s_andn2_b64 exec, exec, s[10:11]
	s_cbranch_execnz .LBB49_525
; %bb.526:
	s_or_b64 exec, exec, s[10:11]
.LBB49_527:
	s_or_b64 exec, exec, s[8:9]
	v_mov_b32_e32 v105, 0
	ds_read_b32 v105, v105 offset:20
	s_waitcnt lgkmcnt(0)
	v_mul_f32_e32 v104, v104, v105
	buffer_store_dword v104, off, s[0:3], 0 offset:20
.LBB49_528:
	;; [unrolled: 55-line block ×44, first 2 shown]
	s_or_b64 exec, exec, s[6:7]
	buffer_load_dword v104, off, s[0:3], 0 offset:192
	v_cmp_gt_u32_e64 s[6:7], 48, v0
	s_waitcnt vmcnt(0)
	ds_write_b32 v102, v104
	s_waitcnt lgkmcnt(0)
	; wave barrier
	s_and_saveexec_b64 s[8:9], s[6:7]
	s_cbranch_execz .LBB49_958
; %bb.949:
	s_and_b64 vcc, exec, s[4:5]
	s_cbranch_vccnz .LBB49_951
; %bb.950:
	buffer_load_dword v104, v103, s[0:3], 0 offen
	ds_read_b32 v105, v102
	s_waitcnt vmcnt(0) lgkmcnt(0)
	v_mul_f32_e32 v104, v104, v105
	s_cbranch_execz .LBB49_952
	s_branch .LBB49_953
.LBB49_951:
                                        ; implicit-def: $vgpr104
.LBB49_952:
	ds_read_b32 v104, v102
.LBB49_953:
	v_cmp_ne_u32_e32 vcc, 47, v0
	s_and_saveexec_b64 s[10:11], vcc
	s_cbranch_execz .LBB49_957
; %bb.954:
	s_mov_b32 s12, 0
	v_add_u32_e32 v105, 0xd4, v101
	v_add3_u32 v106, v101, s12, 4
	s_mov_b64 s[12:13], 0
	v_mov_b32_e32 v107, v0
.LBB49_955:                             ; =>This Inner Loop Header: Depth=1
	buffer_load_dword v108, v106, s[0:3], 0 offen
	ds_read_b32 v109, v105
	v_add_u32_e32 v107, 1, v107
	v_cmp_lt_u32_e32 vcc, 46, v107
	v_add_u32_e32 v105, 4, v105
	v_add_u32_e32 v106, 4, v106
	s_or_b64 s[12:13], vcc, s[12:13]
	s_waitcnt vmcnt(0) lgkmcnt(0)
	v_fmac_f32_e32 v104, v108, v109
	s_andn2_b64 exec, exec, s[12:13]
	s_cbranch_execnz .LBB49_955
; %bb.956:
	s_or_b64 exec, exec, s[12:13]
.LBB49_957:
	s_or_b64 exec, exec, s[10:11]
	v_mov_b32_e32 v105, 0
	ds_read_b32 v105, v105 offset:192
	s_waitcnt lgkmcnt(0)
	v_mul_f32_e32 v104, v104, v105
	buffer_store_dword v104, off, s[0:3], 0 offset:192
.LBB49_958:
	s_or_b64 exec, exec, s[8:9]
	buffer_load_dword v104, off, s[0:3], 0 offset:196
	v_cmp_ne_u32_e32 vcc, 49, v0
	s_waitcnt vmcnt(0)
	ds_write_b32 v102, v104
	s_waitcnt lgkmcnt(0)
	; wave barrier
	s_and_saveexec_b64 s[8:9], vcc
	s_cbranch_execz .LBB49_968
; %bb.959:
	s_and_b64 vcc, exec, s[4:5]
	s_cbranch_vccnz .LBB49_961
; %bb.960:
	buffer_load_dword v103, v103, s[0:3], 0 offen
	ds_read_b32 v104, v102
	s_waitcnt vmcnt(0) lgkmcnt(0)
	v_mul_f32_e32 v103, v103, v104
	s_cbranch_execz .LBB49_962
	s_branch .LBB49_963
.LBB49_961:
                                        ; implicit-def: $vgpr103
.LBB49_962:
	ds_read_b32 v103, v102
.LBB49_963:
	s_and_saveexec_b64 s[4:5], s[6:7]
	s_cbranch_execz .LBB49_967
; %bb.964:
	s_mov_b32 s6, 0
	v_add_u32_e32 v102, 0xd4, v101
	v_add3_u32 v101, v101, s6, 4
	s_mov_b64 s[6:7], 0
.LBB49_965:                             ; =>This Inner Loop Header: Depth=1
	buffer_load_dword v104, v101, s[0:3], 0 offen
	ds_read_b32 v105, v102
	v_add_u32_e32 v0, 1, v0
	v_cmp_lt_u32_e32 vcc, 47, v0
	v_add_u32_e32 v102, 4, v102
	v_add_u32_e32 v101, 4, v101
	s_or_b64 s[6:7], vcc, s[6:7]
	s_waitcnt vmcnt(0) lgkmcnt(0)
	v_fmac_f32_e32 v103, v104, v105
	s_andn2_b64 exec, exec, s[6:7]
	s_cbranch_execnz .LBB49_965
; %bb.966:
	s_or_b64 exec, exec, s[6:7]
.LBB49_967:
	s_or_b64 exec, exec, s[4:5]
	v_mov_b32_e32 v0, 0
	ds_read_b32 v0, v0 offset:196
	s_waitcnt lgkmcnt(0)
	v_mul_f32_e32 v0, v103, v0
	buffer_store_dword v0, off, s[0:3], 0 offset:196
.LBB49_968:
	s_or_b64 exec, exec, s[8:9]
.LBB49_969:
	buffer_load_dword v0, off, s[0:3], 0
	buffer_load_dword v101, off, s[0:3], 0 offset:4
	buffer_load_dword v102, off, s[0:3], 0 offset:8
	;; [unrolled: 1-line block ×23, first 2 shown]
	s_waitcnt vmcnt(23)
	global_store_dword v[97:98], v0, off
	s_waitcnt vmcnt(23)
	global_store_dword v[99:100], v101, off
	;; [unrolled: 2-line block ×3, first 2 shown]
	buffer_load_dword v0, off, s[0:3], 0 offset:96
	s_nop 0
	buffer_load_dword v3, off, s[0:3], 0 offset:100
	buffer_load_dword v4, off, s[0:3], 0 offset:104
	;; [unrolled: 1-line block ×7, first 2 shown]
	s_waitcnt vmcnt(31)
	global_store_dword v[1:2], v103, off
	s_waitcnt vmcnt(31)
	global_store_dword v[5:6], v104, off
	;; [unrolled: 2-line block ×3, first 2 shown]
	buffer_load_dword v1, off, s[0:3], 0 offset:128
	buffer_load_dword v2, off, s[0:3], 0 offset:132
	;; [unrolled: 1-line block ×4, first 2 shown]
	s_nop 0
	buffer_load_dword v9, off, s[0:3], 0 offset:144
	buffer_load_dword v10, off, s[0:3], 0 offset:148
	;; [unrolled: 1-line block ×4, first 2 shown]
	s_waitcnt vmcnt(39)
	global_store_dword v[7:8], v106, off
	s_waitcnt vmcnt(39)
	global_store_dword v[13:14], v107, off
	buffer_load_dword v7, off, s[0:3], 0 offset:160
	buffer_load_dword v8, off, s[0:3], 0 offset:164
	s_nop 0
	buffer_load_dword v13, off, s[0:3], 0 offset:168
	buffer_load_dword v14, off, s[0:3], 0 offset:172
	;; [unrolled: 1-line block ×6, first 2 shown]
	s_waitcnt vmcnt(47)
	global_store_dword v[11:12], v108, off
	buffer_load_dword v11, off, s[0:3], 0 offset:192
	s_nop 0
	buffer_load_dword v12, off, s[0:3], 0 offset:196
	s_waitcnt vmcnt(49)
	global_store_dword v[15:16], v109, off
	s_waitcnt vmcnt(49)
	global_store_dword v[17:18], v110, off
	;; [unrolled: 2-line block ×41, first 2 shown]
.LBB49_970:
	s_endpgm
	.section	.rodata,"a",@progbits
	.p2align	6, 0x0
	.amdhsa_kernel _ZN9rocsolver6v33100L18trti2_kernel_smallILi50EfPfEEv13rocblas_fill_17rocblas_diagonal_T1_iil
		.amdhsa_group_segment_fixed_size 408
		.amdhsa_private_segment_fixed_size 208
		.amdhsa_kernarg_size 32
		.amdhsa_user_sgpr_count 6
		.amdhsa_user_sgpr_private_segment_buffer 1
		.amdhsa_user_sgpr_dispatch_ptr 0
		.amdhsa_user_sgpr_queue_ptr 0
		.amdhsa_user_sgpr_kernarg_segment_ptr 1
		.amdhsa_user_sgpr_dispatch_id 0
		.amdhsa_user_sgpr_flat_scratch_init 0
		.amdhsa_user_sgpr_private_segment_size 0
		.amdhsa_uses_dynamic_stack 0
		.amdhsa_system_sgpr_private_segment_wavefront_offset 1
		.amdhsa_system_sgpr_workgroup_id_x 1
		.amdhsa_system_sgpr_workgroup_id_y 0
		.amdhsa_system_sgpr_workgroup_id_z 0
		.amdhsa_system_sgpr_workgroup_info 0
		.amdhsa_system_vgpr_workitem_id 0
		.amdhsa_next_free_vgpr 124
		.amdhsa_next_free_sgpr 63
		.amdhsa_reserve_vcc 1
		.amdhsa_reserve_flat_scratch 0
		.amdhsa_float_round_mode_32 0
		.amdhsa_float_round_mode_16_64 0
		.amdhsa_float_denorm_mode_32 3
		.amdhsa_float_denorm_mode_16_64 3
		.amdhsa_dx10_clamp 1
		.amdhsa_ieee_mode 1
		.amdhsa_fp16_overflow 0
		.amdhsa_exception_fp_ieee_invalid_op 0
		.amdhsa_exception_fp_denorm_src 0
		.amdhsa_exception_fp_ieee_div_zero 0
		.amdhsa_exception_fp_ieee_overflow 0
		.amdhsa_exception_fp_ieee_underflow 0
		.amdhsa_exception_fp_ieee_inexact 0
		.amdhsa_exception_int_div_zero 0
	.end_amdhsa_kernel
	.section	.text._ZN9rocsolver6v33100L18trti2_kernel_smallILi50EfPfEEv13rocblas_fill_17rocblas_diagonal_T1_iil,"axG",@progbits,_ZN9rocsolver6v33100L18trti2_kernel_smallILi50EfPfEEv13rocblas_fill_17rocblas_diagonal_T1_iil,comdat
.Lfunc_end49:
	.size	_ZN9rocsolver6v33100L18trti2_kernel_smallILi50EfPfEEv13rocblas_fill_17rocblas_diagonal_T1_iil, .Lfunc_end49-_ZN9rocsolver6v33100L18trti2_kernel_smallILi50EfPfEEv13rocblas_fill_17rocblas_diagonal_T1_iil
                                        ; -- End function
	.set _ZN9rocsolver6v33100L18trti2_kernel_smallILi50EfPfEEv13rocblas_fill_17rocblas_diagonal_T1_iil.num_vgpr, 124
	.set _ZN9rocsolver6v33100L18trti2_kernel_smallILi50EfPfEEv13rocblas_fill_17rocblas_diagonal_T1_iil.num_agpr, 0
	.set _ZN9rocsolver6v33100L18trti2_kernel_smallILi50EfPfEEv13rocblas_fill_17rocblas_diagonal_T1_iil.numbered_sgpr, 63
	.set _ZN9rocsolver6v33100L18trti2_kernel_smallILi50EfPfEEv13rocblas_fill_17rocblas_diagonal_T1_iil.num_named_barrier, 0
	.set _ZN9rocsolver6v33100L18trti2_kernel_smallILi50EfPfEEv13rocblas_fill_17rocblas_diagonal_T1_iil.private_seg_size, 208
	.set _ZN9rocsolver6v33100L18trti2_kernel_smallILi50EfPfEEv13rocblas_fill_17rocblas_diagonal_T1_iil.uses_vcc, 1
	.set _ZN9rocsolver6v33100L18trti2_kernel_smallILi50EfPfEEv13rocblas_fill_17rocblas_diagonal_T1_iil.uses_flat_scratch, 0
	.set _ZN9rocsolver6v33100L18trti2_kernel_smallILi50EfPfEEv13rocblas_fill_17rocblas_diagonal_T1_iil.has_dyn_sized_stack, 0
	.set _ZN9rocsolver6v33100L18trti2_kernel_smallILi50EfPfEEv13rocblas_fill_17rocblas_diagonal_T1_iil.has_recursion, 0
	.set _ZN9rocsolver6v33100L18trti2_kernel_smallILi50EfPfEEv13rocblas_fill_17rocblas_diagonal_T1_iil.has_indirect_call, 0
	.section	.AMDGPU.csdata,"",@progbits
; Kernel info:
; codeLenInByte = 24320
; TotalNumSgprs: 67
; NumVgprs: 124
; ScratchSize: 208
; MemoryBound: 0
; FloatMode: 240
; IeeeMode: 1
; LDSByteSize: 408 bytes/workgroup (compile time only)
; SGPRBlocks: 8
; VGPRBlocks: 30
; NumSGPRsForWavesPerEU: 67
; NumVGPRsForWavesPerEU: 124
; Occupancy: 2
; WaveLimiterHint : 0
; COMPUTE_PGM_RSRC2:SCRATCH_EN: 1
; COMPUTE_PGM_RSRC2:USER_SGPR: 6
; COMPUTE_PGM_RSRC2:TRAP_HANDLER: 0
; COMPUTE_PGM_RSRC2:TGID_X_EN: 1
; COMPUTE_PGM_RSRC2:TGID_Y_EN: 0
; COMPUTE_PGM_RSRC2:TGID_Z_EN: 0
; COMPUTE_PGM_RSRC2:TIDIG_COMP_CNT: 0
	.section	.text._ZN9rocsolver6v33100L18trti2_kernel_smallILi51EfPfEEv13rocblas_fill_17rocblas_diagonal_T1_iil,"axG",@progbits,_ZN9rocsolver6v33100L18trti2_kernel_smallILi51EfPfEEv13rocblas_fill_17rocblas_diagonal_T1_iil,comdat
	.globl	_ZN9rocsolver6v33100L18trti2_kernel_smallILi51EfPfEEv13rocblas_fill_17rocblas_diagonal_T1_iil ; -- Begin function _ZN9rocsolver6v33100L18trti2_kernel_smallILi51EfPfEEv13rocblas_fill_17rocblas_diagonal_T1_iil
	.p2align	8
	.type	_ZN9rocsolver6v33100L18trti2_kernel_smallILi51EfPfEEv13rocblas_fill_17rocblas_diagonal_T1_iil,@function
_ZN9rocsolver6v33100L18trti2_kernel_smallILi51EfPfEEv13rocblas_fill_17rocblas_diagonal_T1_iil: ; @_ZN9rocsolver6v33100L18trti2_kernel_smallILi51EfPfEEv13rocblas_fill_17rocblas_diagonal_T1_iil
; %bb.0:
	s_add_u32 s0, s0, s7
	s_addc_u32 s1, s1, 0
	v_cmp_gt_u32_e32 vcc, 51, v0
	s_and_saveexec_b64 s[8:9], vcc
	s_cbranch_execz .LBB50_990
; %bb.1:
	s_load_dwordx8 s[8:15], s[4:5], 0x0
	s_ashr_i32 s7, s6, 31
	v_lshlrev_b32_e32 v103, 2, v0
	s_waitcnt lgkmcnt(0)
	s_ashr_i32 s5, s12, 31
	s_mov_b32 s4, s12
	s_mul_hi_u32 s12, s14, s6
	s_mul_i32 s7, s14, s7
	s_add_i32 s7, s12, s7
	s_mul_i32 s12, s15, s6
	s_add_i32 s7, s7, s12
	s_mul_i32 s6, s14, s6
	s_lshl_b64 s[6:7], s[6:7], 2
	s_add_u32 s6, s10, s6
	s_addc_u32 s7, s11, s7
	s_lshl_b64 s[4:5], s[4:5], 2
	s_add_u32 s4, s6, s4
	s_addc_u32 s5, s7, s5
	s_add_i32 s6, s13, s13
	v_add_u32_e32 v3, s6, v0
	v_ashrrev_i32_e32 v4, 31, v3
	v_lshlrev_b64 v[1:2], 2, v[3:4]
	v_mov_b32_e32 v4, s5
	v_add_co_u32_e32 v1, vcc, s4, v1
	v_add_u32_e32 v3, s13, v3
	v_addc_co_u32_e32 v2, vcc, v4, v2, vcc
	v_ashrrev_i32_e32 v4, 31, v3
	v_lshlrev_b64 v[5:6], 2, v[3:4]
	v_add_u32_e32 v7, s13, v3
	v_mov_b32_e32 v4, s5
	v_add_co_u32_e32 v5, vcc, s4, v5
	v_ashrrev_i32_e32 v8, 31, v7
	v_addc_co_u32_e32 v6, vcc, v4, v6, vcc
	v_lshlrev_b64 v[3:4], 2, v[7:8]
	v_mov_b32_e32 v8, s5
	v_add_co_u32_e32 v3, vcc, s4, v3
	v_add_u32_e32 v7, s13, v7
	v_addc_co_u32_e32 v4, vcc, v8, v4, vcc
	v_ashrrev_i32_e32 v8, 31, v7
	v_lshlrev_b64 v[9:10], 2, v[7:8]
	v_add_u32_e32 v11, s13, v7
	v_mov_b32_e32 v8, s5
	v_add_co_u32_e32 v9, vcc, s4, v9
	v_ashrrev_i32_e32 v12, 31, v11
	v_addc_co_u32_e32 v10, vcc, v8, v10, vcc
	v_lshlrev_b64 v[7:8], 2, v[11:12]
	v_add_u32_e32 v13, s13, v11
	v_mov_b32_e32 v12, s5
	v_add_co_u32_e32 v7, vcc, s4, v7
	v_ashrrev_i32_e32 v14, 31, v13
	v_addc_co_u32_e32 v8, vcc, v12, v8, vcc
	v_lshlrev_b64 v[11:12], 2, v[13:14]
	v_mov_b32_e32 v14, s5
	v_add_co_u32_e32 v11, vcc, s4, v11
	v_add_u32_e32 v13, s13, v13
	v_addc_co_u32_e32 v12, vcc, v14, v12, vcc
	v_ashrrev_i32_e32 v14, 31, v13
	v_lshlrev_b64 v[15:16], 2, v[13:14]
	v_add_u32_e32 v17, s13, v13
	v_mov_b32_e32 v14, s5
	v_add_co_u32_e32 v15, vcc, s4, v15
	v_ashrrev_i32_e32 v18, 31, v17
	v_addc_co_u32_e32 v16, vcc, v14, v16, vcc
	v_lshlrev_b64 v[13:14], 2, v[17:18]
	v_add_u32_e32 v19, s13, v17
	v_mov_b32_e32 v18, s5
	v_add_co_u32_e32 v13, vcc, s4, v13
	v_ashrrev_i32_e32 v20, 31, v19
	v_addc_co_u32_e32 v14, vcc, v18, v14, vcc
	v_lshlrev_b64 v[17:18], 2, v[19:20]
	v_mov_b32_e32 v21, s5
	v_add_co_u32_e32 v17, vcc, s4, v17
	v_addc_co_u32_e32 v18, vcc, v21, v18, vcc
	v_add_u32_e32 v21, s13, v19
	v_ashrrev_i32_e32 v22, 31, v21
	v_lshlrev_b64 v[19:20], 2, v[21:22]
	v_mov_b32_e32 v23, s5
	v_add_co_u32_e32 v19, vcc, s4, v19
	v_addc_co_u32_e32 v20, vcc, v23, v20, vcc
	v_add_u32_e32 v23, s13, v21
	v_ashrrev_i32_e32 v24, 31, v23
	;; [unrolled: 6-line block ×32, first 2 shown]
	v_lshlrev_b64 v[81:82], 2, v[83:84]
	v_mov_b32_e32 v84, s5
	v_add_co_u32_e32 v101, vcc, s4, v103
	s_ashr_i32 s7, s13, 31
	s_mov_b32 s6, s13
	v_addc_co_u32_e32 v102, vcc, 0, v84, vcc
	s_lshl_b64 s[6:7], s[6:7], 2
	v_mov_b32_e32 v84, s7
	v_add_co_u32_e32 v99, vcc, s6, v101
	v_addc_co_u32_e32 v100, vcc, v102, v84, vcc
	global_load_dword v104, v103, s[4:5]
	global_load_dword v105, v[99:100], off
	global_load_dword v106, v[1:2], off
	;; [unrolled: 1-line block ×11, first 2 shown]
	v_mov_b32_e32 v85, s5
	v_add_co_u32_e32 v81, vcc, s4, v81
	v_addc_co_u32_e32 v82, vcc, v85, v82, vcc
	v_add_u32_e32 v85, s13, v83
	v_ashrrev_i32_e32 v86, 31, v85
	v_lshlrev_b64 v[83:84], 2, v[85:86]
	v_mov_b32_e32 v87, s5
	v_add_co_u32_e32 v83, vcc, s4, v83
	v_addc_co_u32_e32 v84, vcc, v87, v84, vcc
	v_add_u32_e32 v87, s13, v85
	v_ashrrev_i32_e32 v88, 31, v87
	v_lshlrev_b64 v[85:86], 2, v[87:88]
	;; [unrolled: 6-line block ×7, first 2 shown]
	v_add_u32_e32 v97, s13, v97
	v_ashrrev_i32_e32 v98, 31, v97
	v_mov_b32_e32 v116, s5
	v_add_co_u32_e32 v95, vcc, s4, v95
	v_lshlrev_b64 v[97:98], 2, v[97:98]
	v_addc_co_u32_e32 v96, vcc, v116, v96, vcc
	v_add_co_u32_e32 v97, vcc, s4, v97
	v_addc_co_u32_e32 v98, vcc, v116, v98, vcc
	global_load_dword v116, v[97:98], off
	s_waitcnt vmcnt(12)
	buffer_store_dword v104, off, s[0:3], 0
	s_waitcnt vmcnt(12)
	buffer_store_dword v105, off, s[0:3], 0 offset:4
	s_waitcnt vmcnt(12)
	buffer_store_dword v106, off, s[0:3], 0 offset:8
	;; [unrolled: 2-line block ×8, first 2 shown]
	global_load_dword v104, v[21:22], off
	global_load_dword v105, v[23:24], off
	;; [unrolled: 1-line block ×5, first 2 shown]
	s_cmpk_lg_i32 s9, 0x84
	s_waitcnt vmcnt(17)
	buffer_store_dword v113, off, s[0:3], 0 offset:36
	global_load_dword v109, v[31:32], off
	global_load_dword v110, v[33:34], off
	;; [unrolled: 1-line block ×4, first 2 shown]
	s_nop 0
	global_load_dword v113, v[39:40], off
	global_load_dword v117, v[41:42], off
	;; [unrolled: 1-line block ×4, first 2 shown]
	s_waitcnt vmcnt(25)
	buffer_store_dword v114, off, s[0:3], 0 offset:40
	s_waitcnt vmcnt(25)
	buffer_store_dword v115, off, s[0:3], 0 offset:44
	global_load_dword v114, v[47:48], off
	s_nop 0
	global_load_dword v115, v[49:50], off
	global_load_dword v120, v[51:52], off
	;; [unrolled: 1-line block ×5, first 2 shown]
	s_waitcnt vmcnt(21)
	buffer_store_dword v104, off, s[0:3], 0 offset:48
	s_waitcnt vmcnt(21)
	buffer_store_dword v105, off, s[0:3], 0 offset:52
	;; [unrolled: 2-line block ×13, first 2 shown]
	global_load_dword v104, v[59:60], off
	global_load_dword v105, v[61:62], off
	s_waitcnt vmcnt(20)
	buffer_store_dword v114, off, s[0:3], 0 offset:100
	s_waitcnt vmcnt(20)
	buffer_store_dword v115, off, s[0:3], 0 offset:104
	;; [unrolled: 2-line block ×6, first 2 shown]
	global_load_dword v106, v[63:64], off
	global_load_dword v107, v[65:66], off
	;; [unrolled: 1-line block ×17, first 2 shown]
	s_waitcnt vmcnt(24)
	buffer_store_dword v104, off, s[0:3], 0 offset:124
	s_waitcnt vmcnt(24)
	buffer_store_dword v105, off, s[0:3], 0 offset:128
	;; [unrolled: 2-line block ×19, first 2 shown]
	buffer_store_dword v116, off, s[0:3], 0 offset:200
	s_movk_i32 s12, 0x84
	s_cselect_b64 s[10:11], -1, 0
	s_cmpk_eq_i32 s9, 0x84
	v_mov_b32_e32 v104, -1.0
	s_cbranch_scc1 .LBB50_3
; %bb.2:
	v_mov_b32_e32 v104, 0
	v_lshl_add_u32 v104, v0, 2, v104
	buffer_load_dword v105, v104, s[0:3], 0 offen
	s_waitcnt vmcnt(0)
	v_div_scale_f32 v106, s[4:5], v105, v105, 1.0
	v_div_scale_f32 v107, vcc, 1.0, v105, 1.0
	v_rcp_f32_e32 v108, v106
	v_fma_f32 v109, -v106, v108, 1.0
	v_fmac_f32_e32 v108, v109, v108
	v_mul_f32_e32 v109, v107, v108
	v_fma_f32 v110, -v106, v109, v107
	v_fmac_f32_e32 v109, v110, v108
	v_fma_f32 v106, -v106, v109, v107
	v_div_fmas_f32 v106, v106, v108, v109
	v_div_fixup_f32 v105, v106, v105, 1.0
	buffer_store_dword v105, v104, s[0:3], 0 offen
	v_xor_b32_e32 v104, 0x80000000, v105
.LBB50_3:
	ds_write_b32 v103, v104
	s_cmpk_eq_i32 s8, 0x79
	v_add_u32_e32 v104, 0xd0, v103
	v_mov_b32_e32 v105, v103
	s_mov_b64 s[4:5], -1
	s_cbranch_scc1 .LBB50_497
; %bb.4:
	buffer_load_dword v106, off, s[0:3], 0 offset:196
	s_movk_i32 s30, 0x44
	s_movk_i32 s31, 0x48
	;; [unrolled: 1-line block ×31, first 2 shown]
	v_cmp_eq_u32_e64 s[4:5], 50, v0
	s_waitcnt vmcnt(0)
	ds_write_b32 v104, v106
	s_waitcnt lgkmcnt(0)
	; wave barrier
	s_and_saveexec_b64 s[6:7], s[4:5]
	s_cbranch_execz .LBB50_10
; %bb.5:
	s_and_b64 vcc, exec, s[10:11]
	s_cbranch_vccz .LBB50_7
; %bb.6:
	buffer_load_dword v106, v105, s[0:3], 0 offen
	ds_read_b32 v107, v104
	s_waitcnt vmcnt(0) lgkmcnt(0)
	v_mul_f32_e32 v106, v106, v107
	s_cbranch_execz .LBB50_8
	s_branch .LBB50_9
.LBB50_7:
                                        ; implicit-def: $vgpr106
.LBB50_8:
	ds_read_b32 v106, v104
.LBB50_9:
	v_mov_b32_e32 v107, 0
	ds_read_b32 v107, v107 offset:196
	s_waitcnt lgkmcnt(0)
	v_mul_f32_e32 v106, v106, v107
	buffer_store_dword v106, off, s[0:3], 0 offset:196
.LBB50_10:
	s_or_b64 exec, exec, s[6:7]
	buffer_load_dword v106, off, s[0:3], 0 offset:192
	s_or_b32 s14, 0, 4
	s_or_b32 s15, 0, 8
	;; [unrolled: 1-line block ×3, first 2 shown]
	s_mov_b32 s17, 16
	s_mov_b32 s18, 20
	;; [unrolled: 1-line block ×15, first 2 shown]
	v_cmp_lt_u32_e64 s[6:7], 48, v0
	s_waitcnt vmcnt(0)
	ds_write_b32 v104, v106
	s_waitcnt lgkmcnt(0)
	; wave barrier
	s_and_saveexec_b64 s[8:9], s[6:7]
	s_cbranch_execz .LBB50_16
; %bb.11:
	s_andn2_b64 vcc, exec, s[10:11]
	s_cbranch_vccnz .LBB50_13
; %bb.12:
	buffer_load_dword v106, v105, s[0:3], 0 offen
	ds_read_b32 v107, v104
	s_waitcnt vmcnt(0) lgkmcnt(0)
	v_mul_f32_e32 v106, v106, v107
	s_cbranch_execz .LBB50_14
	s_branch .LBB50_15
.LBB50_13:
                                        ; implicit-def: $vgpr106
.LBB50_14:
	ds_read_b32 v106, v104
.LBB50_15:
	buffer_load_dword v109, off, s[0:3], 0 offset:196
	v_mov_b32_e32 v107, 0
	ds_read2_b32 v[107:108], v107 offset0:48 offset1:101
	s_waitcnt vmcnt(0) lgkmcnt(0)
	v_fma_f32 v108, v109, v108, v106
	v_cndmask_b32_e64 v106, v106, v108, s[4:5]
	v_mul_f32_e32 v106, v106, v107
	buffer_store_dword v106, off, s[0:3], 0 offset:192
.LBB50_16:
	s_or_b64 exec, exec, s[8:9]
	buffer_load_dword v106, off, s[0:3], 0 offset:188
	v_cmp_lt_u32_e64 s[4:5], 47, v0
	s_waitcnt vmcnt(0)
	ds_write_b32 v104, v106
	s_waitcnt lgkmcnt(0)
	; wave barrier
	s_and_saveexec_b64 s[8:9], s[4:5]
	s_cbranch_execz .LBB50_26
; %bb.17:
	s_andn2_b64 vcc, exec, s[10:11]
	s_cbranch_vccnz .LBB50_19
; %bb.18:
	buffer_load_dword v106, v105, s[0:3], 0 offen
	ds_read_b32 v107, v104
	s_waitcnt vmcnt(0) lgkmcnt(0)
	v_mul_f32_e32 v106, v106, v107
	s_cbranch_execz .LBB50_20
	s_branch .LBB50_21
.LBB50_19:
                                        ; implicit-def: $vgpr106
.LBB50_20:
	ds_read_b32 v106, v104
.LBB50_21:
	s_and_saveexec_b64 s[12:13], s[6:7]
	s_cbranch_execz .LBB50_25
; %bb.22:
	v_subrev_u32_e32 v107, 48, v0
	s_movk_i32 s63, 0x190
	s_mov_b64 s[6:7], 0
.LBB50_23:                              ; =>This Inner Loop Header: Depth=1
	v_mov_b32_e32 v108, s62
	buffer_load_dword v108, v108, s[0:3], 0 offen
	v_mov_b32_e32 v109, s63
	ds_read_b32 v109, v109
	v_add_u32_e32 v107, -1, v107
	s_add_i32 s63, s63, 4
	s_add_i32 s62, s62, 4
	v_cmp_eq_u32_e32 vcc, 0, v107
	s_or_b64 s[6:7], vcc, s[6:7]
	s_waitcnt vmcnt(0) lgkmcnt(0)
	v_fmac_f32_e32 v106, v108, v109
	s_andn2_b64 exec, exec, s[6:7]
	s_cbranch_execnz .LBB50_23
; %bb.24:
	s_or_b64 exec, exec, s[6:7]
.LBB50_25:
	s_or_b64 exec, exec, s[12:13]
	v_mov_b32_e32 v107, 0
	ds_read_b32 v107, v107 offset:188
	s_waitcnt lgkmcnt(0)
	v_mul_f32_e32 v106, v106, v107
	buffer_store_dword v106, off, s[0:3], 0 offset:188
.LBB50_26:
	s_or_b64 exec, exec, s[8:9]
	buffer_load_dword v106, off, s[0:3], 0 offset:184
	v_cmp_lt_u32_e64 s[6:7], 46, v0
	s_waitcnt vmcnt(0)
	ds_write_b32 v104, v106
	s_waitcnt lgkmcnt(0)
	; wave barrier
	s_and_saveexec_b64 s[8:9], s[6:7]
	s_cbranch_execz .LBB50_36
; %bb.27:
	s_andn2_b64 vcc, exec, s[10:11]
	s_cbranch_vccnz .LBB50_29
; %bb.28:
	buffer_load_dword v106, v105, s[0:3], 0 offen
	ds_read_b32 v107, v104
	s_waitcnt vmcnt(0) lgkmcnt(0)
	v_mul_f32_e32 v106, v106, v107
	s_cbranch_execz .LBB50_30
	s_branch .LBB50_31
.LBB50_29:
                                        ; implicit-def: $vgpr106
.LBB50_30:
	ds_read_b32 v106, v104
.LBB50_31:
	s_and_saveexec_b64 s[12:13], s[4:5]
	s_cbranch_execz .LBB50_35
; %bb.32:
	v_subrev_u32_e32 v107, 47, v0
	s_movk_i32 s62, 0x18c
	s_mov_b64 s[4:5], 0
.LBB50_33:                              ; =>This Inner Loop Header: Depth=1
	v_mov_b32_e32 v108, s61
	buffer_load_dword v108, v108, s[0:3], 0 offen
	v_mov_b32_e32 v109, s62
	ds_read_b32 v109, v109
	v_add_u32_e32 v107, -1, v107
	s_add_i32 s62, s62, 4
	s_add_i32 s61, s61, 4
	v_cmp_eq_u32_e32 vcc, 0, v107
	s_or_b64 s[4:5], vcc, s[4:5]
	s_waitcnt vmcnt(0) lgkmcnt(0)
	v_fmac_f32_e32 v106, v108, v109
	s_andn2_b64 exec, exec, s[4:5]
	s_cbranch_execnz .LBB50_33
; %bb.34:
	s_or_b64 exec, exec, s[4:5]
.LBB50_35:
	s_or_b64 exec, exec, s[12:13]
	v_mov_b32_e32 v107, 0
	ds_read_b32 v107, v107 offset:184
	s_waitcnt lgkmcnt(0)
	v_mul_f32_e32 v106, v106, v107
	buffer_store_dword v106, off, s[0:3], 0 offset:184
.LBB50_36:
	;; [unrolled: 54-line block ×8, first 2 shown]
	s_or_b64 exec, exec, s[8:9]
	buffer_load_dword v106, off, s[0:3], 0 offset:156
	v_cmp_lt_u32_e64 s[4:5], 39, v0
	s_waitcnt vmcnt(0)
	ds_write_b32 v104, v106
	s_waitcnt lgkmcnt(0)
	; wave barrier
	s_and_saveexec_b64 s[8:9], s[4:5]
	s_cbranch_execz .LBB50_106
; %bb.97:
	s_andn2_b64 vcc, exec, s[10:11]
	s_cbranch_vccnz .LBB50_99
; %bb.98:
	buffer_load_dword v106, v105, s[0:3], 0 offen
	ds_read_b32 v107, v104
	s_waitcnt vmcnt(0) lgkmcnt(0)
	v_mul_f32_e32 v106, v106, v107
	s_cbranch_execz .LBB50_100
	s_branch .LBB50_101
.LBB50_99:
                                        ; implicit-def: $vgpr106
.LBB50_100:
	ds_read_b32 v106, v104
.LBB50_101:
	s_and_saveexec_b64 s[12:13], s[6:7]
	s_cbranch_execz .LBB50_105
; %bb.102:
	v_subrev_u32_e32 v107, 40, v0
	s_movk_i32 s55, 0x170
	s_mov_b64 s[6:7], 0
.LBB50_103:                             ; =>This Inner Loop Header: Depth=1
	v_mov_b32_e32 v108, s54
	buffer_load_dword v108, v108, s[0:3], 0 offen
	v_mov_b32_e32 v109, s55
	ds_read_b32 v109, v109
	v_add_u32_e32 v107, -1, v107
	s_add_i32 s55, s55, 4
	s_add_i32 s54, s54, 4
	v_cmp_eq_u32_e32 vcc, 0, v107
	s_or_b64 s[6:7], vcc, s[6:7]
	s_waitcnt vmcnt(0) lgkmcnt(0)
	v_fmac_f32_e32 v106, v108, v109
	s_andn2_b64 exec, exec, s[6:7]
	s_cbranch_execnz .LBB50_103
; %bb.104:
	s_or_b64 exec, exec, s[6:7]
.LBB50_105:
	s_or_b64 exec, exec, s[12:13]
	v_mov_b32_e32 v107, 0
	ds_read_b32 v107, v107 offset:156
	s_waitcnt lgkmcnt(0)
	v_mul_f32_e32 v106, v106, v107
	buffer_store_dword v106, off, s[0:3], 0 offset:156
.LBB50_106:
	s_or_b64 exec, exec, s[8:9]
	buffer_load_dword v106, off, s[0:3], 0 offset:152
	v_cmp_lt_u32_e64 s[6:7], 38, v0
	s_waitcnt vmcnt(0)
	ds_write_b32 v104, v106
	s_waitcnt lgkmcnt(0)
	; wave barrier
	s_and_saveexec_b64 s[8:9], s[6:7]
	s_cbranch_execz .LBB50_116
; %bb.107:
	s_andn2_b64 vcc, exec, s[10:11]
	s_cbranch_vccnz .LBB50_109
; %bb.108:
	buffer_load_dword v106, v105, s[0:3], 0 offen
	ds_read_b32 v107, v104
	s_waitcnt vmcnt(0) lgkmcnt(0)
	v_mul_f32_e32 v106, v106, v107
	s_cbranch_execz .LBB50_110
	s_branch .LBB50_111
.LBB50_109:
                                        ; implicit-def: $vgpr106
.LBB50_110:
	ds_read_b32 v106, v104
.LBB50_111:
	s_and_saveexec_b64 s[12:13], s[4:5]
	s_cbranch_execz .LBB50_115
; %bb.112:
	v_subrev_u32_e32 v107, 39, v0
	s_movk_i32 s54, 0x16c
	s_mov_b64 s[4:5], 0
.LBB50_113:                             ; =>This Inner Loop Header: Depth=1
	v_mov_b32_e32 v108, s53
	buffer_load_dword v108, v108, s[0:3], 0 offen
	v_mov_b32_e32 v109, s54
	ds_read_b32 v109, v109
	v_add_u32_e32 v107, -1, v107
	s_add_i32 s54, s54, 4
	s_add_i32 s53, s53, 4
	v_cmp_eq_u32_e32 vcc, 0, v107
	s_or_b64 s[4:5], vcc, s[4:5]
	s_waitcnt vmcnt(0) lgkmcnt(0)
	v_fmac_f32_e32 v106, v108, v109
	s_andn2_b64 exec, exec, s[4:5]
	s_cbranch_execnz .LBB50_113
; %bb.114:
	s_or_b64 exec, exec, s[4:5]
.LBB50_115:
	s_or_b64 exec, exec, s[12:13]
	v_mov_b32_e32 v107, 0
	ds_read_b32 v107, v107 offset:152
	s_waitcnt lgkmcnt(0)
	v_mul_f32_e32 v106, v106, v107
	buffer_store_dword v106, off, s[0:3], 0 offset:152
.LBB50_116:
	;; [unrolled: 54-line block ×24, first 2 shown]
	s_or_b64 exec, exec, s[8:9]
	buffer_load_dword v106, off, s[0:3], 0 offset:60
	v_cmp_lt_u32_e64 s[4:5], 15, v0
	s_waitcnt vmcnt(0)
	ds_write_b32 v104, v106
	s_waitcnt lgkmcnt(0)
	; wave barrier
	s_and_saveexec_b64 s[8:9], s[4:5]
	s_cbranch_execz .LBB50_346
; %bb.337:
	s_andn2_b64 vcc, exec, s[10:11]
	s_cbranch_vccnz .LBB50_339
; %bb.338:
	buffer_load_dword v106, v105, s[0:3], 0 offen
	ds_read_b32 v107, v104
	s_waitcnt vmcnt(0) lgkmcnt(0)
	v_mul_f32_e32 v106, v106, v107
	s_cbranch_execz .LBB50_340
	s_branch .LBB50_341
.LBB50_339:
                                        ; implicit-def: $vgpr106
.LBB50_340:
	ds_read_b32 v106, v104
.LBB50_341:
	s_and_saveexec_b64 s[12:13], s[6:7]
	s_cbranch_execz .LBB50_345
; %bb.342:
	v_add_u32_e32 v107, -16, v0
	s_movk_i32 s30, 0x110
	s_mov_b64 s[6:7], 0
.LBB50_343:                             ; =>This Inner Loop Header: Depth=1
	v_mov_b32_e32 v108, s29
	buffer_load_dword v108, v108, s[0:3], 0 offen
	v_mov_b32_e32 v109, s30
	ds_read_b32 v109, v109
	v_add_u32_e32 v107, -1, v107
	s_add_i32 s30, s30, 4
	s_add_i32 s29, s29, 4
	v_cmp_eq_u32_e32 vcc, 0, v107
	s_or_b64 s[6:7], vcc, s[6:7]
	s_waitcnt vmcnt(0) lgkmcnt(0)
	v_fmac_f32_e32 v106, v108, v109
	s_andn2_b64 exec, exec, s[6:7]
	s_cbranch_execnz .LBB50_343
; %bb.344:
	s_or_b64 exec, exec, s[6:7]
.LBB50_345:
	s_or_b64 exec, exec, s[12:13]
	v_mov_b32_e32 v107, 0
	ds_read_b32 v107, v107 offset:60
	s_waitcnt lgkmcnt(0)
	v_mul_f32_e32 v106, v106, v107
	buffer_store_dword v106, off, s[0:3], 0 offset:60
.LBB50_346:
	s_or_b64 exec, exec, s[8:9]
	buffer_load_dword v106, off, s[0:3], 0 offset:56
	v_cmp_lt_u32_e64 s[6:7], 14, v0
	s_waitcnt vmcnt(0)
	ds_write_b32 v104, v106
	s_waitcnt lgkmcnt(0)
	; wave barrier
	s_and_saveexec_b64 s[8:9], s[6:7]
	s_cbranch_execz .LBB50_356
; %bb.347:
	s_andn2_b64 vcc, exec, s[10:11]
	s_cbranch_vccnz .LBB50_349
; %bb.348:
	buffer_load_dword v106, v105, s[0:3], 0 offen
	ds_read_b32 v107, v104
	s_waitcnt vmcnt(0) lgkmcnt(0)
	v_mul_f32_e32 v106, v106, v107
	s_cbranch_execz .LBB50_350
	s_branch .LBB50_351
.LBB50_349:
                                        ; implicit-def: $vgpr106
.LBB50_350:
	ds_read_b32 v106, v104
.LBB50_351:
	s_and_saveexec_b64 s[12:13], s[4:5]
	s_cbranch_execz .LBB50_355
; %bb.352:
	v_add_u32_e32 v107, -15, v0
	s_movk_i32 s29, 0x10c
	s_mov_b64 s[4:5], 0
.LBB50_353:                             ; =>This Inner Loop Header: Depth=1
	v_mov_b32_e32 v108, s28
	buffer_load_dword v108, v108, s[0:3], 0 offen
	v_mov_b32_e32 v109, s29
	ds_read_b32 v109, v109
	v_add_u32_e32 v107, -1, v107
	s_add_i32 s29, s29, 4
	s_add_i32 s28, s28, 4
	v_cmp_eq_u32_e32 vcc, 0, v107
	s_or_b64 s[4:5], vcc, s[4:5]
	s_waitcnt vmcnt(0) lgkmcnt(0)
	v_fmac_f32_e32 v106, v108, v109
	s_andn2_b64 exec, exec, s[4:5]
	s_cbranch_execnz .LBB50_353
; %bb.354:
	s_or_b64 exec, exec, s[4:5]
.LBB50_355:
	s_or_b64 exec, exec, s[12:13]
	v_mov_b32_e32 v107, 0
	ds_read_b32 v107, v107 offset:56
	s_waitcnt lgkmcnt(0)
	v_mul_f32_e32 v106, v106, v107
	buffer_store_dword v106, off, s[0:3], 0 offset:56
.LBB50_356:
	;; [unrolled: 54-line block ×15, first 2 shown]
	s_or_b64 exec, exec, s[8:9]
	buffer_load_dword v106, off, s[0:3], 0
	v_cmp_ne_u32_e32 vcc, 0, v0
	s_waitcnt vmcnt(0)
	ds_write_b32 v104, v106
	s_waitcnt lgkmcnt(0)
	; wave barrier
	s_and_saveexec_b64 s[6:7], vcc
	s_cbranch_execz .LBB50_496
; %bb.487:
	s_andn2_b64 vcc, exec, s[10:11]
	s_cbranch_vccnz .LBB50_489
; %bb.488:
	buffer_load_dword v106, v105, s[0:3], 0 offen
	ds_read_b32 v107, v104
	s_waitcnt vmcnt(0) lgkmcnt(0)
	v_mul_f32_e32 v106, v106, v107
	s_cbranch_execz .LBB50_490
	s_branch .LBB50_491
.LBB50_489:
                                        ; implicit-def: $vgpr106
.LBB50_490:
	ds_read_b32 v106, v104
.LBB50_491:
	s_and_saveexec_b64 s[8:9], s[4:5]
	s_cbranch_execz .LBB50_495
; %bb.492:
	v_add_u32_e32 v107, -1, v0
	s_movk_i32 s12, 0xd4
	s_mov_b64 s[4:5], 0
.LBB50_493:                             ; =>This Inner Loop Header: Depth=1
	v_mov_b32_e32 v108, s14
	buffer_load_dword v108, v108, s[0:3], 0 offen
	v_mov_b32_e32 v109, s12
	ds_read_b32 v109, v109
	v_add_u32_e32 v107, -1, v107
	s_add_i32 s12, s12, 4
	s_add_i32 s14, s14, 4
	v_cmp_eq_u32_e32 vcc, 0, v107
	s_or_b64 s[4:5], vcc, s[4:5]
	s_waitcnt vmcnt(0) lgkmcnt(0)
	v_fmac_f32_e32 v106, v108, v109
	s_andn2_b64 exec, exec, s[4:5]
	s_cbranch_execnz .LBB50_493
; %bb.494:
	s_or_b64 exec, exec, s[4:5]
.LBB50_495:
	s_or_b64 exec, exec, s[8:9]
	v_mov_b32_e32 v107, 0
	ds_read_b32 v107, v107
	s_waitcnt lgkmcnt(0)
	v_mul_f32_e32 v106, v106, v107
	buffer_store_dword v106, off, s[0:3], 0
.LBB50_496:
	s_or_b64 exec, exec, s[6:7]
	s_mov_b64 s[4:5], 0
.LBB50_497:
	s_and_b64 vcc, exec, s[4:5]
	s_cbranch_vccz .LBB50_989
; %bb.498:
	buffer_load_dword v106, off, s[0:3], 0 offset:4
	v_cmp_eq_u32_e64 s[6:7], 0, v0
	s_waitcnt vmcnt(0)
	ds_write_b32 v104, v106
	s_waitcnt lgkmcnt(0)
	; wave barrier
	s_and_saveexec_b64 s[4:5], s[6:7]
	s_cbranch_execz .LBB50_504
; %bb.499:
	s_and_b64 vcc, exec, s[10:11]
	s_cbranch_vccz .LBB50_501
; %bb.500:
	buffer_load_dword v106, v105, s[0:3], 0 offen
	ds_read_b32 v107, v104
	s_waitcnt vmcnt(0) lgkmcnt(0)
	v_mul_f32_e32 v106, v106, v107
	s_cbranch_execz .LBB50_502
	s_branch .LBB50_503
.LBB50_501:
                                        ; implicit-def: $vgpr106
.LBB50_502:
	ds_read_b32 v106, v104
.LBB50_503:
	v_mov_b32_e32 v107, 0
	ds_read_b32 v107, v107 offset:4
	s_waitcnt lgkmcnt(0)
	v_mul_f32_e32 v106, v106, v107
	buffer_store_dword v106, off, s[0:3], 0 offset:4
.LBB50_504:
	s_or_b64 exec, exec, s[4:5]
	buffer_load_dword v106, off, s[0:3], 0 offset:8
	v_cndmask_b32_e64 v107, 0, 1, s[10:11]
	v_cmp_gt_u32_e32 vcc, 2, v0
	v_cmp_ne_u32_e64 s[4:5], 1, v107
	s_waitcnt vmcnt(0)
	ds_write_b32 v104, v106
	s_waitcnt lgkmcnt(0)
	; wave barrier
	s_and_saveexec_b64 s[8:9], vcc
	s_cbranch_execz .LBB50_510
; %bb.505:
	s_and_b64 vcc, exec, s[4:5]
	s_cbranch_vccnz .LBB50_507
; %bb.506:
	buffer_load_dword v106, v105, s[0:3], 0 offen
	ds_read_b32 v107, v104
	s_waitcnt vmcnt(0) lgkmcnt(0)
	v_mul_f32_e32 v106, v106, v107
	s_cbranch_execz .LBB50_508
	s_branch .LBB50_509
.LBB50_507:
                                        ; implicit-def: $vgpr106
.LBB50_508:
	ds_read_b32 v106, v104
.LBB50_509:
	buffer_load_dword v109, off, s[0:3], 0 offset:4
	v_mov_b32_e32 v107, 0
	ds_read2_b32 v[107:108], v107 offset0:2 offset1:53
	s_waitcnt vmcnt(0) lgkmcnt(0)
	v_fma_f32 v108, v109, v108, v106
	v_cndmask_b32_e64 v106, v106, v108, s[6:7]
	v_mul_f32_e32 v106, v106, v107
	buffer_store_dword v106, off, s[0:3], 0 offset:8
.LBB50_510:
	s_or_b64 exec, exec, s[8:9]
	buffer_load_dword v106, off, s[0:3], 0 offset:12
	v_cmp_gt_u32_e32 vcc, 3, v0
	s_waitcnt vmcnt(0)
	ds_write_b32 v104, v106
	s_waitcnt lgkmcnt(0)
	; wave barrier
	s_and_saveexec_b64 s[8:9], vcc
	s_cbranch_execz .LBB50_518
; %bb.511:
	s_and_b64 vcc, exec, s[4:5]
	s_cbranch_vccnz .LBB50_513
; %bb.512:
	buffer_load_dword v106, v105, s[0:3], 0 offen
	ds_read_b32 v107, v104
	s_waitcnt vmcnt(0) lgkmcnt(0)
	v_mul_f32_e32 v106, v106, v107
	s_cbranch_execz .LBB50_514
	s_branch .LBB50_515
.LBB50_513:
                                        ; implicit-def: $vgpr106
.LBB50_514:
	ds_read_b32 v106, v104
.LBB50_515:
	v_cmp_ne_u32_e32 vcc, 2, v0
	s_and_saveexec_b64 s[10:11], vcc
	s_cbranch_execz .LBB50_517
; %bb.516:
	buffer_load_dword v107, v105, s[0:3], 0 offen offset:4
	buffer_load_dword v108, off, s[0:3], 0 offset:8
	v_mov_b32_e32 v109, 0
	ds_read_b32 v110, v104 offset:4
	ds_read_b32 v109, v109 offset:216
	s_waitcnt vmcnt(1) lgkmcnt(1)
	v_fmac_f32_e32 v106, v107, v110
	s_waitcnt vmcnt(0) lgkmcnt(0)
	v_fma_f32 v107, v108, v109, v106
	v_cndmask_b32_e64 v106, v106, v107, s[6:7]
.LBB50_517:
	s_or_b64 exec, exec, s[10:11]
	v_mov_b32_e32 v107, 0
	ds_read_b32 v107, v107 offset:12
	s_waitcnt lgkmcnt(0)
	v_mul_f32_e32 v106, v106, v107
	buffer_store_dword v106, off, s[0:3], 0 offset:12
.LBB50_518:
	s_or_b64 exec, exec, s[8:9]
	buffer_load_dword v106, off, s[0:3], 0 offset:16
	v_cmp_gt_u32_e32 vcc, 4, v0
	s_waitcnt vmcnt(0)
	ds_write_b32 v104, v106
	s_waitcnt lgkmcnt(0)
	; wave barrier
	s_and_saveexec_b64 s[6:7], vcc
	s_cbranch_execz .LBB50_528
; %bb.519:
	s_and_b64 vcc, exec, s[4:5]
	s_cbranch_vccnz .LBB50_521
; %bb.520:
	buffer_load_dword v106, v105, s[0:3], 0 offen
	ds_read_b32 v107, v104
	s_waitcnt vmcnt(0) lgkmcnt(0)
	v_mul_f32_e32 v106, v106, v107
	s_cbranch_execz .LBB50_522
	s_branch .LBB50_523
.LBB50_521:
                                        ; implicit-def: $vgpr106
.LBB50_522:
	ds_read_b32 v106, v104
.LBB50_523:
	v_cmp_ne_u32_e32 vcc, 3, v0
	s_and_saveexec_b64 s[8:9], vcc
	s_cbranch_execz .LBB50_527
; %bb.524:
	s_mov_b32 s10, 0
	v_add_u32_e32 v107, 0xd4, v103
	v_add3_u32 v108, v103, s10, 4
	s_mov_b64 s[10:11], 0
	v_mov_b32_e32 v109, v0
.LBB50_525:                             ; =>This Inner Loop Header: Depth=1
	buffer_load_dword v110, v108, s[0:3], 0 offen
	ds_read_b32 v111, v107
	v_add_u32_e32 v109, 1, v109
	v_cmp_lt_u32_e32 vcc, 2, v109
	v_add_u32_e32 v107, 4, v107
	v_add_u32_e32 v108, 4, v108
	s_or_b64 s[10:11], vcc, s[10:11]
	s_waitcnt vmcnt(0) lgkmcnt(0)
	v_fmac_f32_e32 v106, v110, v111
	s_andn2_b64 exec, exec, s[10:11]
	s_cbranch_execnz .LBB50_525
; %bb.526:
	s_or_b64 exec, exec, s[10:11]
.LBB50_527:
	s_or_b64 exec, exec, s[8:9]
	v_mov_b32_e32 v107, 0
	ds_read_b32 v107, v107 offset:16
	s_waitcnt lgkmcnt(0)
	v_mul_f32_e32 v106, v106, v107
	buffer_store_dword v106, off, s[0:3], 0 offset:16
.LBB50_528:
	s_or_b64 exec, exec, s[6:7]
	buffer_load_dword v106, off, s[0:3], 0 offset:20
	v_cmp_gt_u32_e32 vcc, 5, v0
	s_waitcnt vmcnt(0)
	ds_write_b32 v104, v106
	s_waitcnt lgkmcnt(0)
	; wave barrier
	s_and_saveexec_b64 s[6:7], vcc
	s_cbranch_execz .LBB50_538
; %bb.529:
	s_and_b64 vcc, exec, s[4:5]
	s_cbranch_vccnz .LBB50_531
; %bb.530:
	buffer_load_dword v106, v105, s[0:3], 0 offen
	ds_read_b32 v107, v104
	s_waitcnt vmcnt(0) lgkmcnt(0)
	v_mul_f32_e32 v106, v106, v107
	s_cbranch_execz .LBB50_532
	s_branch .LBB50_533
.LBB50_531:
                                        ; implicit-def: $vgpr106
.LBB50_532:
	ds_read_b32 v106, v104
.LBB50_533:
	v_cmp_ne_u32_e32 vcc, 4, v0
	s_and_saveexec_b64 s[8:9], vcc
	s_cbranch_execz .LBB50_537
; %bb.534:
	s_mov_b32 s10, 0
	v_add_u32_e32 v107, 0xd4, v103
	v_add3_u32 v108, v103, s10, 4
	s_mov_b64 s[10:11], 0
	v_mov_b32_e32 v109, v0
.LBB50_535:                             ; =>This Inner Loop Header: Depth=1
	buffer_load_dword v110, v108, s[0:3], 0 offen
	ds_read_b32 v111, v107
	v_add_u32_e32 v109, 1, v109
	v_cmp_lt_u32_e32 vcc, 3, v109
	v_add_u32_e32 v107, 4, v107
	v_add_u32_e32 v108, 4, v108
	s_or_b64 s[10:11], vcc, s[10:11]
	s_waitcnt vmcnt(0) lgkmcnt(0)
	v_fmac_f32_e32 v106, v110, v111
	s_andn2_b64 exec, exec, s[10:11]
	s_cbranch_execnz .LBB50_535
; %bb.536:
	s_or_b64 exec, exec, s[10:11]
.LBB50_537:
	s_or_b64 exec, exec, s[8:9]
	v_mov_b32_e32 v107, 0
	ds_read_b32 v107, v107 offset:20
	s_waitcnt lgkmcnt(0)
	v_mul_f32_e32 v106, v106, v107
	buffer_store_dword v106, off, s[0:3], 0 offset:20
.LBB50_538:
	;; [unrolled: 55-line block ×45, first 2 shown]
	s_or_b64 exec, exec, s[6:7]
	buffer_load_dword v106, off, s[0:3], 0 offset:196
	v_cmp_gt_u32_e64 s[6:7], 49, v0
	s_waitcnt vmcnt(0)
	ds_write_b32 v104, v106
	s_waitcnt lgkmcnt(0)
	; wave barrier
	s_and_saveexec_b64 s[8:9], s[6:7]
	s_cbranch_execz .LBB50_978
; %bb.969:
	s_and_b64 vcc, exec, s[4:5]
	s_cbranch_vccnz .LBB50_971
; %bb.970:
	buffer_load_dword v106, v105, s[0:3], 0 offen
	ds_read_b32 v107, v104
	s_waitcnt vmcnt(0) lgkmcnt(0)
	v_mul_f32_e32 v106, v106, v107
	s_cbranch_execz .LBB50_972
	s_branch .LBB50_973
.LBB50_971:
                                        ; implicit-def: $vgpr106
.LBB50_972:
	ds_read_b32 v106, v104
.LBB50_973:
	v_cmp_ne_u32_e32 vcc, 48, v0
	s_and_saveexec_b64 s[10:11], vcc
	s_cbranch_execz .LBB50_977
; %bb.974:
	s_mov_b32 s12, 0
	v_add_u32_e32 v107, 0xd4, v103
	v_add3_u32 v108, v103, s12, 4
	s_mov_b64 s[12:13], 0
	v_mov_b32_e32 v109, v0
.LBB50_975:                             ; =>This Inner Loop Header: Depth=1
	buffer_load_dword v110, v108, s[0:3], 0 offen
	ds_read_b32 v111, v107
	v_add_u32_e32 v109, 1, v109
	v_cmp_lt_u32_e32 vcc, 47, v109
	v_add_u32_e32 v107, 4, v107
	v_add_u32_e32 v108, 4, v108
	s_or_b64 s[12:13], vcc, s[12:13]
	s_waitcnt vmcnt(0) lgkmcnt(0)
	v_fmac_f32_e32 v106, v110, v111
	s_andn2_b64 exec, exec, s[12:13]
	s_cbranch_execnz .LBB50_975
; %bb.976:
	s_or_b64 exec, exec, s[12:13]
.LBB50_977:
	s_or_b64 exec, exec, s[10:11]
	v_mov_b32_e32 v107, 0
	ds_read_b32 v107, v107 offset:196
	s_waitcnt lgkmcnt(0)
	v_mul_f32_e32 v106, v106, v107
	buffer_store_dword v106, off, s[0:3], 0 offset:196
.LBB50_978:
	s_or_b64 exec, exec, s[8:9]
	buffer_load_dword v106, off, s[0:3], 0 offset:200
	v_cmp_ne_u32_e32 vcc, 50, v0
	s_waitcnt vmcnt(0)
	ds_write_b32 v104, v106
	s_waitcnt lgkmcnt(0)
	; wave barrier
	s_and_saveexec_b64 s[8:9], vcc
	s_cbranch_execz .LBB50_988
; %bb.979:
	s_and_b64 vcc, exec, s[4:5]
	s_cbranch_vccnz .LBB50_981
; %bb.980:
	buffer_load_dword v105, v105, s[0:3], 0 offen
	ds_read_b32 v106, v104
	s_waitcnt vmcnt(0) lgkmcnt(0)
	v_mul_f32_e32 v105, v105, v106
	s_cbranch_execz .LBB50_982
	s_branch .LBB50_983
.LBB50_981:
                                        ; implicit-def: $vgpr105
.LBB50_982:
	ds_read_b32 v105, v104
.LBB50_983:
	s_and_saveexec_b64 s[4:5], s[6:7]
	s_cbranch_execz .LBB50_987
; %bb.984:
	s_mov_b32 s6, 0
	v_add_u32_e32 v104, 0xd4, v103
	v_add3_u32 v103, v103, s6, 4
	s_mov_b64 s[6:7], 0
.LBB50_985:                             ; =>This Inner Loop Header: Depth=1
	buffer_load_dword v106, v103, s[0:3], 0 offen
	ds_read_b32 v107, v104
	v_add_u32_e32 v0, 1, v0
	v_cmp_lt_u32_e32 vcc, 48, v0
	v_add_u32_e32 v104, 4, v104
	v_add_u32_e32 v103, 4, v103
	s_or_b64 s[6:7], vcc, s[6:7]
	s_waitcnt vmcnt(0) lgkmcnt(0)
	v_fmac_f32_e32 v105, v106, v107
	s_andn2_b64 exec, exec, s[6:7]
	s_cbranch_execnz .LBB50_985
; %bb.986:
	s_or_b64 exec, exec, s[6:7]
.LBB50_987:
	s_or_b64 exec, exec, s[4:5]
	v_mov_b32_e32 v0, 0
	ds_read_b32 v0, v0 offset:200
	s_waitcnt lgkmcnt(0)
	v_mul_f32_e32 v0, v105, v0
	buffer_store_dword v0, off, s[0:3], 0 offset:200
.LBB50_988:
	s_or_b64 exec, exec, s[8:9]
.LBB50_989:
	buffer_load_dword v0, off, s[0:3], 0
	buffer_load_dword v103, off, s[0:3], 0 offset:4
	buffer_load_dword v104, off, s[0:3], 0 offset:8
	;; [unrolled: 1-line block ×15, first 2 shown]
	s_waitcnt vmcnt(15)
	global_store_dword v[101:102], v0, off
	buffer_load_dword v0, off, s[0:3], 0 offset:64
	s_nop 0
	buffer_load_dword v101, off, s[0:3], 0 offset:68
	buffer_load_dword v102, off, s[0:3], 0 offset:72
	;; [unrolled: 1-line block ×7, first 2 shown]
	s_waitcnt vmcnt(23)
	global_store_dword v[99:100], v103, off
	s_waitcnt vmcnt(23)
	global_store_dword v[1:2], v104, off
	;; [unrolled: 2-line block ×3, first 2 shown]
	buffer_load_dword v1, off, s[0:3], 0 offset:96
	buffer_load_dword v2, off, s[0:3], 0 offset:100
	s_nop 0
	buffer_load_dword v5, off, s[0:3], 0 offset:104
	buffer_load_dword v6, off, s[0:3], 0 offset:108
	;; [unrolled: 1-line block ×6, first 2 shown]
	s_waitcnt vmcnt(31)
	global_store_dword v[3:4], v106, off
	s_waitcnt vmcnt(31)
	global_store_dword v[9:10], v107, off
	buffer_load_dword v3, off, s[0:3], 0 offset:128
	buffer_load_dword v4, off, s[0:3], 0 offset:132
	s_nop 0
	buffer_load_dword v9, off, s[0:3], 0 offset:136
	buffer_load_dword v10, off, s[0:3], 0 offset:140
	;; [unrolled: 1-line block ×6, first 2 shown]
	s_waitcnt vmcnt(39)
	global_store_dword v[7:8], v108, off
	s_waitcnt vmcnt(39)
	global_store_dword v[11:12], v109, off
	;; [unrolled: 2-line block ×3, first 2 shown]
	buffer_load_dword v7, off, s[0:3], 0 offset:160
	buffer_load_dword v8, off, s[0:3], 0 offset:164
	;; [unrolled: 1-line block ×4, first 2 shown]
	s_nop 0
	buffer_load_dword v15, off, s[0:3], 0 offset:176
	buffer_load_dword v16, off, s[0:3], 0 offset:180
	;; [unrolled: 1-line block ×4, first 2 shown]
	s_waitcnt vmcnt(47)
	global_store_dword v[13:14], v111, off
	buffer_load_dword v13, off, s[0:3], 0 offset:192
	s_nop 0
	buffer_load_dword v14, off, s[0:3], 0 offset:196
	buffer_load_dword v110, off, s[0:3], 0 offset:200
	s_waitcnt vmcnt(50)
	global_store_dword v[17:18], v112, off
	s_waitcnt vmcnt(50)
	global_store_dword v[19:20], v113, off
	;; [unrolled: 2-line block ×41, first 2 shown]
.LBB50_990:
	s_endpgm
	.section	.rodata,"a",@progbits
	.p2align	6, 0x0
	.amdhsa_kernel _ZN9rocsolver6v33100L18trti2_kernel_smallILi51EfPfEEv13rocblas_fill_17rocblas_diagonal_T1_iil
		.amdhsa_group_segment_fixed_size 412
		.amdhsa_private_segment_fixed_size 208
		.amdhsa_kernarg_size 32
		.amdhsa_user_sgpr_count 6
		.amdhsa_user_sgpr_private_segment_buffer 1
		.amdhsa_user_sgpr_dispatch_ptr 0
		.amdhsa_user_sgpr_queue_ptr 0
		.amdhsa_user_sgpr_kernarg_segment_ptr 1
		.amdhsa_user_sgpr_dispatch_id 0
		.amdhsa_user_sgpr_flat_scratch_init 0
		.amdhsa_user_sgpr_private_segment_size 0
		.amdhsa_uses_dynamic_stack 0
		.amdhsa_system_sgpr_private_segment_wavefront_offset 1
		.amdhsa_system_sgpr_workgroup_id_x 1
		.amdhsa_system_sgpr_workgroup_id_y 0
		.amdhsa_system_sgpr_workgroup_id_z 0
		.amdhsa_system_sgpr_workgroup_info 0
		.amdhsa_system_vgpr_workitem_id 0
		.amdhsa_next_free_vgpr 124
		.amdhsa_next_free_sgpr 64
		.amdhsa_reserve_vcc 1
		.amdhsa_reserve_flat_scratch 0
		.amdhsa_float_round_mode_32 0
		.amdhsa_float_round_mode_16_64 0
		.amdhsa_float_denorm_mode_32 3
		.amdhsa_float_denorm_mode_16_64 3
		.amdhsa_dx10_clamp 1
		.amdhsa_ieee_mode 1
		.amdhsa_fp16_overflow 0
		.amdhsa_exception_fp_ieee_invalid_op 0
		.amdhsa_exception_fp_denorm_src 0
		.amdhsa_exception_fp_ieee_div_zero 0
		.amdhsa_exception_fp_ieee_overflow 0
		.amdhsa_exception_fp_ieee_underflow 0
		.amdhsa_exception_fp_ieee_inexact 0
		.amdhsa_exception_int_div_zero 0
	.end_amdhsa_kernel
	.section	.text._ZN9rocsolver6v33100L18trti2_kernel_smallILi51EfPfEEv13rocblas_fill_17rocblas_diagonal_T1_iil,"axG",@progbits,_ZN9rocsolver6v33100L18trti2_kernel_smallILi51EfPfEEv13rocblas_fill_17rocblas_diagonal_T1_iil,comdat
.Lfunc_end50:
	.size	_ZN9rocsolver6v33100L18trti2_kernel_smallILi51EfPfEEv13rocblas_fill_17rocblas_diagonal_T1_iil, .Lfunc_end50-_ZN9rocsolver6v33100L18trti2_kernel_smallILi51EfPfEEv13rocblas_fill_17rocblas_diagonal_T1_iil
                                        ; -- End function
	.set _ZN9rocsolver6v33100L18trti2_kernel_smallILi51EfPfEEv13rocblas_fill_17rocblas_diagonal_T1_iil.num_vgpr, 124
	.set _ZN9rocsolver6v33100L18trti2_kernel_smallILi51EfPfEEv13rocblas_fill_17rocblas_diagonal_T1_iil.num_agpr, 0
	.set _ZN9rocsolver6v33100L18trti2_kernel_smallILi51EfPfEEv13rocblas_fill_17rocblas_diagonal_T1_iil.numbered_sgpr, 64
	.set _ZN9rocsolver6v33100L18trti2_kernel_smallILi51EfPfEEv13rocblas_fill_17rocblas_diagonal_T1_iil.num_named_barrier, 0
	.set _ZN9rocsolver6v33100L18trti2_kernel_smallILi51EfPfEEv13rocblas_fill_17rocblas_diagonal_T1_iil.private_seg_size, 208
	.set _ZN9rocsolver6v33100L18trti2_kernel_smallILi51EfPfEEv13rocblas_fill_17rocblas_diagonal_T1_iil.uses_vcc, 1
	.set _ZN9rocsolver6v33100L18trti2_kernel_smallILi51EfPfEEv13rocblas_fill_17rocblas_diagonal_T1_iil.uses_flat_scratch, 0
	.set _ZN9rocsolver6v33100L18trti2_kernel_smallILi51EfPfEEv13rocblas_fill_17rocblas_diagonal_T1_iil.has_dyn_sized_stack, 0
	.set _ZN9rocsolver6v33100L18trti2_kernel_smallILi51EfPfEEv13rocblas_fill_17rocblas_diagonal_T1_iil.has_recursion, 0
	.set _ZN9rocsolver6v33100L18trti2_kernel_smallILi51EfPfEEv13rocblas_fill_17rocblas_diagonal_T1_iil.has_indirect_call, 0
	.section	.AMDGPU.csdata,"",@progbits
; Kernel info:
; codeLenInByte = 24812
; TotalNumSgprs: 68
; NumVgprs: 124
; ScratchSize: 208
; MemoryBound: 0
; FloatMode: 240
; IeeeMode: 1
; LDSByteSize: 412 bytes/workgroup (compile time only)
; SGPRBlocks: 8
; VGPRBlocks: 30
; NumSGPRsForWavesPerEU: 68
; NumVGPRsForWavesPerEU: 124
; Occupancy: 2
; WaveLimiterHint : 0
; COMPUTE_PGM_RSRC2:SCRATCH_EN: 1
; COMPUTE_PGM_RSRC2:USER_SGPR: 6
; COMPUTE_PGM_RSRC2:TRAP_HANDLER: 0
; COMPUTE_PGM_RSRC2:TGID_X_EN: 1
; COMPUTE_PGM_RSRC2:TGID_Y_EN: 0
; COMPUTE_PGM_RSRC2:TGID_Z_EN: 0
; COMPUTE_PGM_RSRC2:TIDIG_COMP_CNT: 0
	.section	.text._ZN9rocsolver6v33100L18trti2_kernel_smallILi52EfPfEEv13rocblas_fill_17rocblas_diagonal_T1_iil,"axG",@progbits,_ZN9rocsolver6v33100L18trti2_kernel_smallILi52EfPfEEv13rocblas_fill_17rocblas_diagonal_T1_iil,comdat
	.globl	_ZN9rocsolver6v33100L18trti2_kernel_smallILi52EfPfEEv13rocblas_fill_17rocblas_diagonal_T1_iil ; -- Begin function _ZN9rocsolver6v33100L18trti2_kernel_smallILi52EfPfEEv13rocblas_fill_17rocblas_diagonal_T1_iil
	.p2align	8
	.type	_ZN9rocsolver6v33100L18trti2_kernel_smallILi52EfPfEEv13rocblas_fill_17rocblas_diagonal_T1_iil,@function
_ZN9rocsolver6v33100L18trti2_kernel_smallILi52EfPfEEv13rocblas_fill_17rocblas_diagonal_T1_iil: ; @_ZN9rocsolver6v33100L18trti2_kernel_smallILi52EfPfEEv13rocblas_fill_17rocblas_diagonal_T1_iil
; %bb.0:
	s_add_u32 s0, s0, s7
	s_addc_u32 s1, s1, 0
	v_cmp_gt_u32_e32 vcc, 52, v0
	s_and_saveexec_b64 s[8:9], vcc
	s_cbranch_execz .LBB51_1010
; %bb.1:
	s_load_dwordx8 s[8:15], s[4:5], 0x0
	s_ashr_i32 s7, s6, 31
	v_lshlrev_b32_e32 v105, 2, v0
	s_waitcnt lgkmcnt(0)
	s_ashr_i32 s5, s12, 31
	s_mov_b32 s4, s12
	s_mul_hi_u32 s12, s14, s6
	s_mul_i32 s7, s14, s7
	s_add_i32 s7, s12, s7
	s_mul_i32 s12, s15, s6
	s_add_i32 s7, s7, s12
	s_mul_i32 s6, s14, s6
	s_lshl_b64 s[6:7], s[6:7], 2
	s_add_u32 s6, s10, s6
	s_addc_u32 s7, s11, s7
	s_lshl_b64 s[4:5], s[4:5], 2
	s_add_u32 s4, s6, s4
	s_addc_u32 s5, s7, s5
	s_add_i32 s6, s13, s13
	v_add_u32_e32 v3, s6, v0
	v_ashrrev_i32_e32 v4, 31, v3
	v_lshlrev_b64 v[1:2], 2, v[3:4]
	v_mov_b32_e32 v4, s5
	v_add_co_u32_e32 v1, vcc, s4, v1
	v_add_u32_e32 v3, s13, v3
	v_addc_co_u32_e32 v2, vcc, v4, v2, vcc
	v_ashrrev_i32_e32 v4, 31, v3
	v_lshlrev_b64 v[5:6], 2, v[3:4]
	v_add_u32_e32 v7, s13, v3
	v_mov_b32_e32 v4, s5
	v_add_co_u32_e32 v5, vcc, s4, v5
	v_ashrrev_i32_e32 v8, 31, v7
	v_addc_co_u32_e32 v6, vcc, v4, v6, vcc
	v_lshlrev_b64 v[3:4], 2, v[7:8]
	v_add_u32_e32 v9, s13, v7
	v_mov_b32_e32 v8, s5
	v_add_co_u32_e32 v3, vcc, s4, v3
	v_ashrrev_i32_e32 v10, 31, v9
	v_addc_co_u32_e32 v4, vcc, v8, v4, vcc
	v_lshlrev_b64 v[7:8], 2, v[9:10]
	v_mov_b32_e32 v10, s5
	v_add_co_u32_e32 v7, vcc, s4, v7
	v_add_u32_e32 v9, s13, v9
	v_addc_co_u32_e32 v8, vcc, v10, v8, vcc
	v_ashrrev_i32_e32 v10, 31, v9
	v_lshlrev_b64 v[11:12], 2, v[9:10]
	v_add_u32_e32 v13, s13, v9
	v_mov_b32_e32 v10, s5
	v_add_co_u32_e32 v11, vcc, s4, v11
	v_ashrrev_i32_e32 v14, 31, v13
	v_addc_co_u32_e32 v12, vcc, v10, v12, vcc
	v_lshlrev_b64 v[9:10], 2, v[13:14]
	v_add_u32_e32 v15, s13, v13
	v_mov_b32_e32 v14, s5
	v_add_co_u32_e32 v9, vcc, s4, v9
	v_ashrrev_i32_e32 v16, 31, v15
	v_addc_co_u32_e32 v10, vcc, v14, v10, vcc
	v_lshlrev_b64 v[13:14], 2, v[15:16]
	v_mov_b32_e32 v16, s5
	v_add_co_u32_e32 v13, vcc, s4, v13
	v_add_u32_e32 v15, s13, v15
	v_addc_co_u32_e32 v14, vcc, v16, v14, vcc
	v_ashrrev_i32_e32 v16, 31, v15
	v_lshlrev_b64 v[17:18], 2, v[15:16]
	v_add_u32_e32 v19, s13, v15
	v_mov_b32_e32 v16, s5
	v_add_co_u32_e32 v17, vcc, s4, v17
	v_ashrrev_i32_e32 v20, 31, v19
	v_addc_co_u32_e32 v18, vcc, v16, v18, vcc
	v_lshlrev_b64 v[15:16], 2, v[19:20]
	v_mov_b32_e32 v21, s5
	v_add_co_u32_e32 v15, vcc, s4, v15
	v_addc_co_u32_e32 v16, vcc, v21, v16, vcc
	v_add_u32_e32 v21, s13, v19
	v_ashrrev_i32_e32 v22, 31, v21
	v_lshlrev_b64 v[19:20], 2, v[21:22]
	v_mov_b32_e32 v23, s5
	v_add_co_u32_e32 v19, vcc, s4, v19
	v_addc_co_u32_e32 v20, vcc, v23, v20, vcc
	v_add_u32_e32 v23, s13, v21
	v_ashrrev_i32_e32 v24, 31, v23
	;; [unrolled: 6-line block ×40, first 2 shown]
	v_lshlrev_b64 v[97:98], 2, v[99:100]
	v_add_u32_e32 v99, s13, v99
	v_ashrrev_i32_e32 v100, 31, v99
	v_mov_b32_e32 v101, s5
	v_add_co_u32_e32 v97, vcc, s4, v97
	v_lshlrev_b64 v[99:100], 2, v[99:100]
	v_addc_co_u32_e32 v98, vcc, v101, v98, vcc
	v_add_co_u32_e32 v99, vcc, s4, v99
	v_addc_co_u32_e32 v100, vcc, v101, v100, vcc
	v_mov_b32_e32 v102, s5
	v_add_co_u32_e32 v101, vcc, s4, v105
	global_load_dword v106, v105, s[4:5]
	s_ashr_i32 s5, s13, 31
	s_mov_b32 s4, s13
	v_addc_co_u32_e32 v102, vcc, 0, v102, vcc
	s_lshl_b64 s[4:5], s[4:5], 2
	v_mov_b32_e32 v104, s5
	v_add_co_u32_e32 v103, vcc, s4, v101
	v_addc_co_u32_e32 v104, vcc, v102, v104, vcc
	global_load_dword v107, v[103:104], off
	global_load_dword v108, v[1:2], off
	;; [unrolled: 1-line block ×17, first 2 shown]
	s_waitcnt vmcnt(17)
	buffer_store_dword v106, off, s[0:3], 0
	s_waitcnt vmcnt(17)
	buffer_store_dword v107, off, s[0:3], 0 offset:4
	s_waitcnt vmcnt(17)
	buffer_store_dword v108, off, s[0:3], 0 offset:8
	;; [unrolled: 2-line block ×15, first 2 shown]
	global_load_dword v106, v[31:32], off
	global_load_dword v107, v[33:34], off
	;; [unrolled: 1-line block ×16, first 2 shown]
	s_cmpk_lg_i32 s9, 0x84
	s_waitcnt vmcnt(33)
	buffer_store_dword v122, off, s[0:3], 0 offset:64
	global_load_dword v122, v[63:64], off
	s_waitcnt vmcnt(17)
	buffer_store_dword v106, off, s[0:3], 0 offset:68
	s_waitcnt vmcnt(17)
	buffer_store_dword v107, off, s[0:3], 0 offset:72
	;; [unrolled: 2-line block ×16, first 2 shown]
	global_load_dword v106, v[65:66], off
	global_load_dword v107, v[67:68], off
	;; [unrolled: 1-line block ×7, first 2 shown]
	s_movk_i32 s12, 0x84
	s_waitcnt vmcnt(23)
	buffer_store_dword v122, off, s[0:3], 0 offset:132
	global_load_dword v113, v[79:80], off
	global_load_dword v114, v[81:82], off
	;; [unrolled: 1-line block ×10, first 2 shown]
	s_waitcnt vmcnt(17)
	buffer_store_dword v106, off, s[0:3], 0 offset:136
	s_waitcnt vmcnt(17)
	buffer_store_dword v107, off, s[0:3], 0 offset:140
	;; [unrolled: 2-line block ×17, first 2 shown]
	buffer_store_dword v123, off, s[0:3], 0 offset:204
	s_cselect_b64 s[10:11], -1, 0
	s_cmpk_eq_i32 s9, 0x84
	v_mov_b32_e32 v106, -1.0
	s_cbranch_scc1 .LBB51_3
; %bb.2:
	v_mov_b32_e32 v106, 0
	v_lshl_add_u32 v106, v0, 2, v106
	buffer_load_dword v107, v106, s[0:3], 0 offen
	s_waitcnt vmcnt(0)
	v_div_scale_f32 v108, s[4:5], v107, v107, 1.0
	v_div_scale_f32 v109, vcc, 1.0, v107, 1.0
	v_rcp_f32_e32 v110, v108
	v_fma_f32 v111, -v108, v110, 1.0
	v_fmac_f32_e32 v110, v111, v110
	v_mul_f32_e32 v111, v109, v110
	v_fma_f32 v112, -v108, v111, v109
	v_fmac_f32_e32 v111, v112, v110
	v_fma_f32 v108, -v108, v111, v109
	v_div_fmas_f32 v108, v108, v110, v111
	v_div_fixup_f32 v107, v108, v107, 1.0
	buffer_store_dword v107, v106, s[0:3], 0 offen
	v_xor_b32_e32 v106, 0x80000000, v107
.LBB51_3:
	ds_write_b32 v105, v106
	s_cmpk_eq_i32 s8, 0x79
	v_add_u32_e32 v106, 0xd0, v105
	v_mov_b32_e32 v107, v105
	s_mov_b64 s[4:5], -1
	s_cbranch_scc1 .LBB51_507
; %bb.4:
	buffer_load_dword v108, off, s[0:3], 0 offset:200
	s_movk_i32 s30, 0x44
	s_movk_i32 s31, 0x48
	;; [unrolled: 1-line block ×32, first 2 shown]
	v_cmp_eq_u32_e64 s[4:5], 51, v0
	s_waitcnt vmcnt(0)
	ds_write_b32 v106, v108
	s_waitcnt lgkmcnt(0)
	; wave barrier
	s_and_saveexec_b64 s[6:7], s[4:5]
	s_cbranch_execz .LBB51_10
; %bb.5:
	s_and_b64 vcc, exec, s[10:11]
	s_cbranch_vccz .LBB51_7
; %bb.6:
	buffer_load_dword v108, v107, s[0:3], 0 offen
	ds_read_b32 v109, v106
	s_waitcnt vmcnt(0) lgkmcnt(0)
	v_mul_f32_e32 v108, v108, v109
	s_cbranch_execz .LBB51_8
	s_branch .LBB51_9
.LBB51_7:
                                        ; implicit-def: $vgpr108
.LBB51_8:
	ds_read_b32 v108, v106
.LBB51_9:
	v_mov_b32_e32 v109, 0
	ds_read_b32 v109, v109 offset:200
	s_waitcnt lgkmcnt(0)
	v_mul_f32_e32 v108, v108, v109
	buffer_store_dword v108, off, s[0:3], 0 offset:200
.LBB51_10:
	s_or_b64 exec, exec, s[6:7]
	buffer_load_dword v108, off, s[0:3], 0 offset:196
	s_or_b32 s14, 0, 4
	s_or_b32 s15, 0, 8
	s_or_b32 s16, 0, 12
	s_mov_b32 s17, 16
	s_mov_b32 s18, 20
	;; [unrolled: 1-line block ×15, first 2 shown]
	v_cmp_lt_u32_e64 s[6:7], 49, v0
	s_waitcnt vmcnt(0)
	ds_write_b32 v106, v108
	s_waitcnt lgkmcnt(0)
	; wave barrier
	s_and_saveexec_b64 s[8:9], s[6:7]
	s_cbranch_execz .LBB51_16
; %bb.11:
	s_andn2_b64 vcc, exec, s[10:11]
	s_cbranch_vccnz .LBB51_13
; %bb.12:
	buffer_load_dword v108, v107, s[0:3], 0 offen
	ds_read_b32 v109, v106
	s_waitcnt vmcnt(0) lgkmcnt(0)
	v_mul_f32_e32 v108, v108, v109
	s_cbranch_execz .LBB51_14
	s_branch .LBB51_15
.LBB51_13:
                                        ; implicit-def: $vgpr108
.LBB51_14:
	ds_read_b32 v108, v106
.LBB51_15:
	buffer_load_dword v111, off, s[0:3], 0 offset:200
	v_mov_b32_e32 v109, 0
	ds_read2_b32 v[109:110], v109 offset0:49 offset1:102
	s_waitcnt vmcnt(0) lgkmcnt(0)
	v_fma_f32 v110, v111, v110, v108
	v_cndmask_b32_e64 v108, v108, v110, s[4:5]
	v_mul_f32_e32 v108, v108, v109
	buffer_store_dword v108, off, s[0:3], 0 offset:196
.LBB51_16:
	s_or_b64 exec, exec, s[8:9]
	buffer_load_dword v108, off, s[0:3], 0 offset:192
	v_cmp_lt_u32_e64 s[4:5], 48, v0
	s_waitcnt vmcnt(0)
	ds_write_b32 v106, v108
	s_waitcnt lgkmcnt(0)
	; wave barrier
	s_and_saveexec_b64 s[8:9], s[4:5]
	s_cbranch_execz .LBB51_26
; %bb.17:
	s_andn2_b64 vcc, exec, s[10:11]
	s_cbranch_vccnz .LBB51_19
; %bb.18:
	buffer_load_dword v108, v107, s[0:3], 0 offen
	ds_read_b32 v109, v106
	s_waitcnt vmcnt(0) lgkmcnt(0)
	v_mul_f32_e32 v108, v108, v109
	s_cbranch_execz .LBB51_20
	s_branch .LBB51_21
.LBB51_19:
                                        ; implicit-def: $vgpr108
.LBB51_20:
	ds_read_b32 v108, v106
.LBB51_21:
	s_and_saveexec_b64 s[12:13], s[6:7]
	s_cbranch_execz .LBB51_25
; %bb.22:
	v_subrev_u32_e32 v109, 49, v0
	s_movk_i32 s64, 0x194
	s_mov_b64 s[6:7], 0
.LBB51_23:                              ; =>This Inner Loop Header: Depth=1
	v_mov_b32_e32 v110, s63
	buffer_load_dword v110, v110, s[0:3], 0 offen
	v_mov_b32_e32 v111, s64
	ds_read_b32 v111, v111
	v_add_u32_e32 v109, -1, v109
	s_add_i32 s64, s64, 4
	s_add_i32 s63, s63, 4
	v_cmp_eq_u32_e32 vcc, 0, v109
	s_or_b64 s[6:7], vcc, s[6:7]
	s_waitcnt vmcnt(0) lgkmcnt(0)
	v_fmac_f32_e32 v108, v110, v111
	s_andn2_b64 exec, exec, s[6:7]
	s_cbranch_execnz .LBB51_23
; %bb.24:
	s_or_b64 exec, exec, s[6:7]
.LBB51_25:
	s_or_b64 exec, exec, s[12:13]
	v_mov_b32_e32 v109, 0
	ds_read_b32 v109, v109 offset:192
	s_waitcnt lgkmcnt(0)
	v_mul_f32_e32 v108, v108, v109
	buffer_store_dword v108, off, s[0:3], 0 offset:192
.LBB51_26:
	s_or_b64 exec, exec, s[8:9]
	buffer_load_dword v108, off, s[0:3], 0 offset:188
	v_cmp_lt_u32_e64 s[6:7], 47, v0
	s_waitcnt vmcnt(0)
	ds_write_b32 v106, v108
	s_waitcnt lgkmcnt(0)
	; wave barrier
	s_and_saveexec_b64 s[8:9], s[6:7]
	s_cbranch_execz .LBB51_36
; %bb.27:
	s_andn2_b64 vcc, exec, s[10:11]
	s_cbranch_vccnz .LBB51_29
; %bb.28:
	buffer_load_dword v108, v107, s[0:3], 0 offen
	ds_read_b32 v109, v106
	s_waitcnt vmcnt(0) lgkmcnt(0)
	v_mul_f32_e32 v108, v108, v109
	s_cbranch_execz .LBB51_30
	s_branch .LBB51_31
.LBB51_29:
                                        ; implicit-def: $vgpr108
.LBB51_30:
	ds_read_b32 v108, v106
.LBB51_31:
	s_and_saveexec_b64 s[12:13], s[4:5]
	s_cbranch_execz .LBB51_35
; %bb.32:
	v_subrev_u32_e32 v109, 48, v0
	s_movk_i32 s63, 0x190
	s_mov_b64 s[4:5], 0
.LBB51_33:                              ; =>This Inner Loop Header: Depth=1
	v_mov_b32_e32 v110, s62
	buffer_load_dword v110, v110, s[0:3], 0 offen
	v_mov_b32_e32 v111, s63
	ds_read_b32 v111, v111
	v_add_u32_e32 v109, -1, v109
	s_add_i32 s63, s63, 4
	s_add_i32 s62, s62, 4
	v_cmp_eq_u32_e32 vcc, 0, v109
	s_or_b64 s[4:5], vcc, s[4:5]
	s_waitcnt vmcnt(0) lgkmcnt(0)
	v_fmac_f32_e32 v108, v110, v111
	s_andn2_b64 exec, exec, s[4:5]
	s_cbranch_execnz .LBB51_33
; %bb.34:
	s_or_b64 exec, exec, s[4:5]
.LBB51_35:
	s_or_b64 exec, exec, s[12:13]
	v_mov_b32_e32 v109, 0
	ds_read_b32 v109, v109 offset:188
	s_waitcnt lgkmcnt(0)
	v_mul_f32_e32 v108, v108, v109
	buffer_store_dword v108, off, s[0:3], 0 offset:188
.LBB51_36:
	;; [unrolled: 54-line block ×8, first 2 shown]
	s_or_b64 exec, exec, s[8:9]
	buffer_load_dword v108, off, s[0:3], 0 offset:160
	v_cmp_lt_u32_e64 s[4:5], 40, v0
	s_waitcnt vmcnt(0)
	ds_write_b32 v106, v108
	s_waitcnt lgkmcnt(0)
	; wave barrier
	s_and_saveexec_b64 s[8:9], s[4:5]
	s_cbranch_execz .LBB51_106
; %bb.97:
	s_andn2_b64 vcc, exec, s[10:11]
	s_cbranch_vccnz .LBB51_99
; %bb.98:
	buffer_load_dword v108, v107, s[0:3], 0 offen
	ds_read_b32 v109, v106
	s_waitcnt vmcnt(0) lgkmcnt(0)
	v_mul_f32_e32 v108, v108, v109
	s_cbranch_execz .LBB51_100
	s_branch .LBB51_101
.LBB51_99:
                                        ; implicit-def: $vgpr108
.LBB51_100:
	ds_read_b32 v108, v106
.LBB51_101:
	s_and_saveexec_b64 s[12:13], s[6:7]
	s_cbranch_execz .LBB51_105
; %bb.102:
	v_subrev_u32_e32 v109, 41, v0
	s_movk_i32 s56, 0x174
	s_mov_b64 s[6:7], 0
.LBB51_103:                             ; =>This Inner Loop Header: Depth=1
	v_mov_b32_e32 v110, s55
	buffer_load_dword v110, v110, s[0:3], 0 offen
	v_mov_b32_e32 v111, s56
	ds_read_b32 v111, v111
	v_add_u32_e32 v109, -1, v109
	s_add_i32 s56, s56, 4
	s_add_i32 s55, s55, 4
	v_cmp_eq_u32_e32 vcc, 0, v109
	s_or_b64 s[6:7], vcc, s[6:7]
	s_waitcnt vmcnt(0) lgkmcnt(0)
	v_fmac_f32_e32 v108, v110, v111
	s_andn2_b64 exec, exec, s[6:7]
	s_cbranch_execnz .LBB51_103
; %bb.104:
	s_or_b64 exec, exec, s[6:7]
.LBB51_105:
	s_or_b64 exec, exec, s[12:13]
	v_mov_b32_e32 v109, 0
	ds_read_b32 v109, v109 offset:160
	s_waitcnt lgkmcnt(0)
	v_mul_f32_e32 v108, v108, v109
	buffer_store_dword v108, off, s[0:3], 0 offset:160
.LBB51_106:
	s_or_b64 exec, exec, s[8:9]
	buffer_load_dword v108, off, s[0:3], 0 offset:156
	v_cmp_lt_u32_e64 s[6:7], 39, v0
	s_waitcnt vmcnt(0)
	ds_write_b32 v106, v108
	s_waitcnt lgkmcnt(0)
	; wave barrier
	s_and_saveexec_b64 s[8:9], s[6:7]
	s_cbranch_execz .LBB51_116
; %bb.107:
	s_andn2_b64 vcc, exec, s[10:11]
	s_cbranch_vccnz .LBB51_109
; %bb.108:
	buffer_load_dword v108, v107, s[0:3], 0 offen
	ds_read_b32 v109, v106
	s_waitcnt vmcnt(0) lgkmcnt(0)
	v_mul_f32_e32 v108, v108, v109
	s_cbranch_execz .LBB51_110
	s_branch .LBB51_111
.LBB51_109:
                                        ; implicit-def: $vgpr108
.LBB51_110:
	ds_read_b32 v108, v106
.LBB51_111:
	s_and_saveexec_b64 s[12:13], s[4:5]
	s_cbranch_execz .LBB51_115
; %bb.112:
	v_subrev_u32_e32 v109, 40, v0
	s_movk_i32 s55, 0x170
	s_mov_b64 s[4:5], 0
.LBB51_113:                             ; =>This Inner Loop Header: Depth=1
	v_mov_b32_e32 v110, s54
	buffer_load_dword v110, v110, s[0:3], 0 offen
	v_mov_b32_e32 v111, s55
	ds_read_b32 v111, v111
	v_add_u32_e32 v109, -1, v109
	s_add_i32 s55, s55, 4
	s_add_i32 s54, s54, 4
	v_cmp_eq_u32_e32 vcc, 0, v109
	s_or_b64 s[4:5], vcc, s[4:5]
	s_waitcnt vmcnt(0) lgkmcnt(0)
	v_fmac_f32_e32 v108, v110, v111
	s_andn2_b64 exec, exec, s[4:5]
	s_cbranch_execnz .LBB51_113
; %bb.114:
	s_or_b64 exec, exec, s[4:5]
.LBB51_115:
	s_or_b64 exec, exec, s[12:13]
	v_mov_b32_e32 v109, 0
	ds_read_b32 v109, v109 offset:156
	s_waitcnt lgkmcnt(0)
	v_mul_f32_e32 v108, v108, v109
	buffer_store_dword v108, off, s[0:3], 0 offset:156
.LBB51_116:
	;; [unrolled: 54-line block ×25, first 2 shown]
	s_or_b64 exec, exec, s[8:9]
	buffer_load_dword v108, off, s[0:3], 0 offset:60
	v_cmp_lt_u32_e64 s[6:7], 15, v0
	s_waitcnt vmcnt(0)
	ds_write_b32 v106, v108
	s_waitcnt lgkmcnt(0)
	; wave barrier
	s_and_saveexec_b64 s[8:9], s[6:7]
	s_cbranch_execz .LBB51_356
; %bb.347:
	s_andn2_b64 vcc, exec, s[10:11]
	s_cbranch_vccnz .LBB51_349
; %bb.348:
	buffer_load_dword v108, v107, s[0:3], 0 offen
	ds_read_b32 v109, v106
	s_waitcnt vmcnt(0) lgkmcnt(0)
	v_mul_f32_e32 v108, v108, v109
	s_cbranch_execz .LBB51_350
	s_branch .LBB51_351
.LBB51_349:
                                        ; implicit-def: $vgpr108
.LBB51_350:
	ds_read_b32 v108, v106
.LBB51_351:
	s_and_saveexec_b64 s[12:13], s[4:5]
	s_cbranch_execz .LBB51_355
; %bb.352:
	v_add_u32_e32 v109, -16, v0
	s_movk_i32 s30, 0x110
	s_mov_b64 s[4:5], 0
.LBB51_353:                             ; =>This Inner Loop Header: Depth=1
	v_mov_b32_e32 v110, s29
	buffer_load_dword v110, v110, s[0:3], 0 offen
	v_mov_b32_e32 v111, s30
	ds_read_b32 v111, v111
	v_add_u32_e32 v109, -1, v109
	s_add_i32 s30, s30, 4
	s_add_i32 s29, s29, 4
	v_cmp_eq_u32_e32 vcc, 0, v109
	s_or_b64 s[4:5], vcc, s[4:5]
	s_waitcnt vmcnt(0) lgkmcnt(0)
	v_fmac_f32_e32 v108, v110, v111
	s_andn2_b64 exec, exec, s[4:5]
	s_cbranch_execnz .LBB51_353
; %bb.354:
	s_or_b64 exec, exec, s[4:5]
.LBB51_355:
	s_or_b64 exec, exec, s[12:13]
	v_mov_b32_e32 v109, 0
	ds_read_b32 v109, v109 offset:60
	s_waitcnt lgkmcnt(0)
	v_mul_f32_e32 v108, v108, v109
	buffer_store_dword v108, off, s[0:3], 0 offset:60
.LBB51_356:
	s_or_b64 exec, exec, s[8:9]
	buffer_load_dword v108, off, s[0:3], 0 offset:56
	v_cmp_lt_u32_e64 s[4:5], 14, v0
	s_waitcnt vmcnt(0)
	ds_write_b32 v106, v108
	s_waitcnt lgkmcnt(0)
	; wave barrier
	s_and_saveexec_b64 s[8:9], s[4:5]
	s_cbranch_execz .LBB51_366
; %bb.357:
	s_andn2_b64 vcc, exec, s[10:11]
	s_cbranch_vccnz .LBB51_359
; %bb.358:
	buffer_load_dword v108, v107, s[0:3], 0 offen
	ds_read_b32 v109, v106
	s_waitcnt vmcnt(0) lgkmcnt(0)
	v_mul_f32_e32 v108, v108, v109
	s_cbranch_execz .LBB51_360
	s_branch .LBB51_361
.LBB51_359:
                                        ; implicit-def: $vgpr108
.LBB51_360:
	ds_read_b32 v108, v106
.LBB51_361:
	s_and_saveexec_b64 s[12:13], s[6:7]
	s_cbranch_execz .LBB51_365
; %bb.362:
	v_add_u32_e32 v109, -15, v0
	s_movk_i32 s29, 0x10c
	s_mov_b64 s[6:7], 0
.LBB51_363:                             ; =>This Inner Loop Header: Depth=1
	v_mov_b32_e32 v110, s28
	buffer_load_dword v110, v110, s[0:3], 0 offen
	v_mov_b32_e32 v111, s29
	ds_read_b32 v111, v111
	v_add_u32_e32 v109, -1, v109
	s_add_i32 s29, s29, 4
	s_add_i32 s28, s28, 4
	v_cmp_eq_u32_e32 vcc, 0, v109
	s_or_b64 s[6:7], vcc, s[6:7]
	s_waitcnt vmcnt(0) lgkmcnt(0)
	v_fmac_f32_e32 v108, v110, v111
	s_andn2_b64 exec, exec, s[6:7]
	s_cbranch_execnz .LBB51_363
; %bb.364:
	s_or_b64 exec, exec, s[6:7]
.LBB51_365:
	s_or_b64 exec, exec, s[12:13]
	v_mov_b32_e32 v109, 0
	ds_read_b32 v109, v109 offset:56
	s_waitcnt lgkmcnt(0)
	v_mul_f32_e32 v108, v108, v109
	buffer_store_dword v108, off, s[0:3], 0 offset:56
.LBB51_366:
	;; [unrolled: 54-line block ×15, first 2 shown]
	s_or_b64 exec, exec, s[8:9]
	buffer_load_dword v108, off, s[0:3], 0
	v_cmp_ne_u32_e32 vcc, 0, v0
	s_waitcnt vmcnt(0)
	ds_write_b32 v106, v108
	s_waitcnt lgkmcnt(0)
	; wave barrier
	s_and_saveexec_b64 s[4:5], vcc
	s_cbranch_execz .LBB51_506
; %bb.497:
	s_andn2_b64 vcc, exec, s[10:11]
	s_cbranch_vccnz .LBB51_499
; %bb.498:
	buffer_load_dword v108, v107, s[0:3], 0 offen
	ds_read_b32 v109, v106
	s_waitcnt vmcnt(0) lgkmcnt(0)
	v_mul_f32_e32 v108, v108, v109
	s_cbranch_execz .LBB51_500
	s_branch .LBB51_501
.LBB51_499:
                                        ; implicit-def: $vgpr108
.LBB51_500:
	ds_read_b32 v108, v106
.LBB51_501:
	s_and_saveexec_b64 s[8:9], s[6:7]
	s_cbranch_execz .LBB51_505
; %bb.502:
	v_add_u32_e32 v109, -1, v0
	s_movk_i32 s12, 0xd4
	s_mov_b64 s[6:7], 0
.LBB51_503:                             ; =>This Inner Loop Header: Depth=1
	v_mov_b32_e32 v110, s14
	buffer_load_dword v110, v110, s[0:3], 0 offen
	v_mov_b32_e32 v111, s12
	ds_read_b32 v111, v111
	v_add_u32_e32 v109, -1, v109
	s_add_i32 s12, s12, 4
	s_add_i32 s14, s14, 4
	v_cmp_eq_u32_e32 vcc, 0, v109
	s_or_b64 s[6:7], vcc, s[6:7]
	s_waitcnt vmcnt(0) lgkmcnt(0)
	v_fmac_f32_e32 v108, v110, v111
	s_andn2_b64 exec, exec, s[6:7]
	s_cbranch_execnz .LBB51_503
; %bb.504:
	s_or_b64 exec, exec, s[6:7]
.LBB51_505:
	s_or_b64 exec, exec, s[8:9]
	v_mov_b32_e32 v109, 0
	ds_read_b32 v109, v109
	s_waitcnt lgkmcnt(0)
	v_mul_f32_e32 v108, v108, v109
	buffer_store_dword v108, off, s[0:3], 0
.LBB51_506:
	s_or_b64 exec, exec, s[4:5]
	s_mov_b64 s[4:5], 0
.LBB51_507:
	s_and_b64 vcc, exec, s[4:5]
	s_cbranch_vccz .LBB51_1009
; %bb.508:
	buffer_load_dword v108, off, s[0:3], 0 offset:4
	v_cmp_eq_u32_e64 s[6:7], 0, v0
	s_waitcnt vmcnt(0)
	ds_write_b32 v106, v108
	s_waitcnt lgkmcnt(0)
	; wave barrier
	s_and_saveexec_b64 s[4:5], s[6:7]
	s_cbranch_execz .LBB51_514
; %bb.509:
	s_and_b64 vcc, exec, s[10:11]
	s_cbranch_vccz .LBB51_511
; %bb.510:
	buffer_load_dword v108, v107, s[0:3], 0 offen
	ds_read_b32 v109, v106
	s_waitcnt vmcnt(0) lgkmcnt(0)
	v_mul_f32_e32 v108, v108, v109
	s_cbranch_execz .LBB51_512
	s_branch .LBB51_513
.LBB51_511:
                                        ; implicit-def: $vgpr108
.LBB51_512:
	ds_read_b32 v108, v106
.LBB51_513:
	v_mov_b32_e32 v109, 0
	ds_read_b32 v109, v109 offset:4
	s_waitcnt lgkmcnt(0)
	v_mul_f32_e32 v108, v108, v109
	buffer_store_dword v108, off, s[0:3], 0 offset:4
.LBB51_514:
	s_or_b64 exec, exec, s[4:5]
	buffer_load_dword v108, off, s[0:3], 0 offset:8
	v_cndmask_b32_e64 v109, 0, 1, s[10:11]
	v_cmp_gt_u32_e32 vcc, 2, v0
	v_cmp_ne_u32_e64 s[4:5], 1, v109
	s_waitcnt vmcnt(0)
	ds_write_b32 v106, v108
	s_waitcnt lgkmcnt(0)
	; wave barrier
	s_and_saveexec_b64 s[8:9], vcc
	s_cbranch_execz .LBB51_520
; %bb.515:
	s_and_b64 vcc, exec, s[4:5]
	s_cbranch_vccnz .LBB51_517
; %bb.516:
	buffer_load_dword v108, v107, s[0:3], 0 offen
	ds_read_b32 v109, v106
	s_waitcnt vmcnt(0) lgkmcnt(0)
	v_mul_f32_e32 v108, v108, v109
	s_cbranch_execz .LBB51_518
	s_branch .LBB51_519
.LBB51_517:
                                        ; implicit-def: $vgpr108
.LBB51_518:
	ds_read_b32 v108, v106
.LBB51_519:
	buffer_load_dword v111, off, s[0:3], 0 offset:4
	v_mov_b32_e32 v109, 0
	ds_read2_b32 v[109:110], v109 offset0:2 offset1:53
	s_waitcnt vmcnt(0) lgkmcnt(0)
	v_fma_f32 v110, v111, v110, v108
	v_cndmask_b32_e64 v108, v108, v110, s[6:7]
	v_mul_f32_e32 v108, v108, v109
	buffer_store_dword v108, off, s[0:3], 0 offset:8
.LBB51_520:
	s_or_b64 exec, exec, s[8:9]
	buffer_load_dword v108, off, s[0:3], 0 offset:12
	v_cmp_gt_u32_e32 vcc, 3, v0
	s_waitcnt vmcnt(0)
	ds_write_b32 v106, v108
	s_waitcnt lgkmcnt(0)
	; wave barrier
	s_and_saveexec_b64 s[8:9], vcc
	s_cbranch_execz .LBB51_528
; %bb.521:
	s_and_b64 vcc, exec, s[4:5]
	s_cbranch_vccnz .LBB51_523
; %bb.522:
	buffer_load_dword v108, v107, s[0:3], 0 offen
	ds_read_b32 v109, v106
	s_waitcnt vmcnt(0) lgkmcnt(0)
	v_mul_f32_e32 v108, v108, v109
	s_cbranch_execz .LBB51_524
	s_branch .LBB51_525
.LBB51_523:
                                        ; implicit-def: $vgpr108
.LBB51_524:
	ds_read_b32 v108, v106
.LBB51_525:
	v_cmp_ne_u32_e32 vcc, 2, v0
	s_and_saveexec_b64 s[10:11], vcc
	s_cbranch_execz .LBB51_527
; %bb.526:
	buffer_load_dword v109, v107, s[0:3], 0 offen offset:4
	buffer_load_dword v110, off, s[0:3], 0 offset:8
	v_mov_b32_e32 v111, 0
	ds_read_b32 v112, v106 offset:4
	ds_read_b32 v111, v111 offset:216
	s_waitcnt vmcnt(1) lgkmcnt(1)
	v_fmac_f32_e32 v108, v109, v112
	s_waitcnt vmcnt(0) lgkmcnt(0)
	v_fma_f32 v109, v110, v111, v108
	v_cndmask_b32_e64 v108, v108, v109, s[6:7]
.LBB51_527:
	s_or_b64 exec, exec, s[10:11]
	v_mov_b32_e32 v109, 0
	ds_read_b32 v109, v109 offset:12
	s_waitcnt lgkmcnt(0)
	v_mul_f32_e32 v108, v108, v109
	buffer_store_dword v108, off, s[0:3], 0 offset:12
.LBB51_528:
	s_or_b64 exec, exec, s[8:9]
	buffer_load_dword v108, off, s[0:3], 0 offset:16
	v_cmp_gt_u32_e32 vcc, 4, v0
	s_waitcnt vmcnt(0)
	ds_write_b32 v106, v108
	s_waitcnt lgkmcnt(0)
	; wave barrier
	s_and_saveexec_b64 s[6:7], vcc
	s_cbranch_execz .LBB51_538
; %bb.529:
	s_and_b64 vcc, exec, s[4:5]
	s_cbranch_vccnz .LBB51_531
; %bb.530:
	buffer_load_dword v108, v107, s[0:3], 0 offen
	ds_read_b32 v109, v106
	s_waitcnt vmcnt(0) lgkmcnt(0)
	v_mul_f32_e32 v108, v108, v109
	s_cbranch_execz .LBB51_532
	s_branch .LBB51_533
.LBB51_531:
                                        ; implicit-def: $vgpr108
.LBB51_532:
	ds_read_b32 v108, v106
.LBB51_533:
	v_cmp_ne_u32_e32 vcc, 3, v0
	s_and_saveexec_b64 s[8:9], vcc
	s_cbranch_execz .LBB51_537
; %bb.534:
	s_mov_b32 s10, 0
	v_add_u32_e32 v109, 0xd4, v105
	v_add3_u32 v110, v105, s10, 4
	s_mov_b64 s[10:11], 0
	v_mov_b32_e32 v111, v0
.LBB51_535:                             ; =>This Inner Loop Header: Depth=1
	buffer_load_dword v112, v110, s[0:3], 0 offen
	ds_read_b32 v113, v109
	v_add_u32_e32 v111, 1, v111
	v_cmp_lt_u32_e32 vcc, 2, v111
	v_add_u32_e32 v109, 4, v109
	v_add_u32_e32 v110, 4, v110
	s_or_b64 s[10:11], vcc, s[10:11]
	s_waitcnt vmcnt(0) lgkmcnt(0)
	v_fmac_f32_e32 v108, v112, v113
	s_andn2_b64 exec, exec, s[10:11]
	s_cbranch_execnz .LBB51_535
; %bb.536:
	s_or_b64 exec, exec, s[10:11]
.LBB51_537:
	s_or_b64 exec, exec, s[8:9]
	v_mov_b32_e32 v109, 0
	ds_read_b32 v109, v109 offset:16
	s_waitcnt lgkmcnt(0)
	v_mul_f32_e32 v108, v108, v109
	buffer_store_dword v108, off, s[0:3], 0 offset:16
.LBB51_538:
	s_or_b64 exec, exec, s[6:7]
	buffer_load_dword v108, off, s[0:3], 0 offset:20
	v_cmp_gt_u32_e32 vcc, 5, v0
	s_waitcnt vmcnt(0)
	ds_write_b32 v106, v108
	s_waitcnt lgkmcnt(0)
	; wave barrier
	s_and_saveexec_b64 s[6:7], vcc
	s_cbranch_execz .LBB51_548
; %bb.539:
	s_and_b64 vcc, exec, s[4:5]
	s_cbranch_vccnz .LBB51_541
; %bb.540:
	buffer_load_dword v108, v107, s[0:3], 0 offen
	ds_read_b32 v109, v106
	s_waitcnt vmcnt(0) lgkmcnt(0)
	v_mul_f32_e32 v108, v108, v109
	s_cbranch_execz .LBB51_542
	s_branch .LBB51_543
.LBB51_541:
                                        ; implicit-def: $vgpr108
.LBB51_542:
	ds_read_b32 v108, v106
.LBB51_543:
	v_cmp_ne_u32_e32 vcc, 4, v0
	s_and_saveexec_b64 s[8:9], vcc
	s_cbranch_execz .LBB51_547
; %bb.544:
	s_mov_b32 s10, 0
	v_add_u32_e32 v109, 0xd4, v105
	v_add3_u32 v110, v105, s10, 4
	s_mov_b64 s[10:11], 0
	v_mov_b32_e32 v111, v0
.LBB51_545:                             ; =>This Inner Loop Header: Depth=1
	buffer_load_dword v112, v110, s[0:3], 0 offen
	ds_read_b32 v113, v109
	v_add_u32_e32 v111, 1, v111
	v_cmp_lt_u32_e32 vcc, 3, v111
	v_add_u32_e32 v109, 4, v109
	v_add_u32_e32 v110, 4, v110
	s_or_b64 s[10:11], vcc, s[10:11]
	s_waitcnt vmcnt(0) lgkmcnt(0)
	v_fmac_f32_e32 v108, v112, v113
	s_andn2_b64 exec, exec, s[10:11]
	s_cbranch_execnz .LBB51_545
; %bb.546:
	s_or_b64 exec, exec, s[10:11]
.LBB51_547:
	s_or_b64 exec, exec, s[8:9]
	v_mov_b32_e32 v109, 0
	ds_read_b32 v109, v109 offset:20
	s_waitcnt lgkmcnt(0)
	v_mul_f32_e32 v108, v108, v109
	buffer_store_dword v108, off, s[0:3], 0 offset:20
.LBB51_548:
	;; [unrolled: 55-line block ×46, first 2 shown]
	s_or_b64 exec, exec, s[6:7]
	buffer_load_dword v108, off, s[0:3], 0 offset:200
	v_cmp_gt_u32_e64 s[6:7], 50, v0
	s_waitcnt vmcnt(0)
	ds_write_b32 v106, v108
	s_waitcnt lgkmcnt(0)
	; wave barrier
	s_and_saveexec_b64 s[8:9], s[6:7]
	s_cbranch_execz .LBB51_998
; %bb.989:
	s_and_b64 vcc, exec, s[4:5]
	s_cbranch_vccnz .LBB51_991
; %bb.990:
	buffer_load_dword v108, v107, s[0:3], 0 offen
	ds_read_b32 v109, v106
	s_waitcnt vmcnt(0) lgkmcnt(0)
	v_mul_f32_e32 v108, v108, v109
	s_cbranch_execz .LBB51_992
	s_branch .LBB51_993
.LBB51_991:
                                        ; implicit-def: $vgpr108
.LBB51_992:
	ds_read_b32 v108, v106
.LBB51_993:
	v_cmp_ne_u32_e32 vcc, 49, v0
	s_and_saveexec_b64 s[10:11], vcc
	s_cbranch_execz .LBB51_997
; %bb.994:
	s_mov_b32 s12, 0
	v_add_u32_e32 v109, 0xd4, v105
	v_add3_u32 v110, v105, s12, 4
	s_mov_b64 s[12:13], 0
	v_mov_b32_e32 v111, v0
.LBB51_995:                             ; =>This Inner Loop Header: Depth=1
	buffer_load_dword v112, v110, s[0:3], 0 offen
	ds_read_b32 v113, v109
	v_add_u32_e32 v111, 1, v111
	v_cmp_lt_u32_e32 vcc, 48, v111
	v_add_u32_e32 v109, 4, v109
	v_add_u32_e32 v110, 4, v110
	s_or_b64 s[12:13], vcc, s[12:13]
	s_waitcnt vmcnt(0) lgkmcnt(0)
	v_fmac_f32_e32 v108, v112, v113
	s_andn2_b64 exec, exec, s[12:13]
	s_cbranch_execnz .LBB51_995
; %bb.996:
	s_or_b64 exec, exec, s[12:13]
.LBB51_997:
	s_or_b64 exec, exec, s[10:11]
	v_mov_b32_e32 v109, 0
	ds_read_b32 v109, v109 offset:200
	s_waitcnt lgkmcnt(0)
	v_mul_f32_e32 v108, v108, v109
	buffer_store_dword v108, off, s[0:3], 0 offset:200
.LBB51_998:
	s_or_b64 exec, exec, s[8:9]
	buffer_load_dword v108, off, s[0:3], 0 offset:204
	v_cmp_ne_u32_e32 vcc, 51, v0
	s_waitcnt vmcnt(0)
	ds_write_b32 v106, v108
	s_waitcnt lgkmcnt(0)
	; wave barrier
	s_and_saveexec_b64 s[8:9], vcc
	s_cbranch_execz .LBB51_1008
; %bb.999:
	s_and_b64 vcc, exec, s[4:5]
	s_cbranch_vccnz .LBB51_1001
; %bb.1000:
	buffer_load_dword v107, v107, s[0:3], 0 offen
	ds_read_b32 v108, v106
	s_waitcnt vmcnt(0) lgkmcnt(0)
	v_mul_f32_e32 v107, v107, v108
	s_cbranch_execz .LBB51_1002
	s_branch .LBB51_1003
.LBB51_1001:
                                        ; implicit-def: $vgpr107
.LBB51_1002:
	ds_read_b32 v107, v106
.LBB51_1003:
	s_and_saveexec_b64 s[4:5], s[6:7]
	s_cbranch_execz .LBB51_1007
; %bb.1004:
	s_mov_b32 s6, 0
	v_add_u32_e32 v106, 0xd4, v105
	v_add3_u32 v105, v105, s6, 4
	s_mov_b64 s[6:7], 0
.LBB51_1005:                            ; =>This Inner Loop Header: Depth=1
	buffer_load_dword v108, v105, s[0:3], 0 offen
	ds_read_b32 v109, v106
	v_add_u32_e32 v0, 1, v0
	v_cmp_lt_u32_e32 vcc, 49, v0
	v_add_u32_e32 v106, 4, v106
	v_add_u32_e32 v105, 4, v105
	s_or_b64 s[6:7], vcc, s[6:7]
	s_waitcnt vmcnt(0) lgkmcnt(0)
	v_fmac_f32_e32 v107, v108, v109
	s_andn2_b64 exec, exec, s[6:7]
	s_cbranch_execnz .LBB51_1005
; %bb.1006:
	s_or_b64 exec, exec, s[6:7]
.LBB51_1007:
	s_or_b64 exec, exec, s[4:5]
	v_mov_b32_e32 v0, 0
	ds_read_b32 v0, v0 offset:204
	s_waitcnt lgkmcnt(0)
	v_mul_f32_e32 v0, v107, v0
	buffer_store_dword v0, off, s[0:3], 0 offset:204
.LBB51_1008:
	s_or_b64 exec, exec, s[8:9]
.LBB51_1009:
	buffer_load_dword v0, off, s[0:3], 0
	buffer_load_dword v105, off, s[0:3], 0 offset:4
	buffer_load_dword v106, off, s[0:3], 0 offset:8
	;; [unrolled: 1-line block ×15, first 2 shown]
	s_waitcnt vmcnt(15)
	global_store_dword v[101:102], v0, off
	s_waitcnt vmcnt(15)
	global_store_dword v[103:104], v105, off
	buffer_load_dword v0, off, s[0:3], 0 offset:64
	buffer_load_dword v101, off, s[0:3], 0 offset:68
	;; [unrolled: 1-line block ×3, first 2 shown]
	s_nop 0
	buffer_load_dword v103, off, s[0:3], 0 offset:76
	buffer_load_dword v104, off, s[0:3], 0 offset:80
	;; [unrolled: 1-line block ×5, first 2 shown]
	s_waitcnt vmcnt(23)
	global_store_dword v[1:2], v106, off
	s_waitcnt vmcnt(23)
	global_store_dword v[5:6], v107, off
	buffer_load_dword v1, off, s[0:3], 0 offset:96
	buffer_load_dword v2, off, s[0:3], 0 offset:100
	s_nop 0
	buffer_load_dword v5, off, s[0:3], 0 offset:104
	buffer_load_dword v6, off, s[0:3], 0 offset:108
	;; [unrolled: 1-line block ×6, first 2 shown]
	s_waitcnt vmcnt(31)
	global_store_dword v[3:4], v108, off
	s_waitcnt vmcnt(31)
	global_store_dword v[7:8], v109, off
	;; [unrolled: 2-line block ×3, first 2 shown]
	buffer_load_dword v3, off, s[0:3], 0 offset:128
	buffer_load_dword v4, off, s[0:3], 0 offset:132
	;; [unrolled: 1-line block ×4, first 2 shown]
	s_nop 0
	buffer_load_dword v11, off, s[0:3], 0 offset:144
	buffer_load_dword v12, off, s[0:3], 0 offset:148
	;; [unrolled: 1-line block ×4, first 2 shown]
	s_waitcnt vmcnt(39)
	global_store_dword v[9:10], v111, off
	s_waitcnt vmcnt(39)
	global_store_dword v[13:14], v112, off
	;; [unrolled: 2-line block ×3, first 2 shown]
	buffer_load_dword v9, off, s[0:3], 0 offset:160
	buffer_load_dword v10, off, s[0:3], 0 offset:164
	;; [unrolled: 1-line block ×4, first 2 shown]
	s_nop 0
	buffer_load_dword v17, off, s[0:3], 0 offset:176
	buffer_load_dword v18, off, s[0:3], 0 offset:180
	;; [unrolled: 1-line block ×4, first 2 shown]
	s_waitcnt vmcnt(47)
	global_store_dword v[15:16], v114, off
	buffer_load_dword v15, off, s[0:3], 0 offset:192
	s_nop 0
	buffer_load_dword v16, off, s[0:3], 0 offset:196
	buffer_load_dword v112, off, s[0:3], 0 offset:200
	;; [unrolled: 1-line block ×3, first 2 shown]
	s_waitcnt vmcnt(51)
	global_store_dword v[19:20], v115, off
	s_waitcnt vmcnt(51)
	global_store_dword v[21:22], v116, off
	;; [unrolled: 2-line block ×41, first 2 shown]
.LBB51_1010:
	s_endpgm
	.section	.rodata,"a",@progbits
	.p2align	6, 0x0
	.amdhsa_kernel _ZN9rocsolver6v33100L18trti2_kernel_smallILi52EfPfEEv13rocblas_fill_17rocblas_diagonal_T1_iil
		.amdhsa_group_segment_fixed_size 416
		.amdhsa_private_segment_fixed_size 224
		.amdhsa_kernarg_size 32
		.amdhsa_user_sgpr_count 6
		.amdhsa_user_sgpr_private_segment_buffer 1
		.amdhsa_user_sgpr_dispatch_ptr 0
		.amdhsa_user_sgpr_queue_ptr 0
		.amdhsa_user_sgpr_kernarg_segment_ptr 1
		.amdhsa_user_sgpr_dispatch_id 0
		.amdhsa_user_sgpr_flat_scratch_init 0
		.amdhsa_user_sgpr_private_segment_size 0
		.amdhsa_uses_dynamic_stack 0
		.amdhsa_system_sgpr_private_segment_wavefront_offset 1
		.amdhsa_system_sgpr_workgroup_id_x 1
		.amdhsa_system_sgpr_workgroup_id_y 0
		.amdhsa_system_sgpr_workgroup_id_z 0
		.amdhsa_system_sgpr_workgroup_info 0
		.amdhsa_system_vgpr_workitem_id 0
		.amdhsa_next_free_vgpr 124
		.amdhsa_next_free_sgpr 65
		.amdhsa_reserve_vcc 1
		.amdhsa_reserve_flat_scratch 0
		.amdhsa_float_round_mode_32 0
		.amdhsa_float_round_mode_16_64 0
		.amdhsa_float_denorm_mode_32 3
		.amdhsa_float_denorm_mode_16_64 3
		.amdhsa_dx10_clamp 1
		.amdhsa_ieee_mode 1
		.amdhsa_fp16_overflow 0
		.amdhsa_exception_fp_ieee_invalid_op 0
		.amdhsa_exception_fp_denorm_src 0
		.amdhsa_exception_fp_ieee_div_zero 0
		.amdhsa_exception_fp_ieee_overflow 0
		.amdhsa_exception_fp_ieee_underflow 0
		.amdhsa_exception_fp_ieee_inexact 0
		.amdhsa_exception_int_div_zero 0
	.end_amdhsa_kernel
	.section	.text._ZN9rocsolver6v33100L18trti2_kernel_smallILi52EfPfEEv13rocblas_fill_17rocblas_diagonal_T1_iil,"axG",@progbits,_ZN9rocsolver6v33100L18trti2_kernel_smallILi52EfPfEEv13rocblas_fill_17rocblas_diagonal_T1_iil,comdat
.Lfunc_end51:
	.size	_ZN9rocsolver6v33100L18trti2_kernel_smallILi52EfPfEEv13rocblas_fill_17rocblas_diagonal_T1_iil, .Lfunc_end51-_ZN9rocsolver6v33100L18trti2_kernel_smallILi52EfPfEEv13rocblas_fill_17rocblas_diagonal_T1_iil
                                        ; -- End function
	.set _ZN9rocsolver6v33100L18trti2_kernel_smallILi52EfPfEEv13rocblas_fill_17rocblas_diagonal_T1_iil.num_vgpr, 124
	.set _ZN9rocsolver6v33100L18trti2_kernel_smallILi52EfPfEEv13rocblas_fill_17rocblas_diagonal_T1_iil.num_agpr, 0
	.set _ZN9rocsolver6v33100L18trti2_kernel_smallILi52EfPfEEv13rocblas_fill_17rocblas_diagonal_T1_iil.numbered_sgpr, 65
	.set _ZN9rocsolver6v33100L18trti2_kernel_smallILi52EfPfEEv13rocblas_fill_17rocblas_diagonal_T1_iil.num_named_barrier, 0
	.set _ZN9rocsolver6v33100L18trti2_kernel_smallILi52EfPfEEv13rocblas_fill_17rocblas_diagonal_T1_iil.private_seg_size, 224
	.set _ZN9rocsolver6v33100L18trti2_kernel_smallILi52EfPfEEv13rocblas_fill_17rocblas_diagonal_T1_iil.uses_vcc, 1
	.set _ZN9rocsolver6v33100L18trti2_kernel_smallILi52EfPfEEv13rocblas_fill_17rocblas_diagonal_T1_iil.uses_flat_scratch, 0
	.set _ZN9rocsolver6v33100L18trti2_kernel_smallILi52EfPfEEv13rocblas_fill_17rocblas_diagonal_T1_iil.has_dyn_sized_stack, 0
	.set _ZN9rocsolver6v33100L18trti2_kernel_smallILi52EfPfEEv13rocblas_fill_17rocblas_diagonal_T1_iil.has_recursion, 0
	.set _ZN9rocsolver6v33100L18trti2_kernel_smallILi52EfPfEEv13rocblas_fill_17rocblas_diagonal_T1_iil.has_indirect_call, 0
	.section	.AMDGPU.csdata,"",@progbits
; Kernel info:
; codeLenInByte = 25300
; TotalNumSgprs: 69
; NumVgprs: 124
; ScratchSize: 224
; MemoryBound: 0
; FloatMode: 240
; IeeeMode: 1
; LDSByteSize: 416 bytes/workgroup (compile time only)
; SGPRBlocks: 8
; VGPRBlocks: 30
; NumSGPRsForWavesPerEU: 69
; NumVGPRsForWavesPerEU: 124
; Occupancy: 2
; WaveLimiterHint : 0
; COMPUTE_PGM_RSRC2:SCRATCH_EN: 1
; COMPUTE_PGM_RSRC2:USER_SGPR: 6
; COMPUTE_PGM_RSRC2:TRAP_HANDLER: 0
; COMPUTE_PGM_RSRC2:TGID_X_EN: 1
; COMPUTE_PGM_RSRC2:TGID_Y_EN: 0
; COMPUTE_PGM_RSRC2:TGID_Z_EN: 0
; COMPUTE_PGM_RSRC2:TIDIG_COMP_CNT: 0
	.section	.text._ZN9rocsolver6v33100L18trti2_kernel_smallILi53EfPfEEv13rocblas_fill_17rocblas_diagonal_T1_iil,"axG",@progbits,_ZN9rocsolver6v33100L18trti2_kernel_smallILi53EfPfEEv13rocblas_fill_17rocblas_diagonal_T1_iil,comdat
	.globl	_ZN9rocsolver6v33100L18trti2_kernel_smallILi53EfPfEEv13rocblas_fill_17rocblas_diagonal_T1_iil ; -- Begin function _ZN9rocsolver6v33100L18trti2_kernel_smallILi53EfPfEEv13rocblas_fill_17rocblas_diagonal_T1_iil
	.p2align	8
	.type	_ZN9rocsolver6v33100L18trti2_kernel_smallILi53EfPfEEv13rocblas_fill_17rocblas_diagonal_T1_iil,@function
_ZN9rocsolver6v33100L18trti2_kernel_smallILi53EfPfEEv13rocblas_fill_17rocblas_diagonal_T1_iil: ; @_ZN9rocsolver6v33100L18trti2_kernel_smallILi53EfPfEEv13rocblas_fill_17rocblas_diagonal_T1_iil
; %bb.0:
	s_add_u32 s0, s0, s7
	s_addc_u32 s1, s1, 0
	v_cmp_gt_u32_e32 vcc, 53, v0
	s_and_saveexec_b64 s[8:9], vcc
	s_cbranch_execz .LBB52_1030
; %bb.1:
	s_load_dwordx8 s[8:15], s[4:5], 0x0
	s_ashr_i32 s7, s6, 31
	v_lshlrev_b32_e32 v107, 2, v0
	s_waitcnt lgkmcnt(0)
	s_ashr_i32 s5, s12, 31
	s_mov_b32 s4, s12
	s_mul_hi_u32 s12, s14, s6
	s_mul_i32 s7, s14, s7
	s_add_i32 s7, s12, s7
	s_mul_i32 s12, s15, s6
	s_add_i32 s7, s7, s12
	s_mul_i32 s6, s14, s6
	s_lshl_b64 s[6:7], s[6:7], 2
	s_add_u32 s6, s10, s6
	s_addc_u32 s7, s11, s7
	s_lshl_b64 s[4:5], s[4:5], 2
	s_add_u32 s4, s6, s4
	s_addc_u32 s5, s7, s5
	s_add_i32 s6, s13, s13
	v_add_u32_e32 v3, s6, v0
	v_ashrrev_i32_e32 v4, 31, v3
	v_lshlrev_b64 v[1:2], 2, v[3:4]
	v_add_u32_e32 v5, s13, v3
	v_mov_b32_e32 v4, s5
	v_add_co_u32_e32 v1, vcc, s4, v1
	v_ashrrev_i32_e32 v6, 31, v5
	v_addc_co_u32_e32 v2, vcc, v4, v2, vcc
	v_lshlrev_b64 v[3:4], 2, v[5:6]
	v_mov_b32_e32 v6, s5
	v_add_co_u32_e32 v3, vcc, s4, v3
	v_add_u32_e32 v5, s13, v5
	v_addc_co_u32_e32 v4, vcc, v6, v4, vcc
	v_ashrrev_i32_e32 v6, 31, v5
	v_lshlrev_b64 v[7:8], 2, v[5:6]
	v_add_u32_e32 v9, s13, v5
	v_mov_b32_e32 v6, s5
	v_add_co_u32_e32 v7, vcc, s4, v7
	v_ashrrev_i32_e32 v10, 31, v9
	v_addc_co_u32_e32 v8, vcc, v6, v8, vcc
	v_lshlrev_b64 v[5:6], 2, v[9:10]
	v_add_u32_e32 v11, s13, v9
	v_mov_b32_e32 v10, s5
	v_add_co_u32_e32 v5, vcc, s4, v5
	v_ashrrev_i32_e32 v12, 31, v11
	v_addc_co_u32_e32 v6, vcc, v10, v6, vcc
	v_lshlrev_b64 v[9:10], 2, v[11:12]
	v_mov_b32_e32 v12, s5
	v_add_co_u32_e32 v9, vcc, s4, v9
	v_add_u32_e32 v11, s13, v11
	v_addc_co_u32_e32 v10, vcc, v12, v10, vcc
	v_ashrrev_i32_e32 v12, 31, v11
	v_lshlrev_b64 v[13:14], 2, v[11:12]
	v_add_u32_e32 v15, s13, v11
	v_mov_b32_e32 v12, s5
	v_add_co_u32_e32 v13, vcc, s4, v13
	v_ashrrev_i32_e32 v16, 31, v15
	v_addc_co_u32_e32 v14, vcc, v12, v14, vcc
	v_lshlrev_b64 v[11:12], 2, v[15:16]
	v_mov_b32_e32 v16, s5
	v_add_co_u32_e32 v11, vcc, s4, v11
	v_add_u32_e32 v15, s13, v15
	v_addc_co_u32_e32 v12, vcc, v16, v12, vcc
	v_ashrrev_i32_e32 v16, 31, v15
	v_lshlrev_b64 v[17:18], 2, v[15:16]
	v_add_u32_e32 v19, s13, v15
	v_mov_b32_e32 v16, s5
	v_add_co_u32_e32 v17, vcc, s4, v17
	v_ashrrev_i32_e32 v20, 31, v19
	v_addc_co_u32_e32 v18, vcc, v16, v18, vcc
	v_lshlrev_b64 v[15:16], 2, v[19:20]
	v_mov_b32_e32 v21, s5
	v_add_co_u32_e32 v15, vcc, s4, v15
	v_addc_co_u32_e32 v16, vcc, v21, v16, vcc
	v_add_u32_e32 v21, s13, v19
	v_ashrrev_i32_e32 v22, 31, v21
	v_lshlrev_b64 v[19:20], 2, v[21:22]
	v_mov_b32_e32 v23, s5
	v_add_co_u32_e32 v19, vcc, s4, v19
	v_addc_co_u32_e32 v20, vcc, v23, v20, vcc
	v_add_u32_e32 v23, s13, v21
	v_ashrrev_i32_e32 v24, 31, v23
	;; [unrolled: 6-line block ×33, first 2 shown]
	v_lshlrev_b64 v[83:84], 2, v[85:86]
	v_mov_b32_e32 v87, s5
	v_add_co_u32_e32 v83, vcc, s4, v83
	v_addc_co_u32_e32 v84, vcc, v87, v84, vcc
	v_add_u32_e32 v87, s13, v85
	v_mov_b32_e32 v85, s5
	v_add_co_u32_e32 v103, vcc, s4, v107
	s_ashr_i32 s7, s13, 31
	s_mov_b32 s6, s13
	v_addc_co_u32_e32 v104, vcc, 0, v85, vcc
	s_lshl_b64 s[6:7], s[6:7], 2
	v_mov_b32_e32 v85, s7
	v_add_co_u32_e32 v105, vcc, s6, v103
	global_load_dword v108, v107, s[4:5]
	global_load_dword v110, v[1:2], off
	v_addc_co_u32_e32 v106, vcc, v104, v85, vcc
	global_load_dword v109, v[105:106], off
	global_load_dword v111, v[3:4], off
	;; [unrolled: 1-line block ×5, first 2 shown]
	v_ashrrev_i32_e32 v88, 31, v87
	v_lshlrev_b64 v[85:86], 2, v[87:88]
	v_mov_b32_e32 v89, s5
	v_add_co_u32_e32 v85, vcc, s4, v85
	v_addc_co_u32_e32 v86, vcc, v89, v86, vcc
	v_add_u32_e32 v89, s13, v87
	v_ashrrev_i32_e32 v90, 31, v89
	v_lshlrev_b64 v[87:88], 2, v[89:90]
	v_mov_b32_e32 v91, s5
	v_add_co_u32_e32 v87, vcc, s4, v87
	v_addc_co_u32_e32 v88, vcc, v91, v88, vcc
	v_add_u32_e32 v91, s13, v89
	;; [unrolled: 6-line block ×7, first 2 shown]
	v_ashrrev_i32_e32 v102, 31, v101
	v_lshlrev_b64 v[99:100], 2, v[101:102]
	v_add_u32_e32 v101, s13, v101
	v_ashrrev_i32_e32 v102, 31, v101
	v_mov_b32_e32 v115, s5
	v_add_co_u32_e32 v99, vcc, s4, v99
	v_lshlrev_b64 v[101:102], 2, v[101:102]
	v_addc_co_u32_e32 v100, vcc, v115, v100, vcc
	v_add_co_u32_e32 v101, vcc, s4, v101
	v_addc_co_u32_e32 v102, vcc, v115, v102, vcc
	global_load_dword v115, v[101:102], off
	s_cmpk_lg_i32 s9, 0x84
	s_movk_i32 s12, 0x84
	s_cselect_b64 s[10:11], -1, 0
	s_waitcnt vmcnt(7)
	buffer_store_dword v108, off, s[0:3], 0
	global_load_dword v108, v[13:14], off
	s_nop 0
	global_load_dword v116, v[11:12], off
	s_cmpk_eq_i32 s9, 0x84
	s_waitcnt vmcnt(8)
	buffer_store_dword v109, off, s[0:3], 0 offset:4
	global_load_dword v109, v[17:18], off
	s_nop 0
	global_load_dword v117, v[15:16], off
	global_load_dword v118, v[19:20], off
	;; [unrolled: 1-line block ×7, first 2 shown]
	s_nop 0
	buffer_store_dword v110, off, s[0:3], 0 offset:8
	global_load_dword v110, v[31:32], off
	s_waitcnt vmcnt(18)
	buffer_store_dword v111, off, s[0:3], 0 offset:12
	s_waitcnt vmcnt(18)
	buffer_store_dword v112, off, s[0:3], 0 offset:16
	;; [unrolled: 2-line block ×4, first 2 shown]
	global_load_dword v111, v[33:34], off
	global_load_dword v112, v[35:36], off
	;; [unrolled: 1-line block ×3, first 2 shown]
	s_nop 0
	global_load_dword v114, v[39:40], off
	s_waitcnt vmcnt(20)
	buffer_store_dword v108, off, s[0:3], 0 offset:28
	s_waitcnt vmcnt(20)
	buffer_store_dword v116, off, s[0:3], 0 offset:32
	;; [unrolled: 2-line block ×10, first 2 shown]
	global_load_dword v108, v[41:42], off
	global_load_dword v109, v[43:44], off
	;; [unrolled: 1-line block ×3, first 2 shown]
	s_waitcnt vmcnt(21)
	buffer_store_dword v110, off, s[0:3], 0 offset:68
	global_load_dword v110, v[47:48], off
	s_nop 0
	global_load_dword v117, v[49:50], off
	global_load_dword v118, v[51:52], off
	;; [unrolled: 1-line block ×7, first 2 shown]
	s_waitcnt vmcnt(25)
	buffer_store_dword v111, off, s[0:3], 0 offset:72
	s_waitcnt vmcnt(25)
	buffer_store_dword v112, off, s[0:3], 0 offset:76
	;; [unrolled: 2-line block ×4, first 2 shown]
	global_load_dword v111, v[63:64], off
	global_load_dword v112, v[65:66], off
	;; [unrolled: 1-line block ×3, first 2 shown]
	s_nop 0
	global_load_dword v114, v[69:70], off
	s_waitcnt vmcnt(19)
	buffer_store_dword v108, off, s[0:3], 0 offset:88
	s_waitcnt vmcnt(19)
	buffer_store_dword v109, off, s[0:3], 0 offset:92
	;; [unrolled: 2-line block ×11, first 2 shown]
	global_load_dword v108, v[71:72], off
	global_load_dword v109, v[73:74], off
	;; [unrolled: 1-line block ×4, first 2 shown]
	s_waitcnt vmcnt(18)
	buffer_store_dword v111, off, s[0:3], 0 offset:132
	s_waitcnt vmcnt(18)
	buffer_store_dword v112, off, s[0:3], 0 offset:136
	;; [unrolled: 2-line block ×4, first 2 shown]
	global_load_dword v111, v[79:80], off
	global_load_dword v112, v[81:82], off
	;; [unrolled: 1-line block ×3, first 2 shown]
	s_nop 0
	global_load_dword v114, v[85:86], off
	global_load_dword v117, v[87:88], off
	;; [unrolled: 1-line block ×8, first 2 shown]
	s_waitcnt vmcnt(18)
	buffer_store_dword v108, off, s[0:3], 0 offset:148
	s_waitcnt vmcnt(18)
	buffer_store_dword v109, off, s[0:3], 0 offset:152
	s_waitcnt vmcnt(18)
	buffer_store_dword v110, off, s[0:3], 0 offset:156
	s_waitcnt vmcnt(18)
	buffer_store_dword v116, off, s[0:3], 0 offset:160
	s_waitcnt vmcnt(14)
	buffer_store_dword v111, off, s[0:3], 0 offset:164
	s_waitcnt vmcnt(14)
	buffer_store_dword v112, off, s[0:3], 0 offset:168
	s_waitcnt vmcnt(14)
	buffer_store_dword v113, off, s[0:3], 0 offset:172
	s_waitcnt vmcnt(14)
	buffer_store_dword v114, off, s[0:3], 0 offset:176
	s_waitcnt vmcnt(14)
	buffer_store_dword v117, off, s[0:3], 0 offset:180
	s_waitcnt vmcnt(14)
	buffer_store_dword v118, off, s[0:3], 0 offset:184
	s_waitcnt vmcnt(14)
	buffer_store_dword v119, off, s[0:3], 0 offset:188
	s_waitcnt vmcnt(14)
	buffer_store_dword v120, off, s[0:3], 0 offset:192
	s_waitcnt vmcnt(14)
	buffer_store_dword v121, off, s[0:3], 0 offset:196
	s_waitcnt vmcnt(14)
	buffer_store_dword v122, off, s[0:3], 0 offset:200
	s_waitcnt vmcnt(14)
	buffer_store_dword v123, off, s[0:3], 0 offset:204
	buffer_store_dword v115, off, s[0:3], 0 offset:208
	v_mov_b32_e32 v108, -1.0
	s_cbranch_scc1 .LBB52_3
; %bb.2:
	v_mov_b32_e32 v108, 0
	v_lshl_add_u32 v108, v0, 2, v108
	buffer_load_dword v109, v108, s[0:3], 0 offen
	s_waitcnt vmcnt(0)
	v_div_scale_f32 v110, s[4:5], v109, v109, 1.0
	v_div_scale_f32 v111, vcc, 1.0, v109, 1.0
	v_rcp_f32_e32 v112, v110
	v_fma_f32 v113, -v110, v112, 1.0
	v_fmac_f32_e32 v112, v113, v112
	v_mul_f32_e32 v113, v111, v112
	v_fma_f32 v114, -v110, v113, v111
	v_fmac_f32_e32 v113, v114, v112
	v_fma_f32 v110, -v110, v113, v111
	v_div_fmas_f32 v110, v110, v112, v113
	v_div_fixup_f32 v109, v110, v109, 1.0
	buffer_store_dword v109, v108, s[0:3], 0 offen
	v_xor_b32_e32 v108, 0x80000000, v109
.LBB52_3:
	ds_write_b32 v107, v108
	s_cmpk_eq_i32 s8, 0x79
	v_add_u32_e32 v108, 0xe0, v107
	v_mov_b32_e32 v109, v107
	s_mov_b64 s[4:5], -1
	s_cbranch_scc1 .LBB52_517
; %bb.4:
	buffer_load_dword v110, off, s[0:3], 0 offset:204
	s_movk_i32 s30, 0x44
	s_movk_i32 s31, 0x48
	;; [unrolled: 1-line block ×33, first 2 shown]
	v_cmp_eq_u32_e64 s[4:5], 52, v0
	s_waitcnt vmcnt(0)
	ds_write_b32 v108, v110
	s_waitcnt lgkmcnt(0)
	; wave barrier
	s_and_saveexec_b64 s[6:7], s[4:5]
	s_cbranch_execz .LBB52_10
; %bb.5:
	s_and_b64 vcc, exec, s[10:11]
	s_cbranch_vccz .LBB52_7
; %bb.6:
	buffer_load_dword v110, v109, s[0:3], 0 offen
	ds_read_b32 v111, v108
	s_waitcnt vmcnt(0) lgkmcnt(0)
	v_mul_f32_e32 v110, v110, v111
	s_cbranch_execz .LBB52_8
	s_branch .LBB52_9
.LBB52_7:
                                        ; implicit-def: $vgpr110
.LBB52_8:
	ds_read_b32 v110, v108
.LBB52_9:
	v_mov_b32_e32 v111, 0
	ds_read_b32 v111, v111 offset:204
	s_waitcnt lgkmcnt(0)
	v_mul_f32_e32 v110, v110, v111
	buffer_store_dword v110, off, s[0:3], 0 offset:204
.LBB52_10:
	s_or_b64 exec, exec, s[6:7]
	buffer_load_dword v110, off, s[0:3], 0 offset:200
	s_or_b32 s14, 0, 4
	s_or_b32 s15, 0, 8
	;; [unrolled: 1-line block ×3, first 2 shown]
	s_mov_b32 s17, 16
	s_mov_b32 s18, 20
	;; [unrolled: 1-line block ×15, first 2 shown]
	v_cmp_lt_u32_e64 s[6:7], 50, v0
	s_waitcnt vmcnt(0)
	ds_write_b32 v108, v110
	s_waitcnt lgkmcnt(0)
	; wave barrier
	s_and_saveexec_b64 s[8:9], s[6:7]
	s_cbranch_execz .LBB52_16
; %bb.11:
	s_andn2_b64 vcc, exec, s[10:11]
	s_cbranch_vccnz .LBB52_13
; %bb.12:
	buffer_load_dword v110, v109, s[0:3], 0 offen
	ds_read_b32 v111, v108
	s_waitcnt vmcnt(0) lgkmcnt(0)
	v_mul_f32_e32 v110, v110, v111
	s_cbranch_execz .LBB52_14
	s_branch .LBB52_15
.LBB52_13:
                                        ; implicit-def: $vgpr110
.LBB52_14:
	ds_read_b32 v110, v108
.LBB52_15:
	buffer_load_dword v113, off, s[0:3], 0 offset:204
	v_mov_b32_e32 v111, 0
	ds_read2_b32 v[111:112], v111 offset0:50 offset1:107
	s_waitcnt vmcnt(0) lgkmcnt(0)
	v_fma_f32 v112, v113, v112, v110
	v_cndmask_b32_e64 v110, v110, v112, s[4:5]
	v_mul_f32_e32 v110, v110, v111
	buffer_store_dword v110, off, s[0:3], 0 offset:200
.LBB52_16:
	s_or_b64 exec, exec, s[8:9]
	buffer_load_dword v110, off, s[0:3], 0 offset:196
	v_cmp_lt_u32_e64 s[4:5], 49, v0
	s_waitcnt vmcnt(0)
	ds_write_b32 v108, v110
	s_waitcnt lgkmcnt(0)
	; wave barrier
	s_and_saveexec_b64 s[8:9], s[4:5]
	s_cbranch_execz .LBB52_26
; %bb.17:
	s_andn2_b64 vcc, exec, s[10:11]
	s_cbranch_vccnz .LBB52_19
; %bb.18:
	buffer_load_dword v110, v109, s[0:3], 0 offen
	ds_read_b32 v111, v108
	s_waitcnt vmcnt(0) lgkmcnt(0)
	v_mul_f32_e32 v110, v110, v111
	s_cbranch_execz .LBB52_20
	s_branch .LBB52_21
.LBB52_19:
                                        ; implicit-def: $vgpr110
.LBB52_20:
	ds_read_b32 v110, v108
.LBB52_21:
	s_and_saveexec_b64 s[12:13], s[6:7]
	s_cbranch_execz .LBB52_25
; %bb.22:
	v_subrev_u32_e32 v111, 50, v0
	s_movk_i32 s65, 0x1a8
	s_mov_b64 s[6:7], 0
.LBB52_23:                              ; =>This Inner Loop Header: Depth=1
	v_mov_b32_e32 v112, s64
	buffer_load_dword v112, v112, s[0:3], 0 offen
	v_mov_b32_e32 v113, s65
	ds_read_b32 v113, v113
	v_add_u32_e32 v111, -1, v111
	s_add_i32 s65, s65, 4
	s_add_i32 s64, s64, 4
	v_cmp_eq_u32_e32 vcc, 0, v111
	s_or_b64 s[6:7], vcc, s[6:7]
	s_waitcnt vmcnt(0) lgkmcnt(0)
	v_fmac_f32_e32 v110, v112, v113
	s_andn2_b64 exec, exec, s[6:7]
	s_cbranch_execnz .LBB52_23
; %bb.24:
	s_or_b64 exec, exec, s[6:7]
.LBB52_25:
	s_or_b64 exec, exec, s[12:13]
	v_mov_b32_e32 v111, 0
	ds_read_b32 v111, v111 offset:196
	s_waitcnt lgkmcnt(0)
	v_mul_f32_e32 v110, v110, v111
	buffer_store_dword v110, off, s[0:3], 0 offset:196
.LBB52_26:
	s_or_b64 exec, exec, s[8:9]
	buffer_load_dword v110, off, s[0:3], 0 offset:192
	v_cmp_lt_u32_e64 s[6:7], 48, v0
	s_waitcnt vmcnt(0)
	ds_write_b32 v108, v110
	s_waitcnt lgkmcnt(0)
	; wave barrier
	s_and_saveexec_b64 s[8:9], s[6:7]
	s_cbranch_execz .LBB52_36
; %bb.27:
	s_andn2_b64 vcc, exec, s[10:11]
	s_cbranch_vccnz .LBB52_29
; %bb.28:
	buffer_load_dword v110, v109, s[0:3], 0 offen
	ds_read_b32 v111, v108
	s_waitcnt vmcnt(0) lgkmcnt(0)
	v_mul_f32_e32 v110, v110, v111
	s_cbranch_execz .LBB52_30
	s_branch .LBB52_31
.LBB52_29:
                                        ; implicit-def: $vgpr110
.LBB52_30:
	ds_read_b32 v110, v108
.LBB52_31:
	s_and_saveexec_b64 s[12:13], s[4:5]
	s_cbranch_execz .LBB52_35
; %bb.32:
	v_subrev_u32_e32 v111, 49, v0
	s_movk_i32 s64, 0x1a4
	s_mov_b64 s[4:5], 0
.LBB52_33:                              ; =>This Inner Loop Header: Depth=1
	v_mov_b32_e32 v112, s63
	buffer_load_dword v112, v112, s[0:3], 0 offen
	v_mov_b32_e32 v113, s64
	ds_read_b32 v113, v113
	v_add_u32_e32 v111, -1, v111
	s_add_i32 s64, s64, 4
	s_add_i32 s63, s63, 4
	v_cmp_eq_u32_e32 vcc, 0, v111
	s_or_b64 s[4:5], vcc, s[4:5]
	s_waitcnt vmcnt(0) lgkmcnt(0)
	v_fmac_f32_e32 v110, v112, v113
	s_andn2_b64 exec, exec, s[4:5]
	s_cbranch_execnz .LBB52_33
; %bb.34:
	s_or_b64 exec, exec, s[4:5]
.LBB52_35:
	s_or_b64 exec, exec, s[12:13]
	v_mov_b32_e32 v111, 0
	ds_read_b32 v111, v111 offset:192
	s_waitcnt lgkmcnt(0)
	v_mul_f32_e32 v110, v110, v111
	buffer_store_dword v110, off, s[0:3], 0 offset:192
.LBB52_36:
	s_or_b64 exec, exec, s[8:9]
	buffer_load_dword v110, off, s[0:3], 0 offset:188
	v_cmp_lt_u32_e64 s[4:5], 47, v0
	s_waitcnt vmcnt(0)
	ds_write_b32 v108, v110
	s_waitcnt lgkmcnt(0)
	; wave barrier
	s_and_saveexec_b64 s[8:9], s[4:5]
	s_cbranch_execz .LBB52_46
; %bb.37:
	s_andn2_b64 vcc, exec, s[10:11]
	s_cbranch_vccnz .LBB52_39
; %bb.38:
	buffer_load_dword v110, v109, s[0:3], 0 offen
	ds_read_b32 v111, v108
	s_waitcnt vmcnt(0) lgkmcnt(0)
	v_mul_f32_e32 v110, v110, v111
	s_cbranch_execz .LBB52_40
	s_branch .LBB52_41
.LBB52_39:
                                        ; implicit-def: $vgpr110
.LBB52_40:
	ds_read_b32 v110, v108
.LBB52_41:
	s_and_saveexec_b64 s[12:13], s[6:7]
	s_cbranch_execz .LBB52_45
; %bb.42:
	v_subrev_u32_e32 v111, 48, v0
	s_movk_i32 s63, 0x1a0
	s_mov_b64 s[6:7], 0
.LBB52_43:                              ; =>This Inner Loop Header: Depth=1
	v_mov_b32_e32 v112, s62
	buffer_load_dword v112, v112, s[0:3], 0 offen
	v_mov_b32_e32 v113, s63
	ds_read_b32 v113, v113
	v_add_u32_e32 v111, -1, v111
	s_add_i32 s63, s63, 4
	s_add_i32 s62, s62, 4
	v_cmp_eq_u32_e32 vcc, 0, v111
	s_or_b64 s[6:7], vcc, s[6:7]
	s_waitcnt vmcnt(0) lgkmcnt(0)
	v_fmac_f32_e32 v110, v112, v113
	s_andn2_b64 exec, exec, s[6:7]
	s_cbranch_execnz .LBB52_43
; %bb.44:
	s_or_b64 exec, exec, s[6:7]
.LBB52_45:
	s_or_b64 exec, exec, s[12:13]
	v_mov_b32_e32 v111, 0
	ds_read_b32 v111, v111 offset:188
	s_waitcnt lgkmcnt(0)
	v_mul_f32_e32 v110, v110, v111
	buffer_store_dword v110, off, s[0:3], 0 offset:188
.LBB52_46:
	s_or_b64 exec, exec, s[8:9]
	buffer_load_dword v110, off, s[0:3], 0 offset:184
	v_cmp_lt_u32_e64 s[6:7], 46, v0
	s_waitcnt vmcnt(0)
	ds_write_b32 v108, v110
	s_waitcnt lgkmcnt(0)
	; wave barrier
	s_and_saveexec_b64 s[8:9], s[6:7]
	s_cbranch_execz .LBB52_56
; %bb.47:
	s_andn2_b64 vcc, exec, s[10:11]
	s_cbranch_vccnz .LBB52_49
; %bb.48:
	buffer_load_dword v110, v109, s[0:3], 0 offen
	ds_read_b32 v111, v108
	s_waitcnt vmcnt(0) lgkmcnt(0)
	v_mul_f32_e32 v110, v110, v111
	s_cbranch_execz .LBB52_50
	s_branch .LBB52_51
.LBB52_49:
                                        ; implicit-def: $vgpr110
.LBB52_50:
	ds_read_b32 v110, v108
.LBB52_51:
	s_and_saveexec_b64 s[12:13], s[4:5]
	s_cbranch_execz .LBB52_55
; %bb.52:
	v_subrev_u32_e32 v111, 47, v0
	s_movk_i32 s62, 0x19c
	s_mov_b64 s[4:5], 0
.LBB52_53:                              ; =>This Inner Loop Header: Depth=1
	v_mov_b32_e32 v112, s61
	buffer_load_dword v112, v112, s[0:3], 0 offen
	v_mov_b32_e32 v113, s62
	ds_read_b32 v113, v113
	v_add_u32_e32 v111, -1, v111
	s_add_i32 s62, s62, 4
	s_add_i32 s61, s61, 4
	v_cmp_eq_u32_e32 vcc, 0, v111
	s_or_b64 s[4:5], vcc, s[4:5]
	s_waitcnt vmcnt(0) lgkmcnt(0)
	v_fmac_f32_e32 v110, v112, v113
	s_andn2_b64 exec, exec, s[4:5]
	s_cbranch_execnz .LBB52_53
; %bb.54:
	s_or_b64 exec, exec, s[4:5]
.LBB52_55:
	s_or_b64 exec, exec, s[12:13]
	v_mov_b32_e32 v111, 0
	ds_read_b32 v111, v111 offset:184
	s_waitcnt lgkmcnt(0)
	v_mul_f32_e32 v110, v110, v111
	buffer_store_dword v110, off, s[0:3], 0 offset:184
.LBB52_56:
	s_or_b64 exec, exec, s[8:9]
	buffer_load_dword v110, off, s[0:3], 0 offset:180
	v_cmp_lt_u32_e64 s[4:5], 45, v0
	s_waitcnt vmcnt(0)
	ds_write_b32 v108, v110
	s_waitcnt lgkmcnt(0)
	; wave barrier
	s_and_saveexec_b64 s[8:9], s[4:5]
	s_cbranch_execz .LBB52_66
; %bb.57:
	s_andn2_b64 vcc, exec, s[10:11]
	s_cbranch_vccnz .LBB52_59
; %bb.58:
	buffer_load_dword v110, v109, s[0:3], 0 offen
	ds_read_b32 v111, v108
	s_waitcnt vmcnt(0) lgkmcnt(0)
	v_mul_f32_e32 v110, v110, v111
	s_cbranch_execz .LBB52_60
	s_branch .LBB52_61
.LBB52_59:
                                        ; implicit-def: $vgpr110
.LBB52_60:
	ds_read_b32 v110, v108
.LBB52_61:
	s_and_saveexec_b64 s[12:13], s[6:7]
	s_cbranch_execz .LBB52_65
; %bb.62:
	v_subrev_u32_e32 v111, 46, v0
	s_movk_i32 s61, 0x198
	s_mov_b64 s[6:7], 0
.LBB52_63:                              ; =>This Inner Loop Header: Depth=1
	v_mov_b32_e32 v112, s60
	buffer_load_dword v112, v112, s[0:3], 0 offen
	v_mov_b32_e32 v113, s61
	ds_read_b32 v113, v113
	v_add_u32_e32 v111, -1, v111
	s_add_i32 s61, s61, 4
	s_add_i32 s60, s60, 4
	v_cmp_eq_u32_e32 vcc, 0, v111
	s_or_b64 s[6:7], vcc, s[6:7]
	s_waitcnt vmcnt(0) lgkmcnt(0)
	v_fmac_f32_e32 v110, v112, v113
	s_andn2_b64 exec, exec, s[6:7]
	s_cbranch_execnz .LBB52_63
; %bb.64:
	s_or_b64 exec, exec, s[6:7]
.LBB52_65:
	s_or_b64 exec, exec, s[12:13]
	v_mov_b32_e32 v111, 0
	ds_read_b32 v111, v111 offset:180
	s_waitcnt lgkmcnt(0)
	v_mul_f32_e32 v110, v110, v111
	buffer_store_dword v110, off, s[0:3], 0 offset:180
.LBB52_66:
	s_or_b64 exec, exec, s[8:9]
	buffer_load_dword v110, off, s[0:3], 0 offset:176
	v_cmp_lt_u32_e64 s[6:7], 44, v0
	s_waitcnt vmcnt(0)
	ds_write_b32 v108, v110
	s_waitcnt lgkmcnt(0)
	; wave barrier
	s_and_saveexec_b64 s[8:9], s[6:7]
	s_cbranch_execz .LBB52_76
; %bb.67:
	s_andn2_b64 vcc, exec, s[10:11]
	s_cbranch_vccnz .LBB52_69
; %bb.68:
	buffer_load_dword v110, v109, s[0:3], 0 offen
	ds_read_b32 v111, v108
	s_waitcnt vmcnt(0) lgkmcnt(0)
	v_mul_f32_e32 v110, v110, v111
	s_cbranch_execz .LBB52_70
	s_branch .LBB52_71
.LBB52_69:
                                        ; implicit-def: $vgpr110
.LBB52_70:
	ds_read_b32 v110, v108
.LBB52_71:
	s_and_saveexec_b64 s[12:13], s[4:5]
	s_cbranch_execz .LBB52_75
; %bb.72:
	v_subrev_u32_e32 v111, 45, v0
	s_movk_i32 s60, 0x194
	s_mov_b64 s[4:5], 0
.LBB52_73:                              ; =>This Inner Loop Header: Depth=1
	v_mov_b32_e32 v112, s59
	buffer_load_dword v112, v112, s[0:3], 0 offen
	v_mov_b32_e32 v113, s60
	ds_read_b32 v113, v113
	v_add_u32_e32 v111, -1, v111
	s_add_i32 s60, s60, 4
	s_add_i32 s59, s59, 4
	v_cmp_eq_u32_e32 vcc, 0, v111
	s_or_b64 s[4:5], vcc, s[4:5]
	s_waitcnt vmcnt(0) lgkmcnt(0)
	v_fmac_f32_e32 v110, v112, v113
	s_andn2_b64 exec, exec, s[4:5]
	s_cbranch_execnz .LBB52_73
; %bb.74:
	s_or_b64 exec, exec, s[4:5]
.LBB52_75:
	s_or_b64 exec, exec, s[12:13]
	v_mov_b32_e32 v111, 0
	ds_read_b32 v111, v111 offset:176
	s_waitcnt lgkmcnt(0)
	v_mul_f32_e32 v110, v110, v111
	buffer_store_dword v110, off, s[0:3], 0 offset:176
.LBB52_76:
	s_or_b64 exec, exec, s[8:9]
	buffer_load_dword v110, off, s[0:3], 0 offset:172
	v_cmp_lt_u32_e64 s[4:5], 43, v0
	s_waitcnt vmcnt(0)
	ds_write_b32 v108, v110
	s_waitcnt lgkmcnt(0)
	; wave barrier
	s_and_saveexec_b64 s[8:9], s[4:5]
	s_cbranch_execz .LBB52_86
; %bb.77:
	s_andn2_b64 vcc, exec, s[10:11]
	s_cbranch_vccnz .LBB52_79
; %bb.78:
	buffer_load_dword v110, v109, s[0:3], 0 offen
	ds_read_b32 v111, v108
	s_waitcnt vmcnt(0) lgkmcnt(0)
	v_mul_f32_e32 v110, v110, v111
	s_cbranch_execz .LBB52_80
	s_branch .LBB52_81
.LBB52_79:
                                        ; implicit-def: $vgpr110
.LBB52_80:
	ds_read_b32 v110, v108
.LBB52_81:
	s_and_saveexec_b64 s[12:13], s[6:7]
	s_cbranch_execz .LBB52_85
; %bb.82:
	v_subrev_u32_e32 v111, 44, v0
	s_movk_i32 s59, 0x190
	s_mov_b64 s[6:7], 0
.LBB52_83:                              ; =>This Inner Loop Header: Depth=1
	v_mov_b32_e32 v112, s58
	buffer_load_dword v112, v112, s[0:3], 0 offen
	v_mov_b32_e32 v113, s59
	ds_read_b32 v113, v113
	v_add_u32_e32 v111, -1, v111
	s_add_i32 s59, s59, 4
	s_add_i32 s58, s58, 4
	v_cmp_eq_u32_e32 vcc, 0, v111
	s_or_b64 s[6:7], vcc, s[6:7]
	s_waitcnt vmcnt(0) lgkmcnt(0)
	v_fmac_f32_e32 v110, v112, v113
	s_andn2_b64 exec, exec, s[6:7]
	s_cbranch_execnz .LBB52_83
; %bb.84:
	s_or_b64 exec, exec, s[6:7]
.LBB52_85:
	s_or_b64 exec, exec, s[12:13]
	v_mov_b32_e32 v111, 0
	ds_read_b32 v111, v111 offset:172
	s_waitcnt lgkmcnt(0)
	v_mul_f32_e32 v110, v110, v111
	buffer_store_dword v110, off, s[0:3], 0 offset:172
.LBB52_86:
	s_or_b64 exec, exec, s[8:9]
	buffer_load_dword v110, off, s[0:3], 0 offset:168
	v_cmp_lt_u32_e64 s[6:7], 42, v0
	s_waitcnt vmcnt(0)
	ds_write_b32 v108, v110
	s_waitcnt lgkmcnt(0)
	; wave barrier
	s_and_saveexec_b64 s[8:9], s[6:7]
	s_cbranch_execz .LBB52_96
; %bb.87:
	s_andn2_b64 vcc, exec, s[10:11]
	s_cbranch_vccnz .LBB52_89
; %bb.88:
	buffer_load_dword v110, v109, s[0:3], 0 offen
	ds_read_b32 v111, v108
	s_waitcnt vmcnt(0) lgkmcnt(0)
	v_mul_f32_e32 v110, v110, v111
	s_cbranch_execz .LBB52_90
	s_branch .LBB52_91
.LBB52_89:
                                        ; implicit-def: $vgpr110
.LBB52_90:
	ds_read_b32 v110, v108
.LBB52_91:
	s_and_saveexec_b64 s[12:13], s[4:5]
	s_cbranch_execz .LBB52_95
; %bb.92:
	v_subrev_u32_e32 v111, 43, v0
	s_movk_i32 s58, 0x18c
	s_mov_b64 s[4:5], 0
.LBB52_93:                              ; =>This Inner Loop Header: Depth=1
	v_mov_b32_e32 v112, s57
	buffer_load_dword v112, v112, s[0:3], 0 offen
	v_mov_b32_e32 v113, s58
	ds_read_b32 v113, v113
	v_add_u32_e32 v111, -1, v111
	s_add_i32 s58, s58, 4
	s_add_i32 s57, s57, 4
	v_cmp_eq_u32_e32 vcc, 0, v111
	s_or_b64 s[4:5], vcc, s[4:5]
	s_waitcnt vmcnt(0) lgkmcnt(0)
	v_fmac_f32_e32 v110, v112, v113
	s_andn2_b64 exec, exec, s[4:5]
	s_cbranch_execnz .LBB52_93
; %bb.94:
	s_or_b64 exec, exec, s[4:5]
.LBB52_95:
	s_or_b64 exec, exec, s[12:13]
	v_mov_b32_e32 v111, 0
	ds_read_b32 v111, v111 offset:168
	s_waitcnt lgkmcnt(0)
	v_mul_f32_e32 v110, v110, v111
	buffer_store_dword v110, off, s[0:3], 0 offset:168
.LBB52_96:
	s_or_b64 exec, exec, s[8:9]
	buffer_load_dword v110, off, s[0:3], 0 offset:164
	v_cmp_lt_u32_e64 s[4:5], 41, v0
	s_waitcnt vmcnt(0)
	ds_write_b32 v108, v110
	s_waitcnt lgkmcnt(0)
	; wave barrier
	s_and_saveexec_b64 s[8:9], s[4:5]
	s_cbranch_execz .LBB52_106
; %bb.97:
	s_andn2_b64 vcc, exec, s[10:11]
	s_cbranch_vccnz .LBB52_99
; %bb.98:
	buffer_load_dword v110, v109, s[0:3], 0 offen
	ds_read_b32 v111, v108
	s_waitcnt vmcnt(0) lgkmcnt(0)
	v_mul_f32_e32 v110, v110, v111
	s_cbranch_execz .LBB52_100
	s_branch .LBB52_101
.LBB52_99:
                                        ; implicit-def: $vgpr110
.LBB52_100:
	ds_read_b32 v110, v108
.LBB52_101:
	s_and_saveexec_b64 s[12:13], s[6:7]
	s_cbranch_execz .LBB52_105
; %bb.102:
	v_subrev_u32_e32 v111, 42, v0
	s_movk_i32 s57, 0x188
	s_mov_b64 s[6:7], 0
.LBB52_103:                             ; =>This Inner Loop Header: Depth=1
	v_mov_b32_e32 v112, s56
	buffer_load_dword v112, v112, s[0:3], 0 offen
	v_mov_b32_e32 v113, s57
	ds_read_b32 v113, v113
	v_add_u32_e32 v111, -1, v111
	s_add_i32 s57, s57, 4
	s_add_i32 s56, s56, 4
	v_cmp_eq_u32_e32 vcc, 0, v111
	s_or_b64 s[6:7], vcc, s[6:7]
	s_waitcnt vmcnt(0) lgkmcnt(0)
	v_fmac_f32_e32 v110, v112, v113
	s_andn2_b64 exec, exec, s[6:7]
	s_cbranch_execnz .LBB52_103
; %bb.104:
	s_or_b64 exec, exec, s[6:7]
.LBB52_105:
	s_or_b64 exec, exec, s[12:13]
	v_mov_b32_e32 v111, 0
	ds_read_b32 v111, v111 offset:164
	s_waitcnt lgkmcnt(0)
	v_mul_f32_e32 v110, v110, v111
	buffer_store_dword v110, off, s[0:3], 0 offset:164
.LBB52_106:
	s_or_b64 exec, exec, s[8:9]
	buffer_load_dword v110, off, s[0:3], 0 offset:160
	v_cmp_lt_u32_e64 s[6:7], 40, v0
	s_waitcnt vmcnt(0)
	ds_write_b32 v108, v110
	s_waitcnt lgkmcnt(0)
	; wave barrier
	s_and_saveexec_b64 s[8:9], s[6:7]
	s_cbranch_execz .LBB52_116
; %bb.107:
	s_andn2_b64 vcc, exec, s[10:11]
	s_cbranch_vccnz .LBB52_109
; %bb.108:
	buffer_load_dword v110, v109, s[0:3], 0 offen
	ds_read_b32 v111, v108
	s_waitcnt vmcnt(0) lgkmcnt(0)
	v_mul_f32_e32 v110, v110, v111
	s_cbranch_execz .LBB52_110
	s_branch .LBB52_111
.LBB52_109:
                                        ; implicit-def: $vgpr110
.LBB52_110:
	ds_read_b32 v110, v108
.LBB52_111:
	s_and_saveexec_b64 s[12:13], s[4:5]
	s_cbranch_execz .LBB52_115
; %bb.112:
	v_subrev_u32_e32 v111, 41, v0
	s_movk_i32 s56, 0x184
	s_mov_b64 s[4:5], 0
.LBB52_113:                             ; =>This Inner Loop Header: Depth=1
	v_mov_b32_e32 v112, s55
	buffer_load_dword v112, v112, s[0:3], 0 offen
	v_mov_b32_e32 v113, s56
	ds_read_b32 v113, v113
	v_add_u32_e32 v111, -1, v111
	s_add_i32 s56, s56, 4
	s_add_i32 s55, s55, 4
	v_cmp_eq_u32_e32 vcc, 0, v111
	s_or_b64 s[4:5], vcc, s[4:5]
	s_waitcnt vmcnt(0) lgkmcnt(0)
	v_fmac_f32_e32 v110, v112, v113
	s_andn2_b64 exec, exec, s[4:5]
	s_cbranch_execnz .LBB52_113
; %bb.114:
	s_or_b64 exec, exec, s[4:5]
.LBB52_115:
	s_or_b64 exec, exec, s[12:13]
	v_mov_b32_e32 v111, 0
	ds_read_b32 v111, v111 offset:160
	s_waitcnt lgkmcnt(0)
	v_mul_f32_e32 v110, v110, v111
	buffer_store_dword v110, off, s[0:3], 0 offset:160
.LBB52_116:
	s_or_b64 exec, exec, s[8:9]
	buffer_load_dword v110, off, s[0:3], 0 offset:156
	v_cmp_lt_u32_e64 s[4:5], 39, v0
	s_waitcnt vmcnt(0)
	ds_write_b32 v108, v110
	s_waitcnt lgkmcnt(0)
	; wave barrier
	s_and_saveexec_b64 s[8:9], s[4:5]
	s_cbranch_execz .LBB52_126
; %bb.117:
	s_andn2_b64 vcc, exec, s[10:11]
	s_cbranch_vccnz .LBB52_119
; %bb.118:
	buffer_load_dword v110, v109, s[0:3], 0 offen
	ds_read_b32 v111, v108
	s_waitcnt vmcnt(0) lgkmcnt(0)
	v_mul_f32_e32 v110, v110, v111
	s_cbranch_execz .LBB52_120
	s_branch .LBB52_121
.LBB52_119:
                                        ; implicit-def: $vgpr110
.LBB52_120:
	ds_read_b32 v110, v108
.LBB52_121:
	s_and_saveexec_b64 s[12:13], s[6:7]
	s_cbranch_execz .LBB52_125
; %bb.122:
	v_subrev_u32_e32 v111, 40, v0
	s_movk_i32 s55, 0x180
	s_mov_b64 s[6:7], 0
.LBB52_123:                             ; =>This Inner Loop Header: Depth=1
	v_mov_b32_e32 v112, s54
	buffer_load_dword v112, v112, s[0:3], 0 offen
	v_mov_b32_e32 v113, s55
	ds_read_b32 v113, v113
	v_add_u32_e32 v111, -1, v111
	s_add_i32 s55, s55, 4
	s_add_i32 s54, s54, 4
	v_cmp_eq_u32_e32 vcc, 0, v111
	s_or_b64 s[6:7], vcc, s[6:7]
	s_waitcnt vmcnt(0) lgkmcnt(0)
	v_fmac_f32_e32 v110, v112, v113
	s_andn2_b64 exec, exec, s[6:7]
	s_cbranch_execnz .LBB52_123
; %bb.124:
	s_or_b64 exec, exec, s[6:7]
.LBB52_125:
	s_or_b64 exec, exec, s[12:13]
	v_mov_b32_e32 v111, 0
	ds_read_b32 v111, v111 offset:156
	s_waitcnt lgkmcnt(0)
	v_mul_f32_e32 v110, v110, v111
	buffer_store_dword v110, off, s[0:3], 0 offset:156
.LBB52_126:
	s_or_b64 exec, exec, s[8:9]
	buffer_load_dword v110, off, s[0:3], 0 offset:152
	v_cmp_lt_u32_e64 s[6:7], 38, v0
	s_waitcnt vmcnt(0)
	ds_write_b32 v108, v110
	s_waitcnt lgkmcnt(0)
	; wave barrier
	s_and_saveexec_b64 s[8:9], s[6:7]
	s_cbranch_execz .LBB52_136
; %bb.127:
	s_andn2_b64 vcc, exec, s[10:11]
	s_cbranch_vccnz .LBB52_129
; %bb.128:
	buffer_load_dword v110, v109, s[0:3], 0 offen
	ds_read_b32 v111, v108
	s_waitcnt vmcnt(0) lgkmcnt(0)
	v_mul_f32_e32 v110, v110, v111
	s_cbranch_execz .LBB52_130
	s_branch .LBB52_131
.LBB52_129:
                                        ; implicit-def: $vgpr110
.LBB52_130:
	ds_read_b32 v110, v108
.LBB52_131:
	s_and_saveexec_b64 s[12:13], s[4:5]
	s_cbranch_execz .LBB52_135
; %bb.132:
	v_subrev_u32_e32 v111, 39, v0
	s_movk_i32 s54, 0x17c
	s_mov_b64 s[4:5], 0
.LBB52_133:                             ; =>This Inner Loop Header: Depth=1
	v_mov_b32_e32 v112, s53
	buffer_load_dword v112, v112, s[0:3], 0 offen
	v_mov_b32_e32 v113, s54
	ds_read_b32 v113, v113
	v_add_u32_e32 v111, -1, v111
	s_add_i32 s54, s54, 4
	s_add_i32 s53, s53, 4
	v_cmp_eq_u32_e32 vcc, 0, v111
	s_or_b64 s[4:5], vcc, s[4:5]
	s_waitcnt vmcnt(0) lgkmcnt(0)
	v_fmac_f32_e32 v110, v112, v113
	s_andn2_b64 exec, exec, s[4:5]
	s_cbranch_execnz .LBB52_133
; %bb.134:
	s_or_b64 exec, exec, s[4:5]
.LBB52_135:
	s_or_b64 exec, exec, s[12:13]
	v_mov_b32_e32 v111, 0
	ds_read_b32 v111, v111 offset:152
	s_waitcnt lgkmcnt(0)
	v_mul_f32_e32 v110, v110, v111
	buffer_store_dword v110, off, s[0:3], 0 offset:152
.LBB52_136:
	s_or_b64 exec, exec, s[8:9]
	buffer_load_dword v110, off, s[0:3], 0 offset:148
	v_cmp_lt_u32_e64 s[4:5], 37, v0
	s_waitcnt vmcnt(0)
	ds_write_b32 v108, v110
	s_waitcnt lgkmcnt(0)
	; wave barrier
	s_and_saveexec_b64 s[8:9], s[4:5]
	s_cbranch_execz .LBB52_146
; %bb.137:
	s_andn2_b64 vcc, exec, s[10:11]
	s_cbranch_vccnz .LBB52_139
; %bb.138:
	buffer_load_dword v110, v109, s[0:3], 0 offen
	ds_read_b32 v111, v108
	s_waitcnt vmcnt(0) lgkmcnt(0)
	v_mul_f32_e32 v110, v110, v111
	s_cbranch_execz .LBB52_140
	s_branch .LBB52_141
.LBB52_139:
                                        ; implicit-def: $vgpr110
.LBB52_140:
	ds_read_b32 v110, v108
.LBB52_141:
	s_and_saveexec_b64 s[12:13], s[6:7]
	s_cbranch_execz .LBB52_145
; %bb.142:
	v_subrev_u32_e32 v111, 38, v0
	s_movk_i32 s53, 0x178
	s_mov_b64 s[6:7], 0
.LBB52_143:                             ; =>This Inner Loop Header: Depth=1
	v_mov_b32_e32 v112, s52
	buffer_load_dword v112, v112, s[0:3], 0 offen
	v_mov_b32_e32 v113, s53
	ds_read_b32 v113, v113
	v_add_u32_e32 v111, -1, v111
	s_add_i32 s53, s53, 4
	s_add_i32 s52, s52, 4
	v_cmp_eq_u32_e32 vcc, 0, v111
	s_or_b64 s[6:7], vcc, s[6:7]
	s_waitcnt vmcnt(0) lgkmcnt(0)
	v_fmac_f32_e32 v110, v112, v113
	s_andn2_b64 exec, exec, s[6:7]
	s_cbranch_execnz .LBB52_143
; %bb.144:
	s_or_b64 exec, exec, s[6:7]
.LBB52_145:
	s_or_b64 exec, exec, s[12:13]
	v_mov_b32_e32 v111, 0
	ds_read_b32 v111, v111 offset:148
	s_waitcnt lgkmcnt(0)
	v_mul_f32_e32 v110, v110, v111
	buffer_store_dword v110, off, s[0:3], 0 offset:148
.LBB52_146:
	s_or_b64 exec, exec, s[8:9]
	buffer_load_dword v110, off, s[0:3], 0 offset:144
	v_cmp_lt_u32_e64 s[6:7], 36, v0
	s_waitcnt vmcnt(0)
	ds_write_b32 v108, v110
	s_waitcnt lgkmcnt(0)
	; wave barrier
	s_and_saveexec_b64 s[8:9], s[6:7]
	s_cbranch_execz .LBB52_156
; %bb.147:
	s_andn2_b64 vcc, exec, s[10:11]
	s_cbranch_vccnz .LBB52_149
; %bb.148:
	buffer_load_dword v110, v109, s[0:3], 0 offen
	ds_read_b32 v111, v108
	s_waitcnt vmcnt(0) lgkmcnt(0)
	v_mul_f32_e32 v110, v110, v111
	s_cbranch_execz .LBB52_150
	s_branch .LBB52_151
.LBB52_149:
                                        ; implicit-def: $vgpr110
.LBB52_150:
	ds_read_b32 v110, v108
.LBB52_151:
	s_and_saveexec_b64 s[12:13], s[4:5]
	s_cbranch_execz .LBB52_155
; %bb.152:
	v_subrev_u32_e32 v111, 37, v0
	s_movk_i32 s52, 0x174
	s_mov_b64 s[4:5], 0
.LBB52_153:                             ; =>This Inner Loop Header: Depth=1
	v_mov_b32_e32 v112, s51
	buffer_load_dword v112, v112, s[0:3], 0 offen
	v_mov_b32_e32 v113, s52
	ds_read_b32 v113, v113
	v_add_u32_e32 v111, -1, v111
	s_add_i32 s52, s52, 4
	s_add_i32 s51, s51, 4
	v_cmp_eq_u32_e32 vcc, 0, v111
	s_or_b64 s[4:5], vcc, s[4:5]
	s_waitcnt vmcnt(0) lgkmcnt(0)
	v_fmac_f32_e32 v110, v112, v113
	s_andn2_b64 exec, exec, s[4:5]
	s_cbranch_execnz .LBB52_153
; %bb.154:
	s_or_b64 exec, exec, s[4:5]
.LBB52_155:
	s_or_b64 exec, exec, s[12:13]
	v_mov_b32_e32 v111, 0
	ds_read_b32 v111, v111 offset:144
	s_waitcnt lgkmcnt(0)
	v_mul_f32_e32 v110, v110, v111
	buffer_store_dword v110, off, s[0:3], 0 offset:144
.LBB52_156:
	s_or_b64 exec, exec, s[8:9]
	buffer_load_dword v110, off, s[0:3], 0 offset:140
	v_cmp_lt_u32_e64 s[4:5], 35, v0
	s_waitcnt vmcnt(0)
	ds_write_b32 v108, v110
	s_waitcnt lgkmcnt(0)
	; wave barrier
	s_and_saveexec_b64 s[8:9], s[4:5]
	s_cbranch_execz .LBB52_166
; %bb.157:
	s_andn2_b64 vcc, exec, s[10:11]
	s_cbranch_vccnz .LBB52_159
; %bb.158:
	buffer_load_dword v110, v109, s[0:3], 0 offen
	ds_read_b32 v111, v108
	s_waitcnt vmcnt(0) lgkmcnt(0)
	v_mul_f32_e32 v110, v110, v111
	s_cbranch_execz .LBB52_160
	s_branch .LBB52_161
.LBB52_159:
                                        ; implicit-def: $vgpr110
.LBB52_160:
	ds_read_b32 v110, v108
.LBB52_161:
	s_and_saveexec_b64 s[12:13], s[6:7]
	s_cbranch_execz .LBB52_165
; %bb.162:
	v_subrev_u32_e32 v111, 36, v0
	s_movk_i32 s51, 0x170
	s_mov_b64 s[6:7], 0
.LBB52_163:                             ; =>This Inner Loop Header: Depth=1
	v_mov_b32_e32 v112, s50
	buffer_load_dword v112, v112, s[0:3], 0 offen
	v_mov_b32_e32 v113, s51
	ds_read_b32 v113, v113
	v_add_u32_e32 v111, -1, v111
	s_add_i32 s51, s51, 4
	s_add_i32 s50, s50, 4
	v_cmp_eq_u32_e32 vcc, 0, v111
	s_or_b64 s[6:7], vcc, s[6:7]
	s_waitcnt vmcnt(0) lgkmcnt(0)
	v_fmac_f32_e32 v110, v112, v113
	s_andn2_b64 exec, exec, s[6:7]
	s_cbranch_execnz .LBB52_163
; %bb.164:
	s_or_b64 exec, exec, s[6:7]
.LBB52_165:
	s_or_b64 exec, exec, s[12:13]
	v_mov_b32_e32 v111, 0
	ds_read_b32 v111, v111 offset:140
	s_waitcnt lgkmcnt(0)
	v_mul_f32_e32 v110, v110, v111
	buffer_store_dword v110, off, s[0:3], 0 offset:140
.LBB52_166:
	s_or_b64 exec, exec, s[8:9]
	buffer_load_dword v110, off, s[0:3], 0 offset:136
	v_cmp_lt_u32_e64 s[6:7], 34, v0
	s_waitcnt vmcnt(0)
	ds_write_b32 v108, v110
	s_waitcnt lgkmcnt(0)
	; wave barrier
	s_and_saveexec_b64 s[8:9], s[6:7]
	s_cbranch_execz .LBB52_176
; %bb.167:
	s_andn2_b64 vcc, exec, s[10:11]
	s_cbranch_vccnz .LBB52_169
; %bb.168:
	buffer_load_dword v110, v109, s[0:3], 0 offen
	ds_read_b32 v111, v108
	s_waitcnt vmcnt(0) lgkmcnt(0)
	v_mul_f32_e32 v110, v110, v111
	s_cbranch_execz .LBB52_170
	s_branch .LBB52_171
.LBB52_169:
                                        ; implicit-def: $vgpr110
.LBB52_170:
	ds_read_b32 v110, v108
.LBB52_171:
	s_and_saveexec_b64 s[12:13], s[4:5]
	s_cbranch_execz .LBB52_175
; %bb.172:
	v_subrev_u32_e32 v111, 35, v0
	s_movk_i32 s50, 0x16c
	s_mov_b64 s[4:5], 0
.LBB52_173:                             ; =>This Inner Loop Header: Depth=1
	v_mov_b32_e32 v112, s49
	buffer_load_dword v112, v112, s[0:3], 0 offen
	v_mov_b32_e32 v113, s50
	ds_read_b32 v113, v113
	v_add_u32_e32 v111, -1, v111
	s_add_i32 s50, s50, 4
	s_add_i32 s49, s49, 4
	v_cmp_eq_u32_e32 vcc, 0, v111
	s_or_b64 s[4:5], vcc, s[4:5]
	s_waitcnt vmcnt(0) lgkmcnt(0)
	v_fmac_f32_e32 v110, v112, v113
	s_andn2_b64 exec, exec, s[4:5]
	s_cbranch_execnz .LBB52_173
; %bb.174:
	s_or_b64 exec, exec, s[4:5]
.LBB52_175:
	s_or_b64 exec, exec, s[12:13]
	v_mov_b32_e32 v111, 0
	ds_read_b32 v111, v111 offset:136
	s_waitcnt lgkmcnt(0)
	v_mul_f32_e32 v110, v110, v111
	buffer_store_dword v110, off, s[0:3], 0 offset:136
.LBB52_176:
	s_or_b64 exec, exec, s[8:9]
	buffer_load_dword v110, off, s[0:3], 0 offset:132
	v_cmp_lt_u32_e64 s[4:5], 33, v0
	s_waitcnt vmcnt(0)
	ds_write_b32 v108, v110
	s_waitcnt lgkmcnt(0)
	; wave barrier
	s_and_saveexec_b64 s[8:9], s[4:5]
	s_cbranch_execz .LBB52_186
; %bb.177:
	s_andn2_b64 vcc, exec, s[10:11]
	s_cbranch_vccnz .LBB52_179
; %bb.178:
	buffer_load_dword v110, v109, s[0:3], 0 offen
	ds_read_b32 v111, v108
	s_waitcnt vmcnt(0) lgkmcnt(0)
	v_mul_f32_e32 v110, v110, v111
	s_cbranch_execz .LBB52_180
	s_branch .LBB52_181
.LBB52_179:
                                        ; implicit-def: $vgpr110
.LBB52_180:
	ds_read_b32 v110, v108
.LBB52_181:
	s_and_saveexec_b64 s[12:13], s[6:7]
	s_cbranch_execz .LBB52_185
; %bb.182:
	v_subrev_u32_e32 v111, 34, v0
	s_movk_i32 s49, 0x168
	s_mov_b64 s[6:7], 0
.LBB52_183:                             ; =>This Inner Loop Header: Depth=1
	v_mov_b32_e32 v112, s48
	buffer_load_dword v112, v112, s[0:3], 0 offen
	v_mov_b32_e32 v113, s49
	ds_read_b32 v113, v113
	v_add_u32_e32 v111, -1, v111
	s_add_i32 s49, s49, 4
	s_add_i32 s48, s48, 4
	v_cmp_eq_u32_e32 vcc, 0, v111
	s_or_b64 s[6:7], vcc, s[6:7]
	s_waitcnt vmcnt(0) lgkmcnt(0)
	v_fmac_f32_e32 v110, v112, v113
	s_andn2_b64 exec, exec, s[6:7]
	s_cbranch_execnz .LBB52_183
; %bb.184:
	s_or_b64 exec, exec, s[6:7]
.LBB52_185:
	s_or_b64 exec, exec, s[12:13]
	v_mov_b32_e32 v111, 0
	ds_read_b32 v111, v111 offset:132
	s_waitcnt lgkmcnt(0)
	v_mul_f32_e32 v110, v110, v111
	buffer_store_dword v110, off, s[0:3], 0 offset:132
.LBB52_186:
	s_or_b64 exec, exec, s[8:9]
	buffer_load_dword v110, off, s[0:3], 0 offset:128
	v_cmp_lt_u32_e64 s[6:7], 32, v0
	s_waitcnt vmcnt(0)
	ds_write_b32 v108, v110
	s_waitcnt lgkmcnt(0)
	; wave barrier
	s_and_saveexec_b64 s[8:9], s[6:7]
	s_cbranch_execz .LBB52_196
; %bb.187:
	s_andn2_b64 vcc, exec, s[10:11]
	s_cbranch_vccnz .LBB52_189
; %bb.188:
	buffer_load_dword v110, v109, s[0:3], 0 offen
	ds_read_b32 v111, v108
	s_waitcnt vmcnt(0) lgkmcnt(0)
	v_mul_f32_e32 v110, v110, v111
	s_cbranch_execz .LBB52_190
	s_branch .LBB52_191
.LBB52_189:
                                        ; implicit-def: $vgpr110
.LBB52_190:
	ds_read_b32 v110, v108
.LBB52_191:
	s_and_saveexec_b64 s[12:13], s[4:5]
	s_cbranch_execz .LBB52_195
; %bb.192:
	v_subrev_u32_e32 v111, 33, v0
	s_movk_i32 s48, 0x164
	s_mov_b64 s[4:5], 0
.LBB52_193:                             ; =>This Inner Loop Header: Depth=1
	v_mov_b32_e32 v112, s47
	buffer_load_dword v112, v112, s[0:3], 0 offen
	v_mov_b32_e32 v113, s48
	ds_read_b32 v113, v113
	v_add_u32_e32 v111, -1, v111
	s_add_i32 s48, s48, 4
	s_add_i32 s47, s47, 4
	v_cmp_eq_u32_e32 vcc, 0, v111
	s_or_b64 s[4:5], vcc, s[4:5]
	s_waitcnt vmcnt(0) lgkmcnt(0)
	v_fmac_f32_e32 v110, v112, v113
	s_andn2_b64 exec, exec, s[4:5]
	s_cbranch_execnz .LBB52_193
; %bb.194:
	s_or_b64 exec, exec, s[4:5]
.LBB52_195:
	s_or_b64 exec, exec, s[12:13]
	v_mov_b32_e32 v111, 0
	ds_read_b32 v111, v111 offset:128
	s_waitcnt lgkmcnt(0)
	v_mul_f32_e32 v110, v110, v111
	buffer_store_dword v110, off, s[0:3], 0 offset:128
.LBB52_196:
	s_or_b64 exec, exec, s[8:9]
	buffer_load_dword v110, off, s[0:3], 0 offset:124
	v_cmp_lt_u32_e64 s[4:5], 31, v0
	s_waitcnt vmcnt(0)
	ds_write_b32 v108, v110
	s_waitcnt lgkmcnt(0)
	; wave barrier
	s_and_saveexec_b64 s[8:9], s[4:5]
	s_cbranch_execz .LBB52_206
; %bb.197:
	s_andn2_b64 vcc, exec, s[10:11]
	s_cbranch_vccnz .LBB52_199
; %bb.198:
	buffer_load_dword v110, v109, s[0:3], 0 offen
	ds_read_b32 v111, v108
	s_waitcnt vmcnt(0) lgkmcnt(0)
	v_mul_f32_e32 v110, v110, v111
	s_cbranch_execz .LBB52_200
	s_branch .LBB52_201
.LBB52_199:
                                        ; implicit-def: $vgpr110
.LBB52_200:
	ds_read_b32 v110, v108
.LBB52_201:
	s_and_saveexec_b64 s[12:13], s[6:7]
	s_cbranch_execz .LBB52_205
; %bb.202:
	v_subrev_u32_e32 v111, 32, v0
	s_movk_i32 s47, 0x160
	s_mov_b64 s[6:7], 0
.LBB52_203:                             ; =>This Inner Loop Header: Depth=1
	v_mov_b32_e32 v112, s46
	buffer_load_dword v112, v112, s[0:3], 0 offen
	v_mov_b32_e32 v113, s47
	ds_read_b32 v113, v113
	v_add_u32_e32 v111, -1, v111
	s_add_i32 s47, s47, 4
	s_add_i32 s46, s46, 4
	v_cmp_eq_u32_e32 vcc, 0, v111
	s_or_b64 s[6:7], vcc, s[6:7]
	s_waitcnt vmcnt(0) lgkmcnt(0)
	v_fmac_f32_e32 v110, v112, v113
	s_andn2_b64 exec, exec, s[6:7]
	s_cbranch_execnz .LBB52_203
; %bb.204:
	s_or_b64 exec, exec, s[6:7]
.LBB52_205:
	s_or_b64 exec, exec, s[12:13]
	v_mov_b32_e32 v111, 0
	ds_read_b32 v111, v111 offset:124
	s_waitcnt lgkmcnt(0)
	v_mul_f32_e32 v110, v110, v111
	buffer_store_dword v110, off, s[0:3], 0 offset:124
.LBB52_206:
	s_or_b64 exec, exec, s[8:9]
	buffer_load_dword v110, off, s[0:3], 0 offset:120
	v_cmp_lt_u32_e64 s[6:7], 30, v0
	s_waitcnt vmcnt(0)
	ds_write_b32 v108, v110
	s_waitcnt lgkmcnt(0)
	; wave barrier
	s_and_saveexec_b64 s[8:9], s[6:7]
	s_cbranch_execz .LBB52_216
; %bb.207:
	s_andn2_b64 vcc, exec, s[10:11]
	s_cbranch_vccnz .LBB52_209
; %bb.208:
	buffer_load_dword v110, v109, s[0:3], 0 offen
	ds_read_b32 v111, v108
	s_waitcnt vmcnt(0) lgkmcnt(0)
	v_mul_f32_e32 v110, v110, v111
	s_cbranch_execz .LBB52_210
	s_branch .LBB52_211
.LBB52_209:
                                        ; implicit-def: $vgpr110
.LBB52_210:
	ds_read_b32 v110, v108
.LBB52_211:
	s_and_saveexec_b64 s[12:13], s[4:5]
	s_cbranch_execz .LBB52_215
; %bb.212:
	v_subrev_u32_e32 v111, 31, v0
	s_movk_i32 s46, 0x15c
	s_mov_b64 s[4:5], 0
.LBB52_213:                             ; =>This Inner Loop Header: Depth=1
	v_mov_b32_e32 v112, s45
	buffer_load_dword v112, v112, s[0:3], 0 offen
	v_mov_b32_e32 v113, s46
	ds_read_b32 v113, v113
	v_add_u32_e32 v111, -1, v111
	s_add_i32 s46, s46, 4
	s_add_i32 s45, s45, 4
	v_cmp_eq_u32_e32 vcc, 0, v111
	s_or_b64 s[4:5], vcc, s[4:5]
	s_waitcnt vmcnt(0) lgkmcnt(0)
	v_fmac_f32_e32 v110, v112, v113
	s_andn2_b64 exec, exec, s[4:5]
	s_cbranch_execnz .LBB52_213
; %bb.214:
	s_or_b64 exec, exec, s[4:5]
.LBB52_215:
	s_or_b64 exec, exec, s[12:13]
	v_mov_b32_e32 v111, 0
	ds_read_b32 v111, v111 offset:120
	s_waitcnt lgkmcnt(0)
	v_mul_f32_e32 v110, v110, v111
	buffer_store_dword v110, off, s[0:3], 0 offset:120
.LBB52_216:
	s_or_b64 exec, exec, s[8:9]
	buffer_load_dword v110, off, s[0:3], 0 offset:116
	v_cmp_lt_u32_e64 s[4:5], 29, v0
	s_waitcnt vmcnt(0)
	ds_write_b32 v108, v110
	s_waitcnt lgkmcnt(0)
	; wave barrier
	s_and_saveexec_b64 s[8:9], s[4:5]
	s_cbranch_execz .LBB52_226
; %bb.217:
	s_andn2_b64 vcc, exec, s[10:11]
	s_cbranch_vccnz .LBB52_219
; %bb.218:
	buffer_load_dword v110, v109, s[0:3], 0 offen
	ds_read_b32 v111, v108
	s_waitcnt vmcnt(0) lgkmcnt(0)
	v_mul_f32_e32 v110, v110, v111
	s_cbranch_execz .LBB52_220
	s_branch .LBB52_221
.LBB52_219:
                                        ; implicit-def: $vgpr110
.LBB52_220:
	ds_read_b32 v110, v108
.LBB52_221:
	s_and_saveexec_b64 s[12:13], s[6:7]
	s_cbranch_execz .LBB52_225
; %bb.222:
	v_subrev_u32_e32 v111, 30, v0
	s_movk_i32 s45, 0x158
	s_mov_b64 s[6:7], 0
.LBB52_223:                             ; =>This Inner Loop Header: Depth=1
	v_mov_b32_e32 v112, s44
	buffer_load_dword v112, v112, s[0:3], 0 offen
	v_mov_b32_e32 v113, s45
	ds_read_b32 v113, v113
	v_add_u32_e32 v111, -1, v111
	s_add_i32 s45, s45, 4
	s_add_i32 s44, s44, 4
	v_cmp_eq_u32_e32 vcc, 0, v111
	s_or_b64 s[6:7], vcc, s[6:7]
	s_waitcnt vmcnt(0) lgkmcnt(0)
	v_fmac_f32_e32 v110, v112, v113
	s_andn2_b64 exec, exec, s[6:7]
	s_cbranch_execnz .LBB52_223
; %bb.224:
	s_or_b64 exec, exec, s[6:7]
.LBB52_225:
	s_or_b64 exec, exec, s[12:13]
	v_mov_b32_e32 v111, 0
	ds_read_b32 v111, v111 offset:116
	s_waitcnt lgkmcnt(0)
	v_mul_f32_e32 v110, v110, v111
	buffer_store_dword v110, off, s[0:3], 0 offset:116
.LBB52_226:
	s_or_b64 exec, exec, s[8:9]
	buffer_load_dword v110, off, s[0:3], 0 offset:112
	v_cmp_lt_u32_e64 s[6:7], 28, v0
	s_waitcnt vmcnt(0)
	ds_write_b32 v108, v110
	s_waitcnt lgkmcnt(0)
	; wave barrier
	s_and_saveexec_b64 s[8:9], s[6:7]
	s_cbranch_execz .LBB52_236
; %bb.227:
	s_andn2_b64 vcc, exec, s[10:11]
	s_cbranch_vccnz .LBB52_229
; %bb.228:
	buffer_load_dword v110, v109, s[0:3], 0 offen
	ds_read_b32 v111, v108
	s_waitcnt vmcnt(0) lgkmcnt(0)
	v_mul_f32_e32 v110, v110, v111
	s_cbranch_execz .LBB52_230
	s_branch .LBB52_231
.LBB52_229:
                                        ; implicit-def: $vgpr110
.LBB52_230:
	ds_read_b32 v110, v108
.LBB52_231:
	s_and_saveexec_b64 s[12:13], s[4:5]
	s_cbranch_execz .LBB52_235
; %bb.232:
	v_subrev_u32_e32 v111, 29, v0
	s_movk_i32 s44, 0x154
	s_mov_b64 s[4:5], 0
.LBB52_233:                             ; =>This Inner Loop Header: Depth=1
	v_mov_b32_e32 v112, s43
	buffer_load_dword v112, v112, s[0:3], 0 offen
	v_mov_b32_e32 v113, s44
	ds_read_b32 v113, v113
	v_add_u32_e32 v111, -1, v111
	s_add_i32 s44, s44, 4
	s_add_i32 s43, s43, 4
	v_cmp_eq_u32_e32 vcc, 0, v111
	s_or_b64 s[4:5], vcc, s[4:5]
	s_waitcnt vmcnt(0) lgkmcnt(0)
	v_fmac_f32_e32 v110, v112, v113
	s_andn2_b64 exec, exec, s[4:5]
	s_cbranch_execnz .LBB52_233
; %bb.234:
	s_or_b64 exec, exec, s[4:5]
.LBB52_235:
	s_or_b64 exec, exec, s[12:13]
	v_mov_b32_e32 v111, 0
	ds_read_b32 v111, v111 offset:112
	s_waitcnt lgkmcnt(0)
	v_mul_f32_e32 v110, v110, v111
	buffer_store_dword v110, off, s[0:3], 0 offset:112
.LBB52_236:
	s_or_b64 exec, exec, s[8:9]
	buffer_load_dword v110, off, s[0:3], 0 offset:108
	v_cmp_lt_u32_e64 s[4:5], 27, v0
	s_waitcnt vmcnt(0)
	ds_write_b32 v108, v110
	s_waitcnt lgkmcnt(0)
	; wave barrier
	s_and_saveexec_b64 s[8:9], s[4:5]
	s_cbranch_execz .LBB52_246
; %bb.237:
	s_andn2_b64 vcc, exec, s[10:11]
	s_cbranch_vccnz .LBB52_239
; %bb.238:
	buffer_load_dword v110, v109, s[0:3], 0 offen
	ds_read_b32 v111, v108
	s_waitcnt vmcnt(0) lgkmcnt(0)
	v_mul_f32_e32 v110, v110, v111
	s_cbranch_execz .LBB52_240
	s_branch .LBB52_241
.LBB52_239:
                                        ; implicit-def: $vgpr110
.LBB52_240:
	ds_read_b32 v110, v108
.LBB52_241:
	s_and_saveexec_b64 s[12:13], s[6:7]
	s_cbranch_execz .LBB52_245
; %bb.242:
	v_subrev_u32_e32 v111, 28, v0
	s_movk_i32 s43, 0x150
	s_mov_b64 s[6:7], 0
.LBB52_243:                             ; =>This Inner Loop Header: Depth=1
	v_mov_b32_e32 v112, s42
	buffer_load_dword v112, v112, s[0:3], 0 offen
	v_mov_b32_e32 v113, s43
	ds_read_b32 v113, v113
	v_add_u32_e32 v111, -1, v111
	s_add_i32 s43, s43, 4
	s_add_i32 s42, s42, 4
	v_cmp_eq_u32_e32 vcc, 0, v111
	s_or_b64 s[6:7], vcc, s[6:7]
	s_waitcnt vmcnt(0) lgkmcnt(0)
	v_fmac_f32_e32 v110, v112, v113
	s_andn2_b64 exec, exec, s[6:7]
	s_cbranch_execnz .LBB52_243
; %bb.244:
	s_or_b64 exec, exec, s[6:7]
.LBB52_245:
	s_or_b64 exec, exec, s[12:13]
	v_mov_b32_e32 v111, 0
	ds_read_b32 v111, v111 offset:108
	s_waitcnt lgkmcnt(0)
	v_mul_f32_e32 v110, v110, v111
	buffer_store_dword v110, off, s[0:3], 0 offset:108
.LBB52_246:
	s_or_b64 exec, exec, s[8:9]
	buffer_load_dword v110, off, s[0:3], 0 offset:104
	v_cmp_lt_u32_e64 s[6:7], 26, v0
	s_waitcnt vmcnt(0)
	ds_write_b32 v108, v110
	s_waitcnt lgkmcnt(0)
	; wave barrier
	s_and_saveexec_b64 s[8:9], s[6:7]
	s_cbranch_execz .LBB52_256
; %bb.247:
	s_andn2_b64 vcc, exec, s[10:11]
	s_cbranch_vccnz .LBB52_249
; %bb.248:
	buffer_load_dword v110, v109, s[0:3], 0 offen
	ds_read_b32 v111, v108
	s_waitcnt vmcnt(0) lgkmcnt(0)
	v_mul_f32_e32 v110, v110, v111
	s_cbranch_execz .LBB52_250
	s_branch .LBB52_251
.LBB52_249:
                                        ; implicit-def: $vgpr110
.LBB52_250:
	ds_read_b32 v110, v108
.LBB52_251:
	s_and_saveexec_b64 s[12:13], s[4:5]
	s_cbranch_execz .LBB52_255
; %bb.252:
	v_subrev_u32_e32 v111, 27, v0
	s_movk_i32 s42, 0x14c
	s_mov_b64 s[4:5], 0
.LBB52_253:                             ; =>This Inner Loop Header: Depth=1
	v_mov_b32_e32 v112, s41
	buffer_load_dword v112, v112, s[0:3], 0 offen
	v_mov_b32_e32 v113, s42
	ds_read_b32 v113, v113
	v_add_u32_e32 v111, -1, v111
	s_add_i32 s42, s42, 4
	s_add_i32 s41, s41, 4
	v_cmp_eq_u32_e32 vcc, 0, v111
	s_or_b64 s[4:5], vcc, s[4:5]
	s_waitcnt vmcnt(0) lgkmcnt(0)
	v_fmac_f32_e32 v110, v112, v113
	s_andn2_b64 exec, exec, s[4:5]
	s_cbranch_execnz .LBB52_253
; %bb.254:
	s_or_b64 exec, exec, s[4:5]
.LBB52_255:
	s_or_b64 exec, exec, s[12:13]
	v_mov_b32_e32 v111, 0
	ds_read_b32 v111, v111 offset:104
	s_waitcnt lgkmcnt(0)
	v_mul_f32_e32 v110, v110, v111
	buffer_store_dword v110, off, s[0:3], 0 offset:104
.LBB52_256:
	s_or_b64 exec, exec, s[8:9]
	buffer_load_dword v110, off, s[0:3], 0 offset:100
	v_cmp_lt_u32_e64 s[4:5], 25, v0
	s_waitcnt vmcnt(0)
	ds_write_b32 v108, v110
	s_waitcnt lgkmcnt(0)
	; wave barrier
	s_and_saveexec_b64 s[8:9], s[4:5]
	s_cbranch_execz .LBB52_266
; %bb.257:
	s_andn2_b64 vcc, exec, s[10:11]
	s_cbranch_vccnz .LBB52_259
; %bb.258:
	buffer_load_dword v110, v109, s[0:3], 0 offen
	ds_read_b32 v111, v108
	s_waitcnt vmcnt(0) lgkmcnt(0)
	v_mul_f32_e32 v110, v110, v111
	s_cbranch_execz .LBB52_260
	s_branch .LBB52_261
.LBB52_259:
                                        ; implicit-def: $vgpr110
.LBB52_260:
	ds_read_b32 v110, v108
.LBB52_261:
	s_and_saveexec_b64 s[12:13], s[6:7]
	s_cbranch_execz .LBB52_265
; %bb.262:
	v_subrev_u32_e32 v111, 26, v0
	s_movk_i32 s41, 0x148
	s_mov_b64 s[6:7], 0
.LBB52_263:                             ; =>This Inner Loop Header: Depth=1
	v_mov_b32_e32 v112, s40
	buffer_load_dword v112, v112, s[0:3], 0 offen
	v_mov_b32_e32 v113, s41
	ds_read_b32 v113, v113
	v_add_u32_e32 v111, -1, v111
	s_add_i32 s41, s41, 4
	s_add_i32 s40, s40, 4
	v_cmp_eq_u32_e32 vcc, 0, v111
	s_or_b64 s[6:7], vcc, s[6:7]
	s_waitcnt vmcnt(0) lgkmcnt(0)
	v_fmac_f32_e32 v110, v112, v113
	s_andn2_b64 exec, exec, s[6:7]
	s_cbranch_execnz .LBB52_263
; %bb.264:
	s_or_b64 exec, exec, s[6:7]
.LBB52_265:
	s_or_b64 exec, exec, s[12:13]
	v_mov_b32_e32 v111, 0
	ds_read_b32 v111, v111 offset:100
	s_waitcnt lgkmcnt(0)
	v_mul_f32_e32 v110, v110, v111
	buffer_store_dword v110, off, s[0:3], 0 offset:100
.LBB52_266:
	s_or_b64 exec, exec, s[8:9]
	buffer_load_dword v110, off, s[0:3], 0 offset:96
	v_cmp_lt_u32_e64 s[6:7], 24, v0
	s_waitcnt vmcnt(0)
	ds_write_b32 v108, v110
	s_waitcnt lgkmcnt(0)
	; wave barrier
	s_and_saveexec_b64 s[8:9], s[6:7]
	s_cbranch_execz .LBB52_276
; %bb.267:
	s_andn2_b64 vcc, exec, s[10:11]
	s_cbranch_vccnz .LBB52_269
; %bb.268:
	buffer_load_dword v110, v109, s[0:3], 0 offen
	ds_read_b32 v111, v108
	s_waitcnt vmcnt(0) lgkmcnt(0)
	v_mul_f32_e32 v110, v110, v111
	s_cbranch_execz .LBB52_270
	s_branch .LBB52_271
.LBB52_269:
                                        ; implicit-def: $vgpr110
.LBB52_270:
	ds_read_b32 v110, v108
.LBB52_271:
	s_and_saveexec_b64 s[12:13], s[4:5]
	s_cbranch_execz .LBB52_275
; %bb.272:
	v_subrev_u32_e32 v111, 25, v0
	s_movk_i32 s40, 0x144
	s_mov_b64 s[4:5], 0
.LBB52_273:                             ; =>This Inner Loop Header: Depth=1
	v_mov_b32_e32 v112, s39
	buffer_load_dword v112, v112, s[0:3], 0 offen
	v_mov_b32_e32 v113, s40
	ds_read_b32 v113, v113
	v_add_u32_e32 v111, -1, v111
	s_add_i32 s40, s40, 4
	s_add_i32 s39, s39, 4
	v_cmp_eq_u32_e32 vcc, 0, v111
	s_or_b64 s[4:5], vcc, s[4:5]
	s_waitcnt vmcnt(0) lgkmcnt(0)
	v_fmac_f32_e32 v110, v112, v113
	s_andn2_b64 exec, exec, s[4:5]
	s_cbranch_execnz .LBB52_273
; %bb.274:
	s_or_b64 exec, exec, s[4:5]
.LBB52_275:
	s_or_b64 exec, exec, s[12:13]
	v_mov_b32_e32 v111, 0
	ds_read_b32 v111, v111 offset:96
	s_waitcnt lgkmcnt(0)
	v_mul_f32_e32 v110, v110, v111
	buffer_store_dword v110, off, s[0:3], 0 offset:96
.LBB52_276:
	s_or_b64 exec, exec, s[8:9]
	buffer_load_dword v110, off, s[0:3], 0 offset:92
	v_cmp_lt_u32_e64 s[4:5], 23, v0
	s_waitcnt vmcnt(0)
	ds_write_b32 v108, v110
	s_waitcnt lgkmcnt(0)
	; wave barrier
	s_and_saveexec_b64 s[8:9], s[4:5]
	s_cbranch_execz .LBB52_286
; %bb.277:
	s_andn2_b64 vcc, exec, s[10:11]
	s_cbranch_vccnz .LBB52_279
; %bb.278:
	buffer_load_dword v110, v109, s[0:3], 0 offen
	ds_read_b32 v111, v108
	s_waitcnt vmcnt(0) lgkmcnt(0)
	v_mul_f32_e32 v110, v110, v111
	s_cbranch_execz .LBB52_280
	s_branch .LBB52_281
.LBB52_279:
                                        ; implicit-def: $vgpr110
.LBB52_280:
	ds_read_b32 v110, v108
.LBB52_281:
	s_and_saveexec_b64 s[12:13], s[6:7]
	s_cbranch_execz .LBB52_285
; %bb.282:
	v_subrev_u32_e32 v111, 24, v0
	s_movk_i32 s39, 0x140
	s_mov_b64 s[6:7], 0
.LBB52_283:                             ; =>This Inner Loop Header: Depth=1
	v_mov_b32_e32 v112, s38
	buffer_load_dword v112, v112, s[0:3], 0 offen
	v_mov_b32_e32 v113, s39
	ds_read_b32 v113, v113
	v_add_u32_e32 v111, -1, v111
	s_add_i32 s39, s39, 4
	s_add_i32 s38, s38, 4
	v_cmp_eq_u32_e32 vcc, 0, v111
	s_or_b64 s[6:7], vcc, s[6:7]
	s_waitcnt vmcnt(0) lgkmcnt(0)
	v_fmac_f32_e32 v110, v112, v113
	s_andn2_b64 exec, exec, s[6:7]
	s_cbranch_execnz .LBB52_283
; %bb.284:
	s_or_b64 exec, exec, s[6:7]
.LBB52_285:
	s_or_b64 exec, exec, s[12:13]
	v_mov_b32_e32 v111, 0
	ds_read_b32 v111, v111 offset:92
	s_waitcnt lgkmcnt(0)
	v_mul_f32_e32 v110, v110, v111
	buffer_store_dword v110, off, s[0:3], 0 offset:92
.LBB52_286:
	s_or_b64 exec, exec, s[8:9]
	buffer_load_dword v110, off, s[0:3], 0 offset:88
	v_cmp_lt_u32_e64 s[6:7], 22, v0
	s_waitcnt vmcnt(0)
	ds_write_b32 v108, v110
	s_waitcnt lgkmcnt(0)
	; wave barrier
	s_and_saveexec_b64 s[8:9], s[6:7]
	s_cbranch_execz .LBB52_296
; %bb.287:
	s_andn2_b64 vcc, exec, s[10:11]
	s_cbranch_vccnz .LBB52_289
; %bb.288:
	buffer_load_dword v110, v109, s[0:3], 0 offen
	ds_read_b32 v111, v108
	s_waitcnt vmcnt(0) lgkmcnt(0)
	v_mul_f32_e32 v110, v110, v111
	s_cbranch_execz .LBB52_290
	s_branch .LBB52_291
.LBB52_289:
                                        ; implicit-def: $vgpr110
.LBB52_290:
	ds_read_b32 v110, v108
.LBB52_291:
	s_and_saveexec_b64 s[12:13], s[4:5]
	s_cbranch_execz .LBB52_295
; %bb.292:
	v_subrev_u32_e32 v111, 23, v0
	s_movk_i32 s38, 0x13c
	s_mov_b64 s[4:5], 0
.LBB52_293:                             ; =>This Inner Loop Header: Depth=1
	v_mov_b32_e32 v112, s37
	buffer_load_dword v112, v112, s[0:3], 0 offen
	v_mov_b32_e32 v113, s38
	ds_read_b32 v113, v113
	v_add_u32_e32 v111, -1, v111
	s_add_i32 s38, s38, 4
	s_add_i32 s37, s37, 4
	v_cmp_eq_u32_e32 vcc, 0, v111
	s_or_b64 s[4:5], vcc, s[4:5]
	s_waitcnt vmcnt(0) lgkmcnt(0)
	v_fmac_f32_e32 v110, v112, v113
	s_andn2_b64 exec, exec, s[4:5]
	s_cbranch_execnz .LBB52_293
; %bb.294:
	s_or_b64 exec, exec, s[4:5]
.LBB52_295:
	s_or_b64 exec, exec, s[12:13]
	v_mov_b32_e32 v111, 0
	ds_read_b32 v111, v111 offset:88
	s_waitcnt lgkmcnt(0)
	v_mul_f32_e32 v110, v110, v111
	buffer_store_dword v110, off, s[0:3], 0 offset:88
.LBB52_296:
	s_or_b64 exec, exec, s[8:9]
	buffer_load_dword v110, off, s[0:3], 0 offset:84
	v_cmp_lt_u32_e64 s[4:5], 21, v0
	s_waitcnt vmcnt(0)
	ds_write_b32 v108, v110
	s_waitcnt lgkmcnt(0)
	; wave barrier
	s_and_saveexec_b64 s[8:9], s[4:5]
	s_cbranch_execz .LBB52_306
; %bb.297:
	s_andn2_b64 vcc, exec, s[10:11]
	s_cbranch_vccnz .LBB52_299
; %bb.298:
	buffer_load_dword v110, v109, s[0:3], 0 offen
	ds_read_b32 v111, v108
	s_waitcnt vmcnt(0) lgkmcnt(0)
	v_mul_f32_e32 v110, v110, v111
	s_cbranch_execz .LBB52_300
	s_branch .LBB52_301
.LBB52_299:
                                        ; implicit-def: $vgpr110
.LBB52_300:
	ds_read_b32 v110, v108
.LBB52_301:
	s_and_saveexec_b64 s[12:13], s[6:7]
	s_cbranch_execz .LBB52_305
; %bb.302:
	v_subrev_u32_e32 v111, 22, v0
	s_movk_i32 s37, 0x138
	s_mov_b64 s[6:7], 0
.LBB52_303:                             ; =>This Inner Loop Header: Depth=1
	v_mov_b32_e32 v112, s36
	buffer_load_dword v112, v112, s[0:3], 0 offen
	v_mov_b32_e32 v113, s37
	ds_read_b32 v113, v113
	v_add_u32_e32 v111, -1, v111
	s_add_i32 s37, s37, 4
	s_add_i32 s36, s36, 4
	v_cmp_eq_u32_e32 vcc, 0, v111
	s_or_b64 s[6:7], vcc, s[6:7]
	s_waitcnt vmcnt(0) lgkmcnt(0)
	v_fmac_f32_e32 v110, v112, v113
	s_andn2_b64 exec, exec, s[6:7]
	s_cbranch_execnz .LBB52_303
; %bb.304:
	s_or_b64 exec, exec, s[6:7]
.LBB52_305:
	s_or_b64 exec, exec, s[12:13]
	v_mov_b32_e32 v111, 0
	ds_read_b32 v111, v111 offset:84
	s_waitcnt lgkmcnt(0)
	v_mul_f32_e32 v110, v110, v111
	buffer_store_dword v110, off, s[0:3], 0 offset:84
.LBB52_306:
	s_or_b64 exec, exec, s[8:9]
	buffer_load_dword v110, off, s[0:3], 0 offset:80
	v_cmp_lt_u32_e64 s[6:7], 20, v0
	s_waitcnt vmcnt(0)
	ds_write_b32 v108, v110
	s_waitcnt lgkmcnt(0)
	; wave barrier
	s_and_saveexec_b64 s[8:9], s[6:7]
	s_cbranch_execz .LBB52_316
; %bb.307:
	s_andn2_b64 vcc, exec, s[10:11]
	s_cbranch_vccnz .LBB52_309
; %bb.308:
	buffer_load_dword v110, v109, s[0:3], 0 offen
	ds_read_b32 v111, v108
	s_waitcnt vmcnt(0) lgkmcnt(0)
	v_mul_f32_e32 v110, v110, v111
	s_cbranch_execz .LBB52_310
	s_branch .LBB52_311
.LBB52_309:
                                        ; implicit-def: $vgpr110
.LBB52_310:
	ds_read_b32 v110, v108
.LBB52_311:
	s_and_saveexec_b64 s[12:13], s[4:5]
	s_cbranch_execz .LBB52_315
; %bb.312:
	v_subrev_u32_e32 v111, 21, v0
	s_movk_i32 s36, 0x134
	s_mov_b64 s[4:5], 0
.LBB52_313:                             ; =>This Inner Loop Header: Depth=1
	v_mov_b32_e32 v112, s35
	buffer_load_dword v112, v112, s[0:3], 0 offen
	v_mov_b32_e32 v113, s36
	ds_read_b32 v113, v113
	v_add_u32_e32 v111, -1, v111
	s_add_i32 s36, s36, 4
	s_add_i32 s35, s35, 4
	v_cmp_eq_u32_e32 vcc, 0, v111
	s_or_b64 s[4:5], vcc, s[4:5]
	s_waitcnt vmcnt(0) lgkmcnt(0)
	v_fmac_f32_e32 v110, v112, v113
	s_andn2_b64 exec, exec, s[4:5]
	s_cbranch_execnz .LBB52_313
; %bb.314:
	s_or_b64 exec, exec, s[4:5]
.LBB52_315:
	s_or_b64 exec, exec, s[12:13]
	v_mov_b32_e32 v111, 0
	ds_read_b32 v111, v111 offset:80
	s_waitcnt lgkmcnt(0)
	v_mul_f32_e32 v110, v110, v111
	buffer_store_dword v110, off, s[0:3], 0 offset:80
.LBB52_316:
	s_or_b64 exec, exec, s[8:9]
	buffer_load_dword v110, off, s[0:3], 0 offset:76
	v_cmp_lt_u32_e64 s[4:5], 19, v0
	s_waitcnt vmcnt(0)
	ds_write_b32 v108, v110
	s_waitcnt lgkmcnt(0)
	; wave barrier
	s_and_saveexec_b64 s[8:9], s[4:5]
	s_cbranch_execz .LBB52_326
; %bb.317:
	s_andn2_b64 vcc, exec, s[10:11]
	s_cbranch_vccnz .LBB52_319
; %bb.318:
	buffer_load_dword v110, v109, s[0:3], 0 offen
	ds_read_b32 v111, v108
	s_waitcnt vmcnt(0) lgkmcnt(0)
	v_mul_f32_e32 v110, v110, v111
	s_cbranch_execz .LBB52_320
	s_branch .LBB52_321
.LBB52_319:
                                        ; implicit-def: $vgpr110
.LBB52_320:
	ds_read_b32 v110, v108
.LBB52_321:
	s_and_saveexec_b64 s[12:13], s[6:7]
	s_cbranch_execz .LBB52_325
; %bb.322:
	v_subrev_u32_e32 v111, 20, v0
	s_movk_i32 s35, 0x130
	s_mov_b64 s[6:7], 0
.LBB52_323:                             ; =>This Inner Loop Header: Depth=1
	v_mov_b32_e32 v112, s34
	buffer_load_dword v112, v112, s[0:3], 0 offen
	v_mov_b32_e32 v113, s35
	ds_read_b32 v113, v113
	v_add_u32_e32 v111, -1, v111
	s_add_i32 s35, s35, 4
	s_add_i32 s34, s34, 4
	v_cmp_eq_u32_e32 vcc, 0, v111
	s_or_b64 s[6:7], vcc, s[6:7]
	s_waitcnt vmcnt(0) lgkmcnt(0)
	v_fmac_f32_e32 v110, v112, v113
	s_andn2_b64 exec, exec, s[6:7]
	s_cbranch_execnz .LBB52_323
; %bb.324:
	s_or_b64 exec, exec, s[6:7]
.LBB52_325:
	s_or_b64 exec, exec, s[12:13]
	v_mov_b32_e32 v111, 0
	ds_read_b32 v111, v111 offset:76
	s_waitcnt lgkmcnt(0)
	v_mul_f32_e32 v110, v110, v111
	buffer_store_dword v110, off, s[0:3], 0 offset:76
.LBB52_326:
	s_or_b64 exec, exec, s[8:9]
	buffer_load_dword v110, off, s[0:3], 0 offset:72
	v_cmp_lt_u32_e64 s[6:7], 18, v0
	s_waitcnt vmcnt(0)
	ds_write_b32 v108, v110
	s_waitcnt lgkmcnt(0)
	; wave barrier
	s_and_saveexec_b64 s[8:9], s[6:7]
	s_cbranch_execz .LBB52_336
; %bb.327:
	s_andn2_b64 vcc, exec, s[10:11]
	s_cbranch_vccnz .LBB52_329
; %bb.328:
	buffer_load_dword v110, v109, s[0:3], 0 offen
	ds_read_b32 v111, v108
	s_waitcnt vmcnt(0) lgkmcnt(0)
	v_mul_f32_e32 v110, v110, v111
	s_cbranch_execz .LBB52_330
	s_branch .LBB52_331
.LBB52_329:
                                        ; implicit-def: $vgpr110
.LBB52_330:
	ds_read_b32 v110, v108
.LBB52_331:
	s_and_saveexec_b64 s[12:13], s[4:5]
	s_cbranch_execz .LBB52_335
; %bb.332:
	v_subrev_u32_e32 v111, 19, v0
	s_movk_i32 s34, 0x12c
	s_mov_b64 s[4:5], 0
.LBB52_333:                             ; =>This Inner Loop Header: Depth=1
	v_mov_b32_e32 v112, s33
	buffer_load_dword v112, v112, s[0:3], 0 offen
	v_mov_b32_e32 v113, s34
	ds_read_b32 v113, v113
	v_add_u32_e32 v111, -1, v111
	s_add_i32 s34, s34, 4
	s_add_i32 s33, s33, 4
	v_cmp_eq_u32_e32 vcc, 0, v111
	s_or_b64 s[4:5], vcc, s[4:5]
	s_waitcnt vmcnt(0) lgkmcnt(0)
	v_fmac_f32_e32 v110, v112, v113
	s_andn2_b64 exec, exec, s[4:5]
	s_cbranch_execnz .LBB52_333
; %bb.334:
	s_or_b64 exec, exec, s[4:5]
.LBB52_335:
	s_or_b64 exec, exec, s[12:13]
	v_mov_b32_e32 v111, 0
	ds_read_b32 v111, v111 offset:72
	s_waitcnt lgkmcnt(0)
	v_mul_f32_e32 v110, v110, v111
	buffer_store_dword v110, off, s[0:3], 0 offset:72
.LBB52_336:
	s_or_b64 exec, exec, s[8:9]
	buffer_load_dword v110, off, s[0:3], 0 offset:68
	v_cmp_lt_u32_e64 s[4:5], 17, v0
	s_waitcnt vmcnt(0)
	ds_write_b32 v108, v110
	s_waitcnt lgkmcnt(0)
	; wave barrier
	s_and_saveexec_b64 s[8:9], s[4:5]
	s_cbranch_execz .LBB52_346
; %bb.337:
	s_andn2_b64 vcc, exec, s[10:11]
	s_cbranch_vccnz .LBB52_339
; %bb.338:
	buffer_load_dword v110, v109, s[0:3], 0 offen
	ds_read_b32 v111, v108
	s_waitcnt vmcnt(0) lgkmcnt(0)
	v_mul_f32_e32 v110, v110, v111
	s_cbranch_execz .LBB52_340
	s_branch .LBB52_341
.LBB52_339:
                                        ; implicit-def: $vgpr110
.LBB52_340:
	ds_read_b32 v110, v108
.LBB52_341:
	s_and_saveexec_b64 s[12:13], s[6:7]
	s_cbranch_execz .LBB52_345
; %bb.342:
	v_subrev_u32_e32 v111, 18, v0
	s_movk_i32 s33, 0x128
	s_mov_b64 s[6:7], 0
.LBB52_343:                             ; =>This Inner Loop Header: Depth=1
	v_mov_b32_e32 v112, s31
	buffer_load_dword v112, v112, s[0:3], 0 offen
	v_mov_b32_e32 v113, s33
	ds_read_b32 v113, v113
	v_add_u32_e32 v111, -1, v111
	s_add_i32 s33, s33, 4
	s_add_i32 s31, s31, 4
	v_cmp_eq_u32_e32 vcc, 0, v111
	s_or_b64 s[6:7], vcc, s[6:7]
	s_waitcnt vmcnt(0) lgkmcnt(0)
	v_fmac_f32_e32 v110, v112, v113
	s_andn2_b64 exec, exec, s[6:7]
	s_cbranch_execnz .LBB52_343
; %bb.344:
	s_or_b64 exec, exec, s[6:7]
.LBB52_345:
	s_or_b64 exec, exec, s[12:13]
	v_mov_b32_e32 v111, 0
	ds_read_b32 v111, v111 offset:68
	s_waitcnt lgkmcnt(0)
	v_mul_f32_e32 v110, v110, v111
	buffer_store_dword v110, off, s[0:3], 0 offset:68
.LBB52_346:
	s_or_b64 exec, exec, s[8:9]
	buffer_load_dword v110, off, s[0:3], 0 offset:64
	v_cmp_lt_u32_e64 s[6:7], 16, v0
	s_waitcnt vmcnt(0)
	ds_write_b32 v108, v110
	s_waitcnt lgkmcnt(0)
	; wave barrier
	s_and_saveexec_b64 s[8:9], s[6:7]
	s_cbranch_execz .LBB52_356
; %bb.347:
	s_andn2_b64 vcc, exec, s[10:11]
	s_cbranch_vccnz .LBB52_349
; %bb.348:
	buffer_load_dword v110, v109, s[0:3], 0 offen
	ds_read_b32 v111, v108
	s_waitcnt vmcnt(0) lgkmcnt(0)
	v_mul_f32_e32 v110, v110, v111
	s_cbranch_execz .LBB52_350
	s_branch .LBB52_351
.LBB52_349:
                                        ; implicit-def: $vgpr110
.LBB52_350:
	ds_read_b32 v110, v108
.LBB52_351:
	s_and_saveexec_b64 s[12:13], s[4:5]
	s_cbranch_execz .LBB52_355
; %bb.352:
	v_subrev_u32_e32 v111, 17, v0
	s_movk_i32 s31, 0x124
	s_mov_b64 s[4:5], 0
.LBB52_353:                             ; =>This Inner Loop Header: Depth=1
	v_mov_b32_e32 v112, s30
	buffer_load_dword v112, v112, s[0:3], 0 offen
	v_mov_b32_e32 v113, s31
	ds_read_b32 v113, v113
	v_add_u32_e32 v111, -1, v111
	s_add_i32 s31, s31, 4
	s_add_i32 s30, s30, 4
	v_cmp_eq_u32_e32 vcc, 0, v111
	s_or_b64 s[4:5], vcc, s[4:5]
	s_waitcnt vmcnt(0) lgkmcnt(0)
	v_fmac_f32_e32 v110, v112, v113
	s_andn2_b64 exec, exec, s[4:5]
	s_cbranch_execnz .LBB52_353
; %bb.354:
	s_or_b64 exec, exec, s[4:5]
.LBB52_355:
	s_or_b64 exec, exec, s[12:13]
	v_mov_b32_e32 v111, 0
	ds_read_b32 v111, v111 offset:64
	s_waitcnt lgkmcnt(0)
	v_mul_f32_e32 v110, v110, v111
	buffer_store_dword v110, off, s[0:3], 0 offset:64
.LBB52_356:
	s_or_b64 exec, exec, s[8:9]
	buffer_load_dword v110, off, s[0:3], 0 offset:60
	v_cmp_lt_u32_e64 s[4:5], 15, v0
	s_waitcnt vmcnt(0)
	ds_write_b32 v108, v110
	s_waitcnt lgkmcnt(0)
	; wave barrier
	s_and_saveexec_b64 s[8:9], s[4:5]
	s_cbranch_execz .LBB52_366
; %bb.357:
	s_andn2_b64 vcc, exec, s[10:11]
	s_cbranch_vccnz .LBB52_359
; %bb.358:
	buffer_load_dword v110, v109, s[0:3], 0 offen
	ds_read_b32 v111, v108
	s_waitcnt vmcnt(0) lgkmcnt(0)
	v_mul_f32_e32 v110, v110, v111
	s_cbranch_execz .LBB52_360
	s_branch .LBB52_361
.LBB52_359:
                                        ; implicit-def: $vgpr110
.LBB52_360:
	ds_read_b32 v110, v108
.LBB52_361:
	s_and_saveexec_b64 s[12:13], s[6:7]
	s_cbranch_execz .LBB52_365
; %bb.362:
	v_add_u32_e32 v111, -16, v0
	s_movk_i32 s30, 0x120
	s_mov_b64 s[6:7], 0
.LBB52_363:                             ; =>This Inner Loop Header: Depth=1
	v_mov_b32_e32 v112, s29
	buffer_load_dword v112, v112, s[0:3], 0 offen
	v_mov_b32_e32 v113, s30
	ds_read_b32 v113, v113
	v_add_u32_e32 v111, -1, v111
	s_add_i32 s30, s30, 4
	s_add_i32 s29, s29, 4
	v_cmp_eq_u32_e32 vcc, 0, v111
	s_or_b64 s[6:7], vcc, s[6:7]
	s_waitcnt vmcnt(0) lgkmcnt(0)
	v_fmac_f32_e32 v110, v112, v113
	s_andn2_b64 exec, exec, s[6:7]
	s_cbranch_execnz .LBB52_363
; %bb.364:
	s_or_b64 exec, exec, s[6:7]
.LBB52_365:
	s_or_b64 exec, exec, s[12:13]
	v_mov_b32_e32 v111, 0
	ds_read_b32 v111, v111 offset:60
	s_waitcnt lgkmcnt(0)
	v_mul_f32_e32 v110, v110, v111
	buffer_store_dword v110, off, s[0:3], 0 offset:60
.LBB52_366:
	s_or_b64 exec, exec, s[8:9]
	buffer_load_dword v110, off, s[0:3], 0 offset:56
	v_cmp_lt_u32_e64 s[6:7], 14, v0
	s_waitcnt vmcnt(0)
	ds_write_b32 v108, v110
	s_waitcnt lgkmcnt(0)
	; wave barrier
	s_and_saveexec_b64 s[8:9], s[6:7]
	s_cbranch_execz .LBB52_376
; %bb.367:
	s_andn2_b64 vcc, exec, s[10:11]
	s_cbranch_vccnz .LBB52_369
; %bb.368:
	buffer_load_dword v110, v109, s[0:3], 0 offen
	ds_read_b32 v111, v108
	s_waitcnt vmcnt(0) lgkmcnt(0)
	v_mul_f32_e32 v110, v110, v111
	s_cbranch_execz .LBB52_370
	s_branch .LBB52_371
.LBB52_369:
                                        ; implicit-def: $vgpr110
.LBB52_370:
	ds_read_b32 v110, v108
.LBB52_371:
	s_and_saveexec_b64 s[12:13], s[4:5]
	s_cbranch_execz .LBB52_375
; %bb.372:
	v_add_u32_e32 v111, -15, v0
	s_movk_i32 s29, 0x11c
	s_mov_b64 s[4:5], 0
.LBB52_373:                             ; =>This Inner Loop Header: Depth=1
	v_mov_b32_e32 v112, s28
	buffer_load_dword v112, v112, s[0:3], 0 offen
	v_mov_b32_e32 v113, s29
	ds_read_b32 v113, v113
	v_add_u32_e32 v111, -1, v111
	s_add_i32 s29, s29, 4
	s_add_i32 s28, s28, 4
	v_cmp_eq_u32_e32 vcc, 0, v111
	s_or_b64 s[4:5], vcc, s[4:5]
	s_waitcnt vmcnt(0) lgkmcnt(0)
	v_fmac_f32_e32 v110, v112, v113
	s_andn2_b64 exec, exec, s[4:5]
	s_cbranch_execnz .LBB52_373
; %bb.374:
	s_or_b64 exec, exec, s[4:5]
.LBB52_375:
	s_or_b64 exec, exec, s[12:13]
	v_mov_b32_e32 v111, 0
	ds_read_b32 v111, v111 offset:56
	s_waitcnt lgkmcnt(0)
	v_mul_f32_e32 v110, v110, v111
	buffer_store_dword v110, off, s[0:3], 0 offset:56
.LBB52_376:
	;; [unrolled: 54-line block ×15, first 2 shown]
	s_or_b64 exec, exec, s[8:9]
	buffer_load_dword v110, off, s[0:3], 0
	v_cmp_ne_u32_e32 vcc, 0, v0
	s_waitcnt vmcnt(0)
	ds_write_b32 v108, v110
	s_waitcnt lgkmcnt(0)
	; wave barrier
	s_and_saveexec_b64 s[6:7], vcc
	s_cbranch_execz .LBB52_516
; %bb.507:
	s_andn2_b64 vcc, exec, s[10:11]
	s_cbranch_vccnz .LBB52_509
; %bb.508:
	buffer_load_dword v110, v109, s[0:3], 0 offen
	ds_read_b32 v111, v108
	s_waitcnt vmcnt(0) lgkmcnt(0)
	v_mul_f32_e32 v110, v110, v111
	s_cbranch_execz .LBB52_510
	s_branch .LBB52_511
.LBB52_509:
                                        ; implicit-def: $vgpr110
.LBB52_510:
	ds_read_b32 v110, v108
.LBB52_511:
	s_and_saveexec_b64 s[8:9], s[4:5]
	s_cbranch_execz .LBB52_515
; %bb.512:
	v_add_u32_e32 v111, -1, v0
	s_movk_i32 s12, 0xe4
	s_mov_b64 s[4:5], 0
.LBB52_513:                             ; =>This Inner Loop Header: Depth=1
	v_mov_b32_e32 v112, s14
	buffer_load_dword v112, v112, s[0:3], 0 offen
	v_mov_b32_e32 v113, s12
	ds_read_b32 v113, v113
	v_add_u32_e32 v111, -1, v111
	s_add_i32 s12, s12, 4
	s_add_i32 s14, s14, 4
	v_cmp_eq_u32_e32 vcc, 0, v111
	s_or_b64 s[4:5], vcc, s[4:5]
	s_waitcnt vmcnt(0) lgkmcnt(0)
	v_fmac_f32_e32 v110, v112, v113
	s_andn2_b64 exec, exec, s[4:5]
	s_cbranch_execnz .LBB52_513
; %bb.514:
	s_or_b64 exec, exec, s[4:5]
.LBB52_515:
	s_or_b64 exec, exec, s[8:9]
	v_mov_b32_e32 v111, 0
	ds_read_b32 v111, v111
	s_waitcnt lgkmcnt(0)
	v_mul_f32_e32 v110, v110, v111
	buffer_store_dword v110, off, s[0:3], 0
.LBB52_516:
	s_or_b64 exec, exec, s[6:7]
	s_mov_b64 s[4:5], 0
.LBB52_517:
	s_and_b64 vcc, exec, s[4:5]
	s_cbranch_vccz .LBB52_1029
; %bb.518:
	buffer_load_dword v110, off, s[0:3], 0 offset:4
	v_cmp_eq_u32_e64 s[6:7], 0, v0
	s_waitcnt vmcnt(0)
	ds_write_b32 v108, v110
	s_waitcnt lgkmcnt(0)
	; wave barrier
	s_and_saveexec_b64 s[4:5], s[6:7]
	s_cbranch_execz .LBB52_524
; %bb.519:
	s_and_b64 vcc, exec, s[10:11]
	s_cbranch_vccz .LBB52_521
; %bb.520:
	buffer_load_dword v110, v109, s[0:3], 0 offen
	ds_read_b32 v111, v108
	s_waitcnt vmcnt(0) lgkmcnt(0)
	v_mul_f32_e32 v110, v110, v111
	s_cbranch_execz .LBB52_522
	s_branch .LBB52_523
.LBB52_521:
                                        ; implicit-def: $vgpr110
.LBB52_522:
	ds_read_b32 v110, v108
.LBB52_523:
	v_mov_b32_e32 v111, 0
	ds_read_b32 v111, v111 offset:4
	s_waitcnt lgkmcnt(0)
	v_mul_f32_e32 v110, v110, v111
	buffer_store_dword v110, off, s[0:3], 0 offset:4
.LBB52_524:
	s_or_b64 exec, exec, s[4:5]
	buffer_load_dword v110, off, s[0:3], 0 offset:8
	v_cndmask_b32_e64 v111, 0, 1, s[10:11]
	v_cmp_gt_u32_e32 vcc, 2, v0
	v_cmp_ne_u32_e64 s[4:5], 1, v111
	s_waitcnt vmcnt(0)
	ds_write_b32 v108, v110
	s_waitcnt lgkmcnt(0)
	; wave barrier
	s_and_saveexec_b64 s[8:9], vcc
	s_cbranch_execz .LBB52_530
; %bb.525:
	s_and_b64 vcc, exec, s[4:5]
	s_cbranch_vccnz .LBB52_527
; %bb.526:
	buffer_load_dword v110, v109, s[0:3], 0 offen
	ds_read_b32 v111, v108
	s_waitcnt vmcnt(0) lgkmcnt(0)
	v_mul_f32_e32 v110, v110, v111
	s_cbranch_execz .LBB52_528
	s_branch .LBB52_529
.LBB52_527:
                                        ; implicit-def: $vgpr110
.LBB52_528:
	ds_read_b32 v110, v108
.LBB52_529:
	buffer_load_dword v113, off, s[0:3], 0 offset:4
	v_mov_b32_e32 v111, 0
	ds_read2_b32 v[111:112], v111 offset0:2 offset1:57
	s_waitcnt vmcnt(0) lgkmcnt(0)
	v_fma_f32 v112, v113, v112, v110
	v_cndmask_b32_e64 v110, v110, v112, s[6:7]
	v_mul_f32_e32 v110, v110, v111
	buffer_store_dword v110, off, s[0:3], 0 offset:8
.LBB52_530:
	s_or_b64 exec, exec, s[8:9]
	buffer_load_dword v110, off, s[0:3], 0 offset:12
	v_cmp_gt_u32_e32 vcc, 3, v0
	s_waitcnt vmcnt(0)
	ds_write_b32 v108, v110
	s_waitcnt lgkmcnt(0)
	; wave barrier
	s_and_saveexec_b64 s[8:9], vcc
	s_cbranch_execz .LBB52_538
; %bb.531:
	s_and_b64 vcc, exec, s[4:5]
	s_cbranch_vccnz .LBB52_533
; %bb.532:
	buffer_load_dword v110, v109, s[0:3], 0 offen
	ds_read_b32 v111, v108
	s_waitcnt vmcnt(0) lgkmcnt(0)
	v_mul_f32_e32 v110, v110, v111
	s_cbranch_execz .LBB52_534
	s_branch .LBB52_535
.LBB52_533:
                                        ; implicit-def: $vgpr110
.LBB52_534:
	ds_read_b32 v110, v108
.LBB52_535:
	v_cmp_ne_u32_e32 vcc, 2, v0
	s_and_saveexec_b64 s[10:11], vcc
	s_cbranch_execz .LBB52_537
; %bb.536:
	buffer_load_dword v111, v109, s[0:3], 0 offen offset:4
	buffer_load_dword v112, off, s[0:3], 0 offset:8
	v_mov_b32_e32 v113, 0
	ds_read_b32 v114, v108 offset:4
	ds_read_b32 v113, v113 offset:232
	s_waitcnt vmcnt(1) lgkmcnt(1)
	v_fmac_f32_e32 v110, v111, v114
	s_waitcnt vmcnt(0) lgkmcnt(0)
	v_fma_f32 v111, v112, v113, v110
	v_cndmask_b32_e64 v110, v110, v111, s[6:7]
.LBB52_537:
	s_or_b64 exec, exec, s[10:11]
	v_mov_b32_e32 v111, 0
	ds_read_b32 v111, v111 offset:12
	s_waitcnt lgkmcnt(0)
	v_mul_f32_e32 v110, v110, v111
	buffer_store_dword v110, off, s[0:3], 0 offset:12
.LBB52_538:
	s_or_b64 exec, exec, s[8:9]
	buffer_load_dword v110, off, s[0:3], 0 offset:16
	v_cmp_gt_u32_e32 vcc, 4, v0
	s_waitcnt vmcnt(0)
	ds_write_b32 v108, v110
	s_waitcnt lgkmcnt(0)
	; wave barrier
	s_and_saveexec_b64 s[6:7], vcc
	s_cbranch_execz .LBB52_548
; %bb.539:
	s_and_b64 vcc, exec, s[4:5]
	s_cbranch_vccnz .LBB52_541
; %bb.540:
	buffer_load_dword v110, v109, s[0:3], 0 offen
	ds_read_b32 v111, v108
	s_waitcnt vmcnt(0) lgkmcnt(0)
	v_mul_f32_e32 v110, v110, v111
	s_cbranch_execz .LBB52_542
	s_branch .LBB52_543
.LBB52_541:
                                        ; implicit-def: $vgpr110
.LBB52_542:
	ds_read_b32 v110, v108
.LBB52_543:
	v_cmp_ne_u32_e32 vcc, 3, v0
	s_and_saveexec_b64 s[8:9], vcc
	s_cbranch_execz .LBB52_547
; %bb.544:
	s_mov_b32 s10, 0
	v_add_u32_e32 v111, 0xe4, v107
	v_add3_u32 v112, v107, s10, 4
	s_mov_b64 s[10:11], 0
	v_mov_b32_e32 v113, v0
.LBB52_545:                             ; =>This Inner Loop Header: Depth=1
	buffer_load_dword v114, v112, s[0:3], 0 offen
	ds_read_b32 v115, v111
	v_add_u32_e32 v113, 1, v113
	v_cmp_lt_u32_e32 vcc, 2, v113
	v_add_u32_e32 v111, 4, v111
	v_add_u32_e32 v112, 4, v112
	s_or_b64 s[10:11], vcc, s[10:11]
	s_waitcnt vmcnt(0) lgkmcnt(0)
	v_fmac_f32_e32 v110, v114, v115
	s_andn2_b64 exec, exec, s[10:11]
	s_cbranch_execnz .LBB52_545
; %bb.546:
	s_or_b64 exec, exec, s[10:11]
.LBB52_547:
	s_or_b64 exec, exec, s[8:9]
	v_mov_b32_e32 v111, 0
	ds_read_b32 v111, v111 offset:16
	s_waitcnt lgkmcnt(0)
	v_mul_f32_e32 v110, v110, v111
	buffer_store_dword v110, off, s[0:3], 0 offset:16
.LBB52_548:
	s_or_b64 exec, exec, s[6:7]
	buffer_load_dword v110, off, s[0:3], 0 offset:20
	v_cmp_gt_u32_e32 vcc, 5, v0
	s_waitcnt vmcnt(0)
	ds_write_b32 v108, v110
	s_waitcnt lgkmcnt(0)
	; wave barrier
	s_and_saveexec_b64 s[6:7], vcc
	s_cbranch_execz .LBB52_558
; %bb.549:
	s_and_b64 vcc, exec, s[4:5]
	s_cbranch_vccnz .LBB52_551
; %bb.550:
	buffer_load_dword v110, v109, s[0:3], 0 offen
	ds_read_b32 v111, v108
	s_waitcnt vmcnt(0) lgkmcnt(0)
	v_mul_f32_e32 v110, v110, v111
	s_cbranch_execz .LBB52_552
	s_branch .LBB52_553
.LBB52_551:
                                        ; implicit-def: $vgpr110
.LBB52_552:
	ds_read_b32 v110, v108
.LBB52_553:
	v_cmp_ne_u32_e32 vcc, 4, v0
	s_and_saveexec_b64 s[8:9], vcc
	s_cbranch_execz .LBB52_557
; %bb.554:
	s_mov_b32 s10, 0
	v_add_u32_e32 v111, 0xe4, v107
	v_add3_u32 v112, v107, s10, 4
	s_mov_b64 s[10:11], 0
	v_mov_b32_e32 v113, v0
.LBB52_555:                             ; =>This Inner Loop Header: Depth=1
	buffer_load_dword v114, v112, s[0:3], 0 offen
	ds_read_b32 v115, v111
	v_add_u32_e32 v113, 1, v113
	v_cmp_lt_u32_e32 vcc, 3, v113
	v_add_u32_e32 v111, 4, v111
	v_add_u32_e32 v112, 4, v112
	s_or_b64 s[10:11], vcc, s[10:11]
	s_waitcnt vmcnt(0) lgkmcnt(0)
	v_fmac_f32_e32 v110, v114, v115
	s_andn2_b64 exec, exec, s[10:11]
	s_cbranch_execnz .LBB52_555
; %bb.556:
	s_or_b64 exec, exec, s[10:11]
.LBB52_557:
	s_or_b64 exec, exec, s[8:9]
	v_mov_b32_e32 v111, 0
	ds_read_b32 v111, v111 offset:20
	s_waitcnt lgkmcnt(0)
	v_mul_f32_e32 v110, v110, v111
	buffer_store_dword v110, off, s[0:3], 0 offset:20
.LBB52_558:
	;; [unrolled: 55-line block ×46, first 2 shown]
	s_or_b64 exec, exec, s[6:7]
	buffer_load_dword v110, off, s[0:3], 0 offset:200
	v_cmp_gt_u32_e32 vcc, 50, v0
	s_waitcnt vmcnt(0)
	ds_write_b32 v108, v110
	s_waitcnt lgkmcnt(0)
	; wave barrier
	s_and_saveexec_b64 s[6:7], vcc
	s_cbranch_execz .LBB52_1008
; %bb.999:
	s_and_b64 vcc, exec, s[4:5]
	s_cbranch_vccnz .LBB52_1001
; %bb.1000:
	buffer_load_dword v110, v109, s[0:3], 0 offen
	ds_read_b32 v111, v108
	s_waitcnt vmcnt(0) lgkmcnt(0)
	v_mul_f32_e32 v110, v110, v111
	s_cbranch_execz .LBB52_1002
	s_branch .LBB52_1003
.LBB52_1001:
                                        ; implicit-def: $vgpr110
.LBB52_1002:
	ds_read_b32 v110, v108
.LBB52_1003:
	v_cmp_ne_u32_e32 vcc, 49, v0
	s_and_saveexec_b64 s[8:9], vcc
	s_cbranch_execz .LBB52_1007
; %bb.1004:
	s_mov_b32 s10, 0
	v_add_u32_e32 v111, 0xe4, v107
	v_add3_u32 v112, v107, s10, 4
	s_mov_b64 s[10:11], 0
	v_mov_b32_e32 v113, v0
.LBB52_1005:                            ; =>This Inner Loop Header: Depth=1
	buffer_load_dword v114, v112, s[0:3], 0 offen
	ds_read_b32 v115, v111
	v_add_u32_e32 v113, 1, v113
	v_cmp_lt_u32_e32 vcc, 48, v113
	v_add_u32_e32 v111, 4, v111
	v_add_u32_e32 v112, 4, v112
	s_or_b64 s[10:11], vcc, s[10:11]
	s_waitcnt vmcnt(0) lgkmcnt(0)
	v_fmac_f32_e32 v110, v114, v115
	s_andn2_b64 exec, exec, s[10:11]
	s_cbranch_execnz .LBB52_1005
; %bb.1006:
	s_or_b64 exec, exec, s[10:11]
.LBB52_1007:
	s_or_b64 exec, exec, s[8:9]
	v_mov_b32_e32 v111, 0
	ds_read_b32 v111, v111 offset:200
	s_waitcnt lgkmcnt(0)
	v_mul_f32_e32 v110, v110, v111
	buffer_store_dword v110, off, s[0:3], 0 offset:200
.LBB52_1008:
	s_or_b64 exec, exec, s[6:7]
	buffer_load_dword v110, off, s[0:3], 0 offset:204
	v_cmp_gt_u32_e64 s[6:7], 51, v0
	s_waitcnt vmcnt(0)
	ds_write_b32 v108, v110
	s_waitcnt lgkmcnt(0)
	; wave barrier
	s_and_saveexec_b64 s[8:9], s[6:7]
	s_cbranch_execz .LBB52_1018
; %bb.1009:
	s_and_b64 vcc, exec, s[4:5]
	s_cbranch_vccnz .LBB52_1011
; %bb.1010:
	buffer_load_dword v110, v109, s[0:3], 0 offen
	ds_read_b32 v111, v108
	s_waitcnt vmcnt(0) lgkmcnt(0)
	v_mul_f32_e32 v110, v110, v111
	s_cbranch_execz .LBB52_1012
	s_branch .LBB52_1013
.LBB52_1011:
                                        ; implicit-def: $vgpr110
.LBB52_1012:
	ds_read_b32 v110, v108
.LBB52_1013:
	v_cmp_ne_u32_e32 vcc, 50, v0
	s_and_saveexec_b64 s[10:11], vcc
	s_cbranch_execz .LBB52_1017
; %bb.1014:
	s_mov_b32 s12, 0
	v_add_u32_e32 v111, 0xe4, v107
	v_add3_u32 v112, v107, s12, 4
	s_mov_b64 s[12:13], 0
	v_mov_b32_e32 v113, v0
.LBB52_1015:                            ; =>This Inner Loop Header: Depth=1
	buffer_load_dword v114, v112, s[0:3], 0 offen
	ds_read_b32 v115, v111
	v_add_u32_e32 v113, 1, v113
	v_cmp_lt_u32_e32 vcc, 49, v113
	v_add_u32_e32 v111, 4, v111
	v_add_u32_e32 v112, 4, v112
	s_or_b64 s[12:13], vcc, s[12:13]
	s_waitcnt vmcnt(0) lgkmcnt(0)
	v_fmac_f32_e32 v110, v114, v115
	s_andn2_b64 exec, exec, s[12:13]
	s_cbranch_execnz .LBB52_1015
; %bb.1016:
	s_or_b64 exec, exec, s[12:13]
.LBB52_1017:
	s_or_b64 exec, exec, s[10:11]
	v_mov_b32_e32 v111, 0
	ds_read_b32 v111, v111 offset:204
	s_waitcnt lgkmcnt(0)
	v_mul_f32_e32 v110, v110, v111
	buffer_store_dword v110, off, s[0:3], 0 offset:204
.LBB52_1018:
	s_or_b64 exec, exec, s[8:9]
	buffer_load_dword v110, off, s[0:3], 0 offset:208
	v_cmp_ne_u32_e32 vcc, 52, v0
	s_waitcnt vmcnt(0)
	ds_write_b32 v108, v110
	s_waitcnt lgkmcnt(0)
	; wave barrier
	s_and_saveexec_b64 s[8:9], vcc
	s_cbranch_execz .LBB52_1028
; %bb.1019:
	s_and_b64 vcc, exec, s[4:5]
	s_cbranch_vccnz .LBB52_1021
; %bb.1020:
	buffer_load_dword v109, v109, s[0:3], 0 offen
	ds_read_b32 v110, v108
	s_waitcnt vmcnt(0) lgkmcnt(0)
	v_mul_f32_e32 v109, v109, v110
	s_cbranch_execz .LBB52_1022
	s_branch .LBB52_1023
.LBB52_1021:
                                        ; implicit-def: $vgpr109
.LBB52_1022:
	ds_read_b32 v109, v108
.LBB52_1023:
	s_and_saveexec_b64 s[4:5], s[6:7]
	s_cbranch_execz .LBB52_1027
; %bb.1024:
	s_mov_b32 s6, 0
	v_add_u32_e32 v108, 0xe4, v107
	v_add3_u32 v107, v107, s6, 4
	s_mov_b64 s[6:7], 0
.LBB52_1025:                            ; =>This Inner Loop Header: Depth=1
	buffer_load_dword v110, v107, s[0:3], 0 offen
	ds_read_b32 v111, v108
	v_add_u32_e32 v0, 1, v0
	v_cmp_lt_u32_e32 vcc, 50, v0
	v_add_u32_e32 v108, 4, v108
	v_add_u32_e32 v107, 4, v107
	s_or_b64 s[6:7], vcc, s[6:7]
	s_waitcnt vmcnt(0) lgkmcnt(0)
	v_fmac_f32_e32 v109, v110, v111
	s_andn2_b64 exec, exec, s[6:7]
	s_cbranch_execnz .LBB52_1025
; %bb.1026:
	s_or_b64 exec, exec, s[6:7]
.LBB52_1027:
	s_or_b64 exec, exec, s[4:5]
	v_mov_b32_e32 v0, 0
	ds_read_b32 v0, v0 offset:208
	s_waitcnt lgkmcnt(0)
	v_mul_f32_e32 v0, v109, v0
	buffer_store_dword v0, off, s[0:3], 0 offset:208
.LBB52_1028:
	s_or_b64 exec, exec, s[8:9]
.LBB52_1029:
	buffer_load_dword v0, off, s[0:3], 0
	buffer_load_dword v107, off, s[0:3], 0 offset:4
	buffer_load_dword v108, off, s[0:3], 0 offset:8
	;; [unrolled: 1-line block ×15, first 2 shown]
	s_waitcnt vmcnt(15)
	global_store_dword v[103:104], v0, off
	s_waitcnt vmcnt(15)
	global_store_dword v[105:106], v107, off
	buffer_load_dword v0, off, s[0:3], 0 offset:64
	buffer_load_dword v103, off, s[0:3], 0 offset:68
	;; [unrolled: 1-line block ×3, first 2 shown]
	s_nop 0
	buffer_load_dword v105, off, s[0:3], 0 offset:76
	buffer_load_dword v106, off, s[0:3], 0 offset:80
	;; [unrolled: 1-line block ×5, first 2 shown]
	s_waitcnt vmcnt(23)
	global_store_dword v[1:2], v108, off
	s_waitcnt vmcnt(23)
	global_store_dword v[3:4], v109, off
	;; [unrolled: 2-line block ×3, first 2 shown]
	buffer_load_dword v1, off, s[0:3], 0 offset:96
	buffer_load_dword v2, off, s[0:3], 0 offset:100
	;; [unrolled: 1-line block ×4, first 2 shown]
	s_nop 0
	buffer_load_dword v7, off, s[0:3], 0 offset:112
	buffer_load_dword v8, off, s[0:3], 0 offset:116
	;; [unrolled: 1-line block ×4, first 2 shown]
	s_waitcnt vmcnt(31)
	global_store_dword v[5:6], v111, off
	s_waitcnt vmcnt(31)
	global_store_dword v[9:10], v112, off
	;; [unrolled: 2-line block ×3, first 2 shown]
	buffer_load_dword v5, off, s[0:3], 0 offset:128
	buffer_load_dword v6, off, s[0:3], 0 offset:132
	;; [unrolled: 1-line block ×4, first 2 shown]
	s_nop 0
	buffer_load_dword v13, off, s[0:3], 0 offset:144
	buffer_load_dword v14, off, s[0:3], 0 offset:148
	;; [unrolled: 1-line block ×4, first 2 shown]
	s_waitcnt vmcnt(39)
	global_store_dword v[11:12], v114, off
	s_waitcnt vmcnt(39)
	global_store_dword v[17:18], v115, off
	buffer_load_dword v11, off, s[0:3], 0 offset:160
	buffer_load_dword v12, off, s[0:3], 0 offset:164
	s_nop 0
	buffer_load_dword v17, off, s[0:3], 0 offset:168
	buffer_load_dword v18, off, s[0:3], 0 offset:172
	;; [unrolled: 1-line block ×6, first 2 shown]
	s_waitcnt vmcnt(47)
	global_store_dword v[15:16], v116, off
	s_waitcnt vmcnt(47)
	global_store_dword v[19:20], v117, off
	buffer_load_dword v15, off, s[0:3], 0 offset:192
	buffer_load_dword v16, off, s[0:3], 0 offset:196
	s_nop 0
	buffer_load_dword v19, off, s[0:3], 0 offset:200
	buffer_load_dword v20, off, s[0:3], 0 offset:204
	;; [unrolled: 1-line block ×3, first 2 shown]
	s_waitcnt vmcnt(52)
	global_store_dword v[21:22], v118, off
	s_waitcnt vmcnt(52)
	global_store_dword v[23:24], v119, off
	s_waitcnt vmcnt(52)
	global_store_dword v[25:26], v120, off
	s_waitcnt vmcnt(52)
	global_store_dword v[27:28], v121, off
	s_waitcnt vmcnt(50)
	global_store_dword v[29:30], v0, off
	s_waitcnt vmcnt(50)
	global_store_dword v[31:32], v103, off
	s_waitcnt vmcnt(50)
	global_store_dword v[33:34], v104, off
	s_waitcnt vmcnt(50)
	global_store_dword v[35:36], v105, off
	s_waitcnt vmcnt(50)
	global_store_dword v[37:38], v106, off
	s_waitcnt vmcnt(50)
	global_store_dword v[39:40], v107, off
	s_waitcnt vmcnt(50)
	global_store_dword v[41:42], v122, off
	s_waitcnt vmcnt(50)
	global_store_dword v[43:44], v123, off
	s_waitcnt vmcnt(47)
	global_store_dword v[45:46], v1, off
	s_waitcnt vmcnt(47)
	global_store_dword v[47:48], v2, off
	s_waitcnt vmcnt(47)
	global_store_dword v[49:50], v3, off
	s_waitcnt vmcnt(47)
	global_store_dword v[51:52], v4, off
	s_waitcnt vmcnt(47)
	global_store_dword v[53:54], v7, off
	s_waitcnt vmcnt(47)
	global_store_dword v[55:56], v8, off
	s_waitcnt vmcnt(47)
	global_store_dword v[57:58], v108, off
	s_waitcnt vmcnt(47)
	global_store_dword v[59:60], v109, off
	s_waitcnt vmcnt(44)
	global_store_dword v[61:62], v5, off
	s_waitcnt vmcnt(44)
	global_store_dword v[63:64], v6, off
	s_waitcnt vmcnt(44)
	global_store_dword v[65:66], v9, off
	s_waitcnt vmcnt(44)
	global_store_dword v[67:68], v10, off
	s_waitcnt vmcnt(44)
	global_store_dword v[69:70], v13, off
	s_waitcnt vmcnt(44)
	global_store_dword v[71:72], v14, off
	s_waitcnt vmcnt(44)
	global_store_dword v[73:74], v110, off
	s_waitcnt vmcnt(44)
	global_store_dword v[75:76], v111, off
	s_waitcnt vmcnt(42)
	global_store_dword v[77:78], v11, off
	s_waitcnt vmcnt(42)
	global_store_dword v[79:80], v12, off
	s_waitcnt vmcnt(42)
	global_store_dword v[81:82], v17, off
	s_waitcnt vmcnt(42)
	global_store_dword v[83:84], v18, off
	s_waitcnt vmcnt(42)
	global_store_dword v[85:86], v112, off
	s_waitcnt vmcnt(42)
	global_store_dword v[87:88], v113, off
	s_waitcnt vmcnt(42)
	global_store_dword v[89:90], v114, off
	s_waitcnt vmcnt(42)
	global_store_dword v[91:92], v115, off
	s_waitcnt vmcnt(40)
	global_store_dword v[93:94], v15, off
	s_waitcnt vmcnt(40)
	global_store_dword v[95:96], v16, off
	s_waitcnt vmcnt(40)
	global_store_dword v[97:98], v19, off
	s_waitcnt vmcnt(40)
	global_store_dword v[99:100], v20, off
	s_waitcnt vmcnt(40)
	global_store_dword v[101:102], v116, off
.LBB52_1030:
	s_endpgm
	.section	.rodata,"a",@progbits
	.p2align	6, 0x0
	.amdhsa_kernel _ZN9rocsolver6v33100L18trti2_kernel_smallILi53EfPfEEv13rocblas_fill_17rocblas_diagonal_T1_iil
		.amdhsa_group_segment_fixed_size 436
		.amdhsa_private_segment_fixed_size 224
		.amdhsa_kernarg_size 32
		.amdhsa_user_sgpr_count 6
		.amdhsa_user_sgpr_private_segment_buffer 1
		.amdhsa_user_sgpr_dispatch_ptr 0
		.amdhsa_user_sgpr_queue_ptr 0
		.amdhsa_user_sgpr_kernarg_segment_ptr 1
		.amdhsa_user_sgpr_dispatch_id 0
		.amdhsa_user_sgpr_flat_scratch_init 0
		.amdhsa_user_sgpr_private_segment_size 0
		.amdhsa_uses_dynamic_stack 0
		.amdhsa_system_sgpr_private_segment_wavefront_offset 1
		.amdhsa_system_sgpr_workgroup_id_x 1
		.amdhsa_system_sgpr_workgroup_id_y 0
		.amdhsa_system_sgpr_workgroup_id_z 0
		.amdhsa_system_sgpr_workgroup_info 0
		.amdhsa_system_vgpr_workitem_id 0
		.amdhsa_next_free_vgpr 124
		.amdhsa_next_free_sgpr 66
		.amdhsa_reserve_vcc 1
		.amdhsa_reserve_flat_scratch 0
		.amdhsa_float_round_mode_32 0
		.amdhsa_float_round_mode_16_64 0
		.amdhsa_float_denorm_mode_32 3
		.amdhsa_float_denorm_mode_16_64 3
		.amdhsa_dx10_clamp 1
		.amdhsa_ieee_mode 1
		.amdhsa_fp16_overflow 0
		.amdhsa_exception_fp_ieee_invalid_op 0
		.amdhsa_exception_fp_denorm_src 0
		.amdhsa_exception_fp_ieee_div_zero 0
		.amdhsa_exception_fp_ieee_overflow 0
		.amdhsa_exception_fp_ieee_underflow 0
		.amdhsa_exception_fp_ieee_inexact 0
		.amdhsa_exception_int_div_zero 0
	.end_amdhsa_kernel
	.section	.text._ZN9rocsolver6v33100L18trti2_kernel_smallILi53EfPfEEv13rocblas_fill_17rocblas_diagonal_T1_iil,"axG",@progbits,_ZN9rocsolver6v33100L18trti2_kernel_smallILi53EfPfEEv13rocblas_fill_17rocblas_diagonal_T1_iil,comdat
.Lfunc_end52:
	.size	_ZN9rocsolver6v33100L18trti2_kernel_smallILi53EfPfEEv13rocblas_fill_17rocblas_diagonal_T1_iil, .Lfunc_end52-_ZN9rocsolver6v33100L18trti2_kernel_smallILi53EfPfEEv13rocblas_fill_17rocblas_diagonal_T1_iil
                                        ; -- End function
	.set _ZN9rocsolver6v33100L18trti2_kernel_smallILi53EfPfEEv13rocblas_fill_17rocblas_diagonal_T1_iil.num_vgpr, 124
	.set _ZN9rocsolver6v33100L18trti2_kernel_smallILi53EfPfEEv13rocblas_fill_17rocblas_diagonal_T1_iil.num_agpr, 0
	.set _ZN9rocsolver6v33100L18trti2_kernel_smallILi53EfPfEEv13rocblas_fill_17rocblas_diagonal_T1_iil.numbered_sgpr, 66
	.set _ZN9rocsolver6v33100L18trti2_kernel_smallILi53EfPfEEv13rocblas_fill_17rocblas_diagonal_T1_iil.num_named_barrier, 0
	.set _ZN9rocsolver6v33100L18trti2_kernel_smallILi53EfPfEEv13rocblas_fill_17rocblas_diagonal_T1_iil.private_seg_size, 224
	.set _ZN9rocsolver6v33100L18trti2_kernel_smallILi53EfPfEEv13rocblas_fill_17rocblas_diagonal_T1_iil.uses_vcc, 1
	.set _ZN9rocsolver6v33100L18trti2_kernel_smallILi53EfPfEEv13rocblas_fill_17rocblas_diagonal_T1_iil.uses_flat_scratch, 0
	.set _ZN9rocsolver6v33100L18trti2_kernel_smallILi53EfPfEEv13rocblas_fill_17rocblas_diagonal_T1_iil.has_dyn_sized_stack, 0
	.set _ZN9rocsolver6v33100L18trti2_kernel_smallILi53EfPfEEv13rocblas_fill_17rocblas_diagonal_T1_iil.has_recursion, 0
	.set _ZN9rocsolver6v33100L18trti2_kernel_smallILi53EfPfEEv13rocblas_fill_17rocblas_diagonal_T1_iil.has_indirect_call, 0
	.section	.AMDGPU.csdata,"",@progbits
; Kernel info:
; codeLenInByte = 25820
; TotalNumSgprs: 70
; NumVgprs: 124
; ScratchSize: 224
; MemoryBound: 0
; FloatMode: 240
; IeeeMode: 1
; LDSByteSize: 436 bytes/workgroup (compile time only)
; SGPRBlocks: 8
; VGPRBlocks: 30
; NumSGPRsForWavesPerEU: 70
; NumVGPRsForWavesPerEU: 124
; Occupancy: 2
; WaveLimiterHint : 0
; COMPUTE_PGM_RSRC2:SCRATCH_EN: 1
; COMPUTE_PGM_RSRC2:USER_SGPR: 6
; COMPUTE_PGM_RSRC2:TRAP_HANDLER: 0
; COMPUTE_PGM_RSRC2:TGID_X_EN: 1
; COMPUTE_PGM_RSRC2:TGID_Y_EN: 0
; COMPUTE_PGM_RSRC2:TGID_Z_EN: 0
; COMPUTE_PGM_RSRC2:TIDIG_COMP_CNT: 0
	.section	.text._ZN9rocsolver6v33100L18trti2_kernel_smallILi54EfPfEEv13rocblas_fill_17rocblas_diagonal_T1_iil,"axG",@progbits,_ZN9rocsolver6v33100L18trti2_kernel_smallILi54EfPfEEv13rocblas_fill_17rocblas_diagonal_T1_iil,comdat
	.globl	_ZN9rocsolver6v33100L18trti2_kernel_smallILi54EfPfEEv13rocblas_fill_17rocblas_diagonal_T1_iil ; -- Begin function _ZN9rocsolver6v33100L18trti2_kernel_smallILi54EfPfEEv13rocblas_fill_17rocblas_diagonal_T1_iil
	.p2align	8
	.type	_ZN9rocsolver6v33100L18trti2_kernel_smallILi54EfPfEEv13rocblas_fill_17rocblas_diagonal_T1_iil,@function
_ZN9rocsolver6v33100L18trti2_kernel_smallILi54EfPfEEv13rocblas_fill_17rocblas_diagonal_T1_iil: ; @_ZN9rocsolver6v33100L18trti2_kernel_smallILi54EfPfEEv13rocblas_fill_17rocblas_diagonal_T1_iil
; %bb.0:
	s_add_u32 s0, s0, s7
	s_addc_u32 s1, s1, 0
	v_cmp_gt_u32_e32 vcc, 54, v0
	s_and_saveexec_b64 s[8:9], vcc
	s_cbranch_execz .LBB53_1050
; %bb.1:
	s_load_dwordx8 s[8:15], s[4:5], 0x0
	s_ashr_i32 s7, s6, 31
	v_lshlrev_b32_e32 v109, 2, v0
	s_waitcnt lgkmcnt(0)
	s_ashr_i32 s5, s12, 31
	s_mov_b32 s4, s12
	s_mul_hi_u32 s12, s14, s6
	s_mul_i32 s7, s14, s7
	s_add_i32 s7, s12, s7
	s_mul_i32 s12, s15, s6
	s_add_i32 s7, s7, s12
	s_mul_i32 s6, s14, s6
	s_lshl_b64 s[6:7], s[6:7], 2
	s_add_u32 s6, s10, s6
	s_addc_u32 s7, s11, s7
	s_lshl_b64 s[4:5], s[4:5], 2
	s_add_u32 s4, s6, s4
	s_addc_u32 s5, s7, s5
	s_add_i32 s6, s13, s13
	v_add_u32_e32 v1, s6, v0
	v_ashrrev_i32_e32 v2, 31, v1
	v_lshlrev_b64 v[3:4], 2, v[1:2]
	v_add_u32_e32 v5, s13, v1
	v_mov_b32_e32 v2, s5
	v_add_co_u32_e32 v3, vcc, s4, v3
	v_ashrrev_i32_e32 v6, 31, v5
	v_addc_co_u32_e32 v4, vcc, v2, v4, vcc
	v_lshlrev_b64 v[1:2], 2, v[5:6]
	v_add_u32_e32 v7, s13, v5
	v_mov_b32_e32 v6, s5
	v_add_co_u32_e32 v1, vcc, s4, v1
	v_ashrrev_i32_e32 v8, 31, v7
	v_addc_co_u32_e32 v2, vcc, v6, v2, vcc
	v_lshlrev_b64 v[5:6], 2, v[7:8]
	v_mov_b32_e32 v8, s5
	v_add_co_u32_e32 v5, vcc, s4, v5
	v_add_u32_e32 v7, s13, v7
	v_addc_co_u32_e32 v6, vcc, v8, v6, vcc
	v_ashrrev_i32_e32 v8, 31, v7
	v_lshlrev_b64 v[9:10], 2, v[7:8]
	v_add_u32_e32 v11, s13, v7
	v_mov_b32_e32 v8, s5
	v_add_co_u32_e32 v9, vcc, s4, v9
	v_ashrrev_i32_e32 v12, 31, v11
	v_addc_co_u32_e32 v10, vcc, v8, v10, vcc
	v_lshlrev_b64 v[7:8], 2, v[11:12]
	v_mov_b32_e32 v12, s5
	v_add_co_u32_e32 v7, vcc, s4, v7
	v_add_u32_e32 v11, s13, v11
	v_addc_co_u32_e32 v8, vcc, v12, v8, vcc
	v_ashrrev_i32_e32 v12, 31, v11
	v_lshlrev_b64 v[13:14], 2, v[11:12]
	v_add_u32_e32 v15, s13, v11
	v_mov_b32_e32 v12, s5
	v_add_co_u32_e32 v13, vcc, s4, v13
	v_ashrrev_i32_e32 v16, 31, v15
	v_addc_co_u32_e32 v14, vcc, v12, v14, vcc
	v_lshlrev_b64 v[11:12], 2, v[15:16]
	v_add_u32_e32 v17, s13, v15
	v_mov_b32_e32 v16, s5
	v_add_co_u32_e32 v11, vcc, s4, v11
	v_ashrrev_i32_e32 v18, 31, v17
	v_addc_co_u32_e32 v12, vcc, v16, v12, vcc
	v_lshlrev_b64 v[15:16], 2, v[17:18]
	v_mov_b32_e32 v18, s5
	v_add_co_u32_e32 v15, vcc, s4, v15
	v_add_u32_e32 v17, s13, v17
	v_addc_co_u32_e32 v16, vcc, v18, v16, vcc
	v_ashrrev_i32_e32 v18, 31, v17
	v_lshlrev_b64 v[19:20], 2, v[17:18]
	v_mov_b32_e32 v21, s5
	v_add_co_u32_e32 v19, vcc, s4, v19
	v_addc_co_u32_e32 v20, vcc, v21, v20, vcc
	v_add_u32_e32 v21, s13, v17
	v_ashrrev_i32_e32 v22, 31, v21
	v_lshlrev_b64 v[17:18], 2, v[21:22]
	v_mov_b32_e32 v23, s5
	v_add_co_u32_e32 v17, vcc, s4, v17
	v_addc_co_u32_e32 v18, vcc, v23, v18, vcc
	v_add_u32_e32 v23, s13, v21
	;; [unrolled: 6-line block ×28, first 2 shown]
	v_ashrrev_i32_e32 v76, 31, v75
	global_load_dword v110, v109, s[4:5]
	v_lshlrev_b64 v[73:74], 2, v[75:76]
	v_mov_b32_e32 v77, s5
	v_add_co_u32_e32 v73, vcc, s4, v73
	v_addc_co_u32_e32 v74, vcc, v77, v74, vcc
	v_add_u32_e32 v77, s13, v75
	v_ashrrev_i32_e32 v78, 31, v77
	v_lshlrev_b64 v[75:76], 2, v[77:78]
	v_mov_b32_e32 v79, s5
	v_add_co_u32_e32 v75, vcc, s4, v75
	v_addc_co_u32_e32 v76, vcc, v79, v76, vcc
	v_add_u32_e32 v79, s13, v77
	v_ashrrev_i32_e32 v80, 31, v79
	;; [unrolled: 6-line block ×14, first 2 shown]
	v_lshlrev_b64 v[101:102], 2, v[103:104]
	v_mov_b32_e32 v105, s5
	v_add_co_u32_e32 v101, vcc, s4, v101
	v_addc_co_u32_e32 v102, vcc, v105, v102, vcc
	v_add_u32_e32 v103, s13, v103
	v_mov_b32_e32 v106, s5
	v_add_co_u32_e32 v105, vcc, s4, v109
	s_ashr_i32 s7, s13, 31
	s_mov_b32 s6, s13
	v_ashrrev_i32_e32 v104, 31, v103
	v_addc_co_u32_e32 v106, vcc, 0, v106, vcc
	s_lshl_b64 s[6:7], s[6:7], 2
	v_lshlrev_b64 v[103:104], 2, v[103:104]
	v_mov_b32_e32 v108, s7
	v_add_co_u32_e32 v107, vcc, s6, v105
	v_addc_co_u32_e32 v108, vcc, v106, v108, vcc
	v_mov_b32_e32 v111, s5
	global_load_dword v112, v[107:108], off
	global_load_dword v113, v[3:4], off
	;; [unrolled: 1-line block ×8, first 2 shown]
	v_add_co_u32_e32 v103, vcc, s4, v103
	v_addc_co_u32_e32 v104, vcc, v111, v104, vcc
	global_load_dword v111, v[15:16], off
	global_load_dword v120, v[19:20], off
	;; [unrolled: 1-line block ×4, first 2 shown]
	s_cmpk_lg_i32 s9, 0x84
	s_waitcnt vmcnt(12)
	buffer_store_dword v110, off, s[0:3], 0
	global_load_dword v110, v[21:22], off
	s_nop 0
	global_load_dword v123, v[23:24], off
	s_waitcnt vmcnt(14)
	buffer_store_dword v112, off, s[0:3], 0 offset:4
	s_waitcnt vmcnt(14)
	buffer_store_dword v113, off, s[0:3], 0 offset:8
	;; [unrolled: 2-line block ×8, first 2 shown]
	global_load_dword v112, v[25:26], off
	global_load_dword v113, v[27:28], off
	global_load_dword v114, v[29:30], off
	s_waitcnt vmcnt(17)
	buffer_store_dword v111, off, s[0:3], 0 offset:36
	s_waitcnt vmcnt(17)
	buffer_store_dword v120, off, s[0:3], 0 offset:40
	;; [unrolled: 2-line block ×3, first 2 shown]
	global_load_dword v111, v[31:32], off
	global_load_dword v115, v[33:34], off
	;; [unrolled: 1-line block ×8, first 2 shown]
	s_waitcnt vmcnt(23)
	buffer_store_dword v110, off, s[0:3], 0 offset:48
	s_waitcnt vmcnt(23)
	buffer_store_dword v123, off, s[0:3], 0 offset:52
	global_load_dword v110, v[47:48], off
	s_nop 0
	global_load_dword v123, v[49:50], off
	s_waitcnt vmcnt(17)
	buffer_store_dword v112, off, s[0:3], 0 offset:56
	s_waitcnt vmcnt(17)
	buffer_store_dword v113, off, s[0:3], 0 offset:60
	;; [unrolled: 2-line block ×11, first 2 shown]
	global_load_dword v111, v[51:52], off
	global_load_dword v112, v[53:54], off
	;; [unrolled: 1-line block ×6, first 2 shown]
	s_waitcnt vmcnt(18)
	buffer_store_dword v110, off, s[0:3], 0 offset:100
	s_waitcnt vmcnt(18)
	buffer_store_dword v123, off, s[0:3], 0 offset:104
	global_load_dword v110, v[63:64], off
	global_load_dword v117, v[65:66], off
	;; [unrolled: 1-line block ×7, first 2 shown]
	s_waitcnt vmcnt(14)
	buffer_store_dword v111, off, s[0:3], 0 offset:108
	s_waitcnt vmcnt(14)
	buffer_store_dword v112, off, s[0:3], 0 offset:112
	;; [unrolled: 2-line block ×6, first 2 shown]
	global_load_dword v111, v[77:78], off
	s_waitcnt vmcnt(13)
	buffer_store_dword v110, off, s[0:3], 0 offset:132
	s_waitcnt vmcnt(13)
	buffer_store_dword v117, off, s[0:3], 0 offset:136
	;; [unrolled: 2-line block ×7, first 2 shown]
	global_load_dword v110, v[79:80], off
	global_load_dword v112, v[81:82], off
	;; [unrolled: 1-line block ×12, first 2 shown]
	s_waitcnt vmcnt(19)
	buffer_store_dword v111, off, s[0:3], 0 offset:160
	s_waitcnt vmcnt(12)
	buffer_store_dword v110, off, s[0:3], 0 offset:164
	;; [unrolled: 2-line block ×13, first 2 shown]
	buffer_store_dword v122, off, s[0:3], 0 offset:212
	s_movk_i32 s12, 0x84
	s_cselect_b64 s[10:11], -1, 0
	s_cmpk_eq_i32 s9, 0x84
	v_mov_b32_e32 v110, -1.0
	s_cbranch_scc1 .LBB53_3
; %bb.2:
	v_mov_b32_e32 v110, 0
	v_lshl_add_u32 v110, v0, 2, v110
	buffer_load_dword v111, v110, s[0:3], 0 offen
	s_waitcnt vmcnt(0)
	v_div_scale_f32 v112, s[4:5], v111, v111, 1.0
	v_div_scale_f32 v113, vcc, 1.0, v111, 1.0
	v_rcp_f32_e32 v114, v112
	v_fma_f32 v115, -v112, v114, 1.0
	v_fmac_f32_e32 v114, v115, v114
	v_mul_f32_e32 v115, v113, v114
	v_fma_f32 v116, -v112, v115, v113
	v_fmac_f32_e32 v115, v116, v114
	v_fma_f32 v112, -v112, v115, v113
	v_div_fmas_f32 v112, v112, v114, v115
	v_div_fixup_f32 v111, v112, v111, 1.0
	buffer_store_dword v111, v110, s[0:3], 0 offen
	v_xor_b32_e32 v110, 0x80000000, v111
.LBB53_3:
	ds_write_b32 v109, v110
	s_cmpk_eq_i32 s8, 0x79
	v_add_u32_e32 v110, 0xe0, v109
	v_mov_b32_e32 v111, v109
	s_mov_b64 s[4:5], -1
	s_cbranch_scc1 .LBB53_527
; %bb.4:
	buffer_load_dword v112, off, s[0:3], 0 offset:208
	s_movk_i32 s30, 0x44
	s_movk_i32 s31, 0x48
	s_movk_i32 s33, 0x4c
	s_movk_i32 s34, 0x50
	s_movk_i32 s35, 0x54
	s_movk_i32 s36, 0x58
	s_movk_i32 s37, 0x5c
	s_movk_i32 s38, 0x60
	s_movk_i32 s39, 0x64
	s_movk_i32 s40, 0x68
	s_movk_i32 s41, 0x6c
	s_movk_i32 s42, 0x70
	s_movk_i32 s43, 0x74
	s_movk_i32 s44, 0x78
	s_movk_i32 s45, 0x7c
	s_movk_i32 s46, 0x80
	s_movk_i32 s13, 0x88
	s_movk_i32 s49, 0x8c
	s_movk_i32 s50, 0x90
	s_movk_i32 s51, 0x94
	s_movk_i32 s52, 0x98
	s_movk_i32 s53, 0x9c
	s_movk_i32 s54, 0xa0
	s_movk_i32 s55, 0xa4
	s_movk_i32 s56, 0xa8
	s_movk_i32 s57, 0xac
	s_movk_i32 s58, 0xb0
	s_movk_i32 s59, 0xb4
	s_movk_i32 s60, 0xb8
	s_movk_i32 s61, 0xbc
	s_movk_i32 s62, 0xc0
	s_movk_i32 s63, 0xc4
	s_movk_i32 s64, 0xc8
	s_movk_i32 s65, 0xcc
	v_cmp_eq_u32_e64 s[4:5], 53, v0
	s_waitcnt vmcnt(0)
	ds_write_b32 v110, v112
	s_waitcnt lgkmcnt(0)
	; wave barrier
	s_and_saveexec_b64 s[6:7], s[4:5]
	s_cbranch_execz .LBB53_10
; %bb.5:
	s_and_b64 vcc, exec, s[10:11]
	s_cbranch_vccz .LBB53_7
; %bb.6:
	buffer_load_dword v112, v111, s[0:3], 0 offen
	ds_read_b32 v113, v110
	s_waitcnt vmcnt(0) lgkmcnt(0)
	v_mul_f32_e32 v112, v112, v113
	s_cbranch_execz .LBB53_8
	s_branch .LBB53_9
.LBB53_7:
                                        ; implicit-def: $vgpr112
.LBB53_8:
	ds_read_b32 v112, v110
.LBB53_9:
	v_mov_b32_e32 v113, 0
	ds_read_b32 v113, v113 offset:208
	s_waitcnt lgkmcnt(0)
	v_mul_f32_e32 v112, v112, v113
	buffer_store_dword v112, off, s[0:3], 0 offset:208
.LBB53_10:
	s_or_b64 exec, exec, s[6:7]
	buffer_load_dword v112, off, s[0:3], 0 offset:204
	s_or_b32 s14, 0, 4
	s_or_b32 s15, 0, 8
	;; [unrolled: 1-line block ×3, first 2 shown]
	s_mov_b32 s17, 16
	s_mov_b32 s18, 20
	;; [unrolled: 1-line block ×15, first 2 shown]
	v_cmp_lt_u32_e64 s[6:7], 51, v0
	s_waitcnt vmcnt(0)
	ds_write_b32 v110, v112
	s_waitcnt lgkmcnt(0)
	; wave barrier
	s_and_saveexec_b64 s[8:9], s[6:7]
	s_cbranch_execz .LBB53_16
; %bb.11:
	s_andn2_b64 vcc, exec, s[10:11]
	s_cbranch_vccnz .LBB53_13
; %bb.12:
	buffer_load_dword v112, v111, s[0:3], 0 offen
	ds_read_b32 v113, v110
	s_waitcnt vmcnt(0) lgkmcnt(0)
	v_mul_f32_e32 v112, v112, v113
	s_cbranch_execz .LBB53_14
	s_branch .LBB53_15
.LBB53_13:
                                        ; implicit-def: $vgpr112
.LBB53_14:
	ds_read_b32 v112, v110
.LBB53_15:
	buffer_load_dword v115, off, s[0:3], 0 offset:208
	v_mov_b32_e32 v113, 0
	ds_read2_b32 v[113:114], v113 offset0:51 offset1:108
	s_waitcnt vmcnt(0) lgkmcnt(0)
	v_fma_f32 v114, v115, v114, v112
	v_cndmask_b32_e64 v112, v112, v114, s[4:5]
	v_mul_f32_e32 v112, v112, v113
	buffer_store_dword v112, off, s[0:3], 0 offset:204
.LBB53_16:
	s_or_b64 exec, exec, s[8:9]
	buffer_load_dword v112, off, s[0:3], 0 offset:200
	v_cmp_lt_u32_e64 s[4:5], 50, v0
	s_waitcnt vmcnt(0)
	ds_write_b32 v110, v112
	s_waitcnt lgkmcnt(0)
	; wave barrier
	s_and_saveexec_b64 s[8:9], s[4:5]
	s_cbranch_execz .LBB53_26
; %bb.17:
	s_andn2_b64 vcc, exec, s[10:11]
	s_cbranch_vccnz .LBB53_19
; %bb.18:
	buffer_load_dword v112, v111, s[0:3], 0 offen
	ds_read_b32 v113, v110
	s_waitcnt vmcnt(0) lgkmcnt(0)
	v_mul_f32_e32 v112, v112, v113
	s_cbranch_execz .LBB53_20
	s_branch .LBB53_21
.LBB53_19:
                                        ; implicit-def: $vgpr112
.LBB53_20:
	ds_read_b32 v112, v110
.LBB53_21:
	s_and_saveexec_b64 s[12:13], s[6:7]
	s_cbranch_execz .LBB53_25
; %bb.22:
	v_subrev_u32_e32 v113, 51, v0
	s_movk_i32 s66, 0x1ac
	s_mov_b64 s[6:7], 0
.LBB53_23:                              ; =>This Inner Loop Header: Depth=1
	v_mov_b32_e32 v114, s65
	buffer_load_dword v114, v114, s[0:3], 0 offen
	v_mov_b32_e32 v115, s66
	ds_read_b32 v115, v115
	v_add_u32_e32 v113, -1, v113
	s_add_i32 s66, s66, 4
	s_add_i32 s65, s65, 4
	v_cmp_eq_u32_e32 vcc, 0, v113
	s_or_b64 s[6:7], vcc, s[6:7]
	s_waitcnt vmcnt(0) lgkmcnt(0)
	v_fmac_f32_e32 v112, v114, v115
	s_andn2_b64 exec, exec, s[6:7]
	s_cbranch_execnz .LBB53_23
; %bb.24:
	s_or_b64 exec, exec, s[6:7]
.LBB53_25:
	s_or_b64 exec, exec, s[12:13]
	v_mov_b32_e32 v113, 0
	ds_read_b32 v113, v113 offset:200
	s_waitcnt lgkmcnt(0)
	v_mul_f32_e32 v112, v112, v113
	buffer_store_dword v112, off, s[0:3], 0 offset:200
.LBB53_26:
	s_or_b64 exec, exec, s[8:9]
	buffer_load_dword v112, off, s[0:3], 0 offset:196
	v_cmp_lt_u32_e64 s[6:7], 49, v0
	s_waitcnt vmcnt(0)
	ds_write_b32 v110, v112
	s_waitcnt lgkmcnt(0)
	; wave barrier
	s_and_saveexec_b64 s[8:9], s[6:7]
	s_cbranch_execz .LBB53_36
; %bb.27:
	s_andn2_b64 vcc, exec, s[10:11]
	s_cbranch_vccnz .LBB53_29
; %bb.28:
	buffer_load_dword v112, v111, s[0:3], 0 offen
	ds_read_b32 v113, v110
	s_waitcnt vmcnt(0) lgkmcnt(0)
	v_mul_f32_e32 v112, v112, v113
	s_cbranch_execz .LBB53_30
	s_branch .LBB53_31
.LBB53_29:
                                        ; implicit-def: $vgpr112
.LBB53_30:
	ds_read_b32 v112, v110
.LBB53_31:
	s_and_saveexec_b64 s[12:13], s[4:5]
	s_cbranch_execz .LBB53_35
; %bb.32:
	v_subrev_u32_e32 v113, 50, v0
	s_movk_i32 s65, 0x1a8
	s_mov_b64 s[4:5], 0
.LBB53_33:                              ; =>This Inner Loop Header: Depth=1
	v_mov_b32_e32 v114, s64
	buffer_load_dword v114, v114, s[0:3], 0 offen
	v_mov_b32_e32 v115, s65
	ds_read_b32 v115, v115
	v_add_u32_e32 v113, -1, v113
	s_add_i32 s65, s65, 4
	s_add_i32 s64, s64, 4
	v_cmp_eq_u32_e32 vcc, 0, v113
	s_or_b64 s[4:5], vcc, s[4:5]
	s_waitcnt vmcnt(0) lgkmcnt(0)
	v_fmac_f32_e32 v112, v114, v115
	s_andn2_b64 exec, exec, s[4:5]
	s_cbranch_execnz .LBB53_33
; %bb.34:
	s_or_b64 exec, exec, s[4:5]
.LBB53_35:
	s_or_b64 exec, exec, s[12:13]
	v_mov_b32_e32 v113, 0
	ds_read_b32 v113, v113 offset:196
	s_waitcnt lgkmcnt(0)
	v_mul_f32_e32 v112, v112, v113
	buffer_store_dword v112, off, s[0:3], 0 offset:196
.LBB53_36:
	;; [unrolled: 54-line block ×8, first 2 shown]
	s_or_b64 exec, exec, s[8:9]
	buffer_load_dword v112, off, s[0:3], 0 offset:168
	v_cmp_lt_u32_e64 s[4:5], 42, v0
	s_waitcnt vmcnt(0)
	ds_write_b32 v110, v112
	s_waitcnt lgkmcnt(0)
	; wave barrier
	s_and_saveexec_b64 s[8:9], s[4:5]
	s_cbranch_execz .LBB53_106
; %bb.97:
	s_andn2_b64 vcc, exec, s[10:11]
	s_cbranch_vccnz .LBB53_99
; %bb.98:
	buffer_load_dword v112, v111, s[0:3], 0 offen
	ds_read_b32 v113, v110
	s_waitcnt vmcnt(0) lgkmcnt(0)
	v_mul_f32_e32 v112, v112, v113
	s_cbranch_execz .LBB53_100
	s_branch .LBB53_101
.LBB53_99:
                                        ; implicit-def: $vgpr112
.LBB53_100:
	ds_read_b32 v112, v110
.LBB53_101:
	s_and_saveexec_b64 s[12:13], s[6:7]
	s_cbranch_execz .LBB53_105
; %bb.102:
	v_subrev_u32_e32 v113, 43, v0
	s_movk_i32 s58, 0x18c
	s_mov_b64 s[6:7], 0
.LBB53_103:                             ; =>This Inner Loop Header: Depth=1
	v_mov_b32_e32 v114, s57
	buffer_load_dword v114, v114, s[0:3], 0 offen
	v_mov_b32_e32 v115, s58
	ds_read_b32 v115, v115
	v_add_u32_e32 v113, -1, v113
	s_add_i32 s58, s58, 4
	s_add_i32 s57, s57, 4
	v_cmp_eq_u32_e32 vcc, 0, v113
	s_or_b64 s[6:7], vcc, s[6:7]
	s_waitcnt vmcnt(0) lgkmcnt(0)
	v_fmac_f32_e32 v112, v114, v115
	s_andn2_b64 exec, exec, s[6:7]
	s_cbranch_execnz .LBB53_103
; %bb.104:
	s_or_b64 exec, exec, s[6:7]
.LBB53_105:
	s_or_b64 exec, exec, s[12:13]
	v_mov_b32_e32 v113, 0
	ds_read_b32 v113, v113 offset:168
	s_waitcnt lgkmcnt(0)
	v_mul_f32_e32 v112, v112, v113
	buffer_store_dword v112, off, s[0:3], 0 offset:168
.LBB53_106:
	s_or_b64 exec, exec, s[8:9]
	buffer_load_dword v112, off, s[0:3], 0 offset:164
	v_cmp_lt_u32_e64 s[6:7], 41, v0
	s_waitcnt vmcnt(0)
	ds_write_b32 v110, v112
	s_waitcnt lgkmcnt(0)
	; wave barrier
	s_and_saveexec_b64 s[8:9], s[6:7]
	s_cbranch_execz .LBB53_116
; %bb.107:
	s_andn2_b64 vcc, exec, s[10:11]
	s_cbranch_vccnz .LBB53_109
; %bb.108:
	buffer_load_dword v112, v111, s[0:3], 0 offen
	ds_read_b32 v113, v110
	s_waitcnt vmcnt(0) lgkmcnt(0)
	v_mul_f32_e32 v112, v112, v113
	s_cbranch_execz .LBB53_110
	s_branch .LBB53_111
.LBB53_109:
                                        ; implicit-def: $vgpr112
.LBB53_110:
	ds_read_b32 v112, v110
.LBB53_111:
	s_and_saveexec_b64 s[12:13], s[4:5]
	s_cbranch_execz .LBB53_115
; %bb.112:
	v_subrev_u32_e32 v113, 42, v0
	s_movk_i32 s57, 0x188
	s_mov_b64 s[4:5], 0
.LBB53_113:                             ; =>This Inner Loop Header: Depth=1
	v_mov_b32_e32 v114, s56
	buffer_load_dword v114, v114, s[0:3], 0 offen
	v_mov_b32_e32 v115, s57
	ds_read_b32 v115, v115
	v_add_u32_e32 v113, -1, v113
	s_add_i32 s57, s57, 4
	s_add_i32 s56, s56, 4
	v_cmp_eq_u32_e32 vcc, 0, v113
	s_or_b64 s[4:5], vcc, s[4:5]
	s_waitcnt vmcnt(0) lgkmcnt(0)
	v_fmac_f32_e32 v112, v114, v115
	s_andn2_b64 exec, exec, s[4:5]
	s_cbranch_execnz .LBB53_113
; %bb.114:
	s_or_b64 exec, exec, s[4:5]
.LBB53_115:
	s_or_b64 exec, exec, s[12:13]
	v_mov_b32_e32 v113, 0
	ds_read_b32 v113, v113 offset:164
	s_waitcnt lgkmcnt(0)
	v_mul_f32_e32 v112, v112, v113
	buffer_store_dword v112, off, s[0:3], 0 offset:164
.LBB53_116:
	;; [unrolled: 54-line block ×27, first 2 shown]
	s_or_b64 exec, exec, s[8:9]
	buffer_load_dword v112, off, s[0:3], 0 offset:60
	v_cmp_lt_u32_e64 s[6:7], 15, v0
	s_waitcnt vmcnt(0)
	ds_write_b32 v110, v112
	s_waitcnt lgkmcnt(0)
	; wave barrier
	s_and_saveexec_b64 s[8:9], s[6:7]
	s_cbranch_execz .LBB53_376
; %bb.367:
	s_andn2_b64 vcc, exec, s[10:11]
	s_cbranch_vccnz .LBB53_369
; %bb.368:
	buffer_load_dword v112, v111, s[0:3], 0 offen
	ds_read_b32 v113, v110
	s_waitcnt vmcnt(0) lgkmcnt(0)
	v_mul_f32_e32 v112, v112, v113
	s_cbranch_execz .LBB53_370
	s_branch .LBB53_371
.LBB53_369:
                                        ; implicit-def: $vgpr112
.LBB53_370:
	ds_read_b32 v112, v110
.LBB53_371:
	s_and_saveexec_b64 s[12:13], s[4:5]
	s_cbranch_execz .LBB53_375
; %bb.372:
	v_add_u32_e32 v113, -16, v0
	s_movk_i32 s30, 0x120
	s_mov_b64 s[4:5], 0
.LBB53_373:                             ; =>This Inner Loop Header: Depth=1
	v_mov_b32_e32 v114, s29
	buffer_load_dword v114, v114, s[0:3], 0 offen
	v_mov_b32_e32 v115, s30
	ds_read_b32 v115, v115
	v_add_u32_e32 v113, -1, v113
	s_add_i32 s30, s30, 4
	s_add_i32 s29, s29, 4
	v_cmp_eq_u32_e32 vcc, 0, v113
	s_or_b64 s[4:5], vcc, s[4:5]
	s_waitcnt vmcnt(0) lgkmcnt(0)
	v_fmac_f32_e32 v112, v114, v115
	s_andn2_b64 exec, exec, s[4:5]
	s_cbranch_execnz .LBB53_373
; %bb.374:
	s_or_b64 exec, exec, s[4:5]
.LBB53_375:
	s_or_b64 exec, exec, s[12:13]
	v_mov_b32_e32 v113, 0
	ds_read_b32 v113, v113 offset:60
	s_waitcnt lgkmcnt(0)
	v_mul_f32_e32 v112, v112, v113
	buffer_store_dword v112, off, s[0:3], 0 offset:60
.LBB53_376:
	s_or_b64 exec, exec, s[8:9]
	buffer_load_dword v112, off, s[0:3], 0 offset:56
	v_cmp_lt_u32_e64 s[4:5], 14, v0
	s_waitcnt vmcnt(0)
	ds_write_b32 v110, v112
	s_waitcnt lgkmcnt(0)
	; wave barrier
	s_and_saveexec_b64 s[8:9], s[4:5]
	s_cbranch_execz .LBB53_386
; %bb.377:
	s_andn2_b64 vcc, exec, s[10:11]
	s_cbranch_vccnz .LBB53_379
; %bb.378:
	buffer_load_dword v112, v111, s[0:3], 0 offen
	ds_read_b32 v113, v110
	s_waitcnt vmcnt(0) lgkmcnt(0)
	v_mul_f32_e32 v112, v112, v113
	s_cbranch_execz .LBB53_380
	s_branch .LBB53_381
.LBB53_379:
                                        ; implicit-def: $vgpr112
.LBB53_380:
	ds_read_b32 v112, v110
.LBB53_381:
	s_and_saveexec_b64 s[12:13], s[6:7]
	s_cbranch_execz .LBB53_385
; %bb.382:
	v_add_u32_e32 v113, -15, v0
	s_movk_i32 s29, 0x11c
	s_mov_b64 s[6:7], 0
.LBB53_383:                             ; =>This Inner Loop Header: Depth=1
	v_mov_b32_e32 v114, s28
	buffer_load_dword v114, v114, s[0:3], 0 offen
	v_mov_b32_e32 v115, s29
	ds_read_b32 v115, v115
	v_add_u32_e32 v113, -1, v113
	s_add_i32 s29, s29, 4
	s_add_i32 s28, s28, 4
	v_cmp_eq_u32_e32 vcc, 0, v113
	s_or_b64 s[6:7], vcc, s[6:7]
	s_waitcnt vmcnt(0) lgkmcnt(0)
	v_fmac_f32_e32 v112, v114, v115
	s_andn2_b64 exec, exec, s[6:7]
	s_cbranch_execnz .LBB53_383
; %bb.384:
	s_or_b64 exec, exec, s[6:7]
.LBB53_385:
	s_or_b64 exec, exec, s[12:13]
	v_mov_b32_e32 v113, 0
	ds_read_b32 v113, v113 offset:56
	s_waitcnt lgkmcnt(0)
	v_mul_f32_e32 v112, v112, v113
	buffer_store_dword v112, off, s[0:3], 0 offset:56
.LBB53_386:
	;; [unrolled: 54-line block ×15, first 2 shown]
	s_or_b64 exec, exec, s[8:9]
	buffer_load_dword v112, off, s[0:3], 0
	v_cmp_ne_u32_e32 vcc, 0, v0
	s_waitcnt vmcnt(0)
	ds_write_b32 v110, v112
	s_waitcnt lgkmcnt(0)
	; wave barrier
	s_and_saveexec_b64 s[4:5], vcc
	s_cbranch_execz .LBB53_526
; %bb.517:
	s_andn2_b64 vcc, exec, s[10:11]
	s_cbranch_vccnz .LBB53_519
; %bb.518:
	buffer_load_dword v112, v111, s[0:3], 0 offen
	ds_read_b32 v113, v110
	s_waitcnt vmcnt(0) lgkmcnt(0)
	v_mul_f32_e32 v112, v112, v113
	s_cbranch_execz .LBB53_520
	s_branch .LBB53_521
.LBB53_519:
                                        ; implicit-def: $vgpr112
.LBB53_520:
	ds_read_b32 v112, v110
.LBB53_521:
	s_and_saveexec_b64 s[8:9], s[6:7]
	s_cbranch_execz .LBB53_525
; %bb.522:
	v_add_u32_e32 v113, -1, v0
	s_movk_i32 s12, 0xe4
	s_mov_b64 s[6:7], 0
.LBB53_523:                             ; =>This Inner Loop Header: Depth=1
	v_mov_b32_e32 v114, s14
	buffer_load_dword v114, v114, s[0:3], 0 offen
	v_mov_b32_e32 v115, s12
	ds_read_b32 v115, v115
	v_add_u32_e32 v113, -1, v113
	s_add_i32 s12, s12, 4
	s_add_i32 s14, s14, 4
	v_cmp_eq_u32_e32 vcc, 0, v113
	s_or_b64 s[6:7], vcc, s[6:7]
	s_waitcnt vmcnt(0) lgkmcnt(0)
	v_fmac_f32_e32 v112, v114, v115
	s_andn2_b64 exec, exec, s[6:7]
	s_cbranch_execnz .LBB53_523
; %bb.524:
	s_or_b64 exec, exec, s[6:7]
.LBB53_525:
	s_or_b64 exec, exec, s[8:9]
	v_mov_b32_e32 v113, 0
	ds_read_b32 v113, v113
	s_waitcnt lgkmcnt(0)
	v_mul_f32_e32 v112, v112, v113
	buffer_store_dword v112, off, s[0:3], 0
.LBB53_526:
	s_or_b64 exec, exec, s[4:5]
	s_mov_b64 s[4:5], 0
.LBB53_527:
	s_and_b64 vcc, exec, s[4:5]
	s_cbranch_vccz .LBB53_1049
; %bb.528:
	buffer_load_dword v112, off, s[0:3], 0 offset:4
	v_cmp_eq_u32_e64 s[6:7], 0, v0
	s_waitcnt vmcnt(0)
	ds_write_b32 v110, v112
	s_waitcnt lgkmcnt(0)
	; wave barrier
	s_and_saveexec_b64 s[4:5], s[6:7]
	s_cbranch_execz .LBB53_534
; %bb.529:
	s_and_b64 vcc, exec, s[10:11]
	s_cbranch_vccz .LBB53_531
; %bb.530:
	buffer_load_dword v112, v111, s[0:3], 0 offen
	ds_read_b32 v113, v110
	s_waitcnt vmcnt(0) lgkmcnt(0)
	v_mul_f32_e32 v112, v112, v113
	s_cbranch_execz .LBB53_532
	s_branch .LBB53_533
.LBB53_531:
                                        ; implicit-def: $vgpr112
.LBB53_532:
	ds_read_b32 v112, v110
.LBB53_533:
	v_mov_b32_e32 v113, 0
	ds_read_b32 v113, v113 offset:4
	s_waitcnt lgkmcnt(0)
	v_mul_f32_e32 v112, v112, v113
	buffer_store_dword v112, off, s[0:3], 0 offset:4
.LBB53_534:
	s_or_b64 exec, exec, s[4:5]
	buffer_load_dword v112, off, s[0:3], 0 offset:8
	v_cndmask_b32_e64 v113, 0, 1, s[10:11]
	v_cmp_gt_u32_e32 vcc, 2, v0
	v_cmp_ne_u32_e64 s[4:5], 1, v113
	s_waitcnt vmcnt(0)
	ds_write_b32 v110, v112
	s_waitcnt lgkmcnt(0)
	; wave barrier
	s_and_saveexec_b64 s[8:9], vcc
	s_cbranch_execz .LBB53_540
; %bb.535:
	s_and_b64 vcc, exec, s[4:5]
	s_cbranch_vccnz .LBB53_537
; %bb.536:
	buffer_load_dword v112, v111, s[0:3], 0 offen
	ds_read_b32 v113, v110
	s_waitcnt vmcnt(0) lgkmcnt(0)
	v_mul_f32_e32 v112, v112, v113
	s_cbranch_execz .LBB53_538
	s_branch .LBB53_539
.LBB53_537:
                                        ; implicit-def: $vgpr112
.LBB53_538:
	ds_read_b32 v112, v110
.LBB53_539:
	buffer_load_dword v115, off, s[0:3], 0 offset:4
	v_mov_b32_e32 v113, 0
	ds_read2_b32 v[113:114], v113 offset0:2 offset1:57
	s_waitcnt vmcnt(0) lgkmcnt(0)
	v_fma_f32 v114, v115, v114, v112
	v_cndmask_b32_e64 v112, v112, v114, s[6:7]
	v_mul_f32_e32 v112, v112, v113
	buffer_store_dword v112, off, s[0:3], 0 offset:8
.LBB53_540:
	s_or_b64 exec, exec, s[8:9]
	buffer_load_dword v112, off, s[0:3], 0 offset:12
	v_cmp_gt_u32_e32 vcc, 3, v0
	s_waitcnt vmcnt(0)
	ds_write_b32 v110, v112
	s_waitcnt lgkmcnt(0)
	; wave barrier
	s_and_saveexec_b64 s[8:9], vcc
	s_cbranch_execz .LBB53_548
; %bb.541:
	s_and_b64 vcc, exec, s[4:5]
	s_cbranch_vccnz .LBB53_543
; %bb.542:
	buffer_load_dword v112, v111, s[0:3], 0 offen
	ds_read_b32 v113, v110
	s_waitcnt vmcnt(0) lgkmcnt(0)
	v_mul_f32_e32 v112, v112, v113
	s_cbranch_execz .LBB53_544
	s_branch .LBB53_545
.LBB53_543:
                                        ; implicit-def: $vgpr112
.LBB53_544:
	ds_read_b32 v112, v110
.LBB53_545:
	v_cmp_ne_u32_e32 vcc, 2, v0
	s_and_saveexec_b64 s[10:11], vcc
	s_cbranch_execz .LBB53_547
; %bb.546:
	buffer_load_dword v113, v111, s[0:3], 0 offen offset:4
	buffer_load_dword v114, off, s[0:3], 0 offset:8
	v_mov_b32_e32 v115, 0
	ds_read_b32 v116, v110 offset:4
	ds_read_b32 v115, v115 offset:232
	s_waitcnt vmcnt(1) lgkmcnt(1)
	v_fmac_f32_e32 v112, v113, v116
	s_waitcnt vmcnt(0) lgkmcnt(0)
	v_fma_f32 v113, v114, v115, v112
	v_cndmask_b32_e64 v112, v112, v113, s[6:7]
.LBB53_547:
	s_or_b64 exec, exec, s[10:11]
	v_mov_b32_e32 v113, 0
	ds_read_b32 v113, v113 offset:12
	s_waitcnt lgkmcnt(0)
	v_mul_f32_e32 v112, v112, v113
	buffer_store_dword v112, off, s[0:3], 0 offset:12
.LBB53_548:
	s_or_b64 exec, exec, s[8:9]
	buffer_load_dword v112, off, s[0:3], 0 offset:16
	v_cmp_gt_u32_e32 vcc, 4, v0
	s_waitcnt vmcnt(0)
	ds_write_b32 v110, v112
	s_waitcnt lgkmcnt(0)
	; wave barrier
	s_and_saveexec_b64 s[6:7], vcc
	s_cbranch_execz .LBB53_558
; %bb.549:
	s_and_b64 vcc, exec, s[4:5]
	s_cbranch_vccnz .LBB53_551
; %bb.550:
	buffer_load_dword v112, v111, s[0:3], 0 offen
	ds_read_b32 v113, v110
	s_waitcnt vmcnt(0) lgkmcnt(0)
	v_mul_f32_e32 v112, v112, v113
	s_cbranch_execz .LBB53_552
	s_branch .LBB53_553
.LBB53_551:
                                        ; implicit-def: $vgpr112
.LBB53_552:
	ds_read_b32 v112, v110
.LBB53_553:
	v_cmp_ne_u32_e32 vcc, 3, v0
	s_and_saveexec_b64 s[8:9], vcc
	s_cbranch_execz .LBB53_557
; %bb.554:
	s_mov_b32 s10, 0
	v_add_u32_e32 v113, 0xe4, v109
	v_add3_u32 v114, v109, s10, 4
	s_mov_b64 s[10:11], 0
	v_mov_b32_e32 v115, v0
.LBB53_555:                             ; =>This Inner Loop Header: Depth=1
	buffer_load_dword v116, v114, s[0:3], 0 offen
	ds_read_b32 v117, v113
	v_add_u32_e32 v115, 1, v115
	v_cmp_lt_u32_e32 vcc, 2, v115
	v_add_u32_e32 v113, 4, v113
	v_add_u32_e32 v114, 4, v114
	s_or_b64 s[10:11], vcc, s[10:11]
	s_waitcnt vmcnt(0) lgkmcnt(0)
	v_fmac_f32_e32 v112, v116, v117
	s_andn2_b64 exec, exec, s[10:11]
	s_cbranch_execnz .LBB53_555
; %bb.556:
	s_or_b64 exec, exec, s[10:11]
.LBB53_557:
	s_or_b64 exec, exec, s[8:9]
	v_mov_b32_e32 v113, 0
	ds_read_b32 v113, v113 offset:16
	s_waitcnt lgkmcnt(0)
	v_mul_f32_e32 v112, v112, v113
	buffer_store_dword v112, off, s[0:3], 0 offset:16
.LBB53_558:
	s_or_b64 exec, exec, s[6:7]
	buffer_load_dword v112, off, s[0:3], 0 offset:20
	v_cmp_gt_u32_e32 vcc, 5, v0
	s_waitcnt vmcnt(0)
	ds_write_b32 v110, v112
	s_waitcnt lgkmcnt(0)
	; wave barrier
	s_and_saveexec_b64 s[6:7], vcc
	s_cbranch_execz .LBB53_568
; %bb.559:
	s_and_b64 vcc, exec, s[4:5]
	s_cbranch_vccnz .LBB53_561
; %bb.560:
	buffer_load_dword v112, v111, s[0:3], 0 offen
	ds_read_b32 v113, v110
	s_waitcnt vmcnt(0) lgkmcnt(0)
	v_mul_f32_e32 v112, v112, v113
	s_cbranch_execz .LBB53_562
	s_branch .LBB53_563
.LBB53_561:
                                        ; implicit-def: $vgpr112
.LBB53_562:
	ds_read_b32 v112, v110
.LBB53_563:
	v_cmp_ne_u32_e32 vcc, 4, v0
	s_and_saveexec_b64 s[8:9], vcc
	s_cbranch_execz .LBB53_567
; %bb.564:
	s_mov_b32 s10, 0
	v_add_u32_e32 v113, 0xe4, v109
	v_add3_u32 v114, v109, s10, 4
	s_mov_b64 s[10:11], 0
	v_mov_b32_e32 v115, v0
.LBB53_565:                             ; =>This Inner Loop Header: Depth=1
	buffer_load_dword v116, v114, s[0:3], 0 offen
	ds_read_b32 v117, v113
	v_add_u32_e32 v115, 1, v115
	v_cmp_lt_u32_e32 vcc, 3, v115
	v_add_u32_e32 v113, 4, v113
	v_add_u32_e32 v114, 4, v114
	s_or_b64 s[10:11], vcc, s[10:11]
	s_waitcnt vmcnt(0) lgkmcnt(0)
	v_fmac_f32_e32 v112, v116, v117
	s_andn2_b64 exec, exec, s[10:11]
	s_cbranch_execnz .LBB53_565
; %bb.566:
	s_or_b64 exec, exec, s[10:11]
.LBB53_567:
	s_or_b64 exec, exec, s[8:9]
	v_mov_b32_e32 v113, 0
	ds_read_b32 v113, v113 offset:20
	s_waitcnt lgkmcnt(0)
	v_mul_f32_e32 v112, v112, v113
	buffer_store_dword v112, off, s[0:3], 0 offset:20
.LBB53_568:
	;; [unrolled: 55-line block ×45, first 2 shown]
	s_or_b64 exec, exec, s[6:7]
	buffer_load_dword v112, off, s[0:3], 0 offset:196
	v_cmp_gt_u32_e32 vcc, 49, v0
	s_waitcnt vmcnt(0)
	ds_write_b32 v110, v112
	s_waitcnt lgkmcnt(0)
	; wave barrier
	s_and_saveexec_b64 s[6:7], vcc
	s_cbranch_execz .LBB53_1008
; %bb.999:
	s_and_b64 vcc, exec, s[4:5]
	s_cbranch_vccnz .LBB53_1001
; %bb.1000:
	buffer_load_dword v112, v111, s[0:3], 0 offen
	ds_read_b32 v113, v110
	s_waitcnt vmcnt(0) lgkmcnt(0)
	v_mul_f32_e32 v112, v112, v113
	s_cbranch_execz .LBB53_1002
	s_branch .LBB53_1003
.LBB53_1001:
                                        ; implicit-def: $vgpr112
.LBB53_1002:
	ds_read_b32 v112, v110
.LBB53_1003:
	v_cmp_ne_u32_e32 vcc, 48, v0
	s_and_saveexec_b64 s[8:9], vcc
	s_cbranch_execz .LBB53_1007
; %bb.1004:
	s_mov_b32 s10, 0
	v_add_u32_e32 v113, 0xe4, v109
	v_add3_u32 v114, v109, s10, 4
	s_mov_b64 s[10:11], 0
	v_mov_b32_e32 v115, v0
.LBB53_1005:                            ; =>This Inner Loop Header: Depth=1
	buffer_load_dword v116, v114, s[0:3], 0 offen
	ds_read_b32 v117, v113
	v_add_u32_e32 v115, 1, v115
	v_cmp_lt_u32_e32 vcc, 47, v115
	v_add_u32_e32 v113, 4, v113
	v_add_u32_e32 v114, 4, v114
	s_or_b64 s[10:11], vcc, s[10:11]
	s_waitcnt vmcnt(0) lgkmcnt(0)
	v_fmac_f32_e32 v112, v116, v117
	s_andn2_b64 exec, exec, s[10:11]
	s_cbranch_execnz .LBB53_1005
; %bb.1006:
	s_or_b64 exec, exec, s[10:11]
.LBB53_1007:
	s_or_b64 exec, exec, s[8:9]
	v_mov_b32_e32 v113, 0
	ds_read_b32 v113, v113 offset:196
	s_waitcnt lgkmcnt(0)
	v_mul_f32_e32 v112, v112, v113
	buffer_store_dword v112, off, s[0:3], 0 offset:196
.LBB53_1008:
	s_or_b64 exec, exec, s[6:7]
	buffer_load_dword v112, off, s[0:3], 0 offset:200
	v_cmp_gt_u32_e32 vcc, 50, v0
	s_waitcnt vmcnt(0)
	ds_write_b32 v110, v112
	s_waitcnt lgkmcnt(0)
	; wave barrier
	s_and_saveexec_b64 s[6:7], vcc
	s_cbranch_execz .LBB53_1018
; %bb.1009:
	s_and_b64 vcc, exec, s[4:5]
	s_cbranch_vccnz .LBB53_1011
; %bb.1010:
	buffer_load_dword v112, v111, s[0:3], 0 offen
	ds_read_b32 v113, v110
	s_waitcnt vmcnt(0) lgkmcnt(0)
	v_mul_f32_e32 v112, v112, v113
	s_cbranch_execz .LBB53_1012
	s_branch .LBB53_1013
.LBB53_1011:
                                        ; implicit-def: $vgpr112
.LBB53_1012:
	ds_read_b32 v112, v110
.LBB53_1013:
	v_cmp_ne_u32_e32 vcc, 49, v0
	s_and_saveexec_b64 s[8:9], vcc
	s_cbranch_execz .LBB53_1017
; %bb.1014:
	s_mov_b32 s10, 0
	v_add_u32_e32 v113, 0xe4, v109
	v_add3_u32 v114, v109, s10, 4
	s_mov_b64 s[10:11], 0
	v_mov_b32_e32 v115, v0
.LBB53_1015:                            ; =>This Inner Loop Header: Depth=1
	buffer_load_dword v116, v114, s[0:3], 0 offen
	ds_read_b32 v117, v113
	v_add_u32_e32 v115, 1, v115
	v_cmp_lt_u32_e32 vcc, 48, v115
	v_add_u32_e32 v113, 4, v113
	v_add_u32_e32 v114, 4, v114
	s_or_b64 s[10:11], vcc, s[10:11]
	s_waitcnt vmcnt(0) lgkmcnt(0)
	v_fmac_f32_e32 v112, v116, v117
	s_andn2_b64 exec, exec, s[10:11]
	s_cbranch_execnz .LBB53_1015
; %bb.1016:
	s_or_b64 exec, exec, s[10:11]
.LBB53_1017:
	s_or_b64 exec, exec, s[8:9]
	v_mov_b32_e32 v113, 0
	ds_read_b32 v113, v113 offset:200
	s_waitcnt lgkmcnt(0)
	v_mul_f32_e32 v112, v112, v113
	buffer_store_dword v112, off, s[0:3], 0 offset:200
.LBB53_1018:
	;; [unrolled: 55-line block ×3, first 2 shown]
	s_or_b64 exec, exec, s[6:7]
	buffer_load_dword v112, off, s[0:3], 0 offset:208
	v_cmp_gt_u32_e64 s[6:7], 52, v0
	s_waitcnt vmcnt(0)
	ds_write_b32 v110, v112
	s_waitcnt lgkmcnt(0)
	; wave barrier
	s_and_saveexec_b64 s[8:9], s[6:7]
	s_cbranch_execz .LBB53_1038
; %bb.1029:
	s_and_b64 vcc, exec, s[4:5]
	s_cbranch_vccnz .LBB53_1031
; %bb.1030:
	buffer_load_dword v112, v111, s[0:3], 0 offen
	ds_read_b32 v113, v110
	s_waitcnt vmcnt(0) lgkmcnt(0)
	v_mul_f32_e32 v112, v112, v113
	s_cbranch_execz .LBB53_1032
	s_branch .LBB53_1033
.LBB53_1031:
                                        ; implicit-def: $vgpr112
.LBB53_1032:
	ds_read_b32 v112, v110
.LBB53_1033:
	v_cmp_ne_u32_e32 vcc, 51, v0
	s_and_saveexec_b64 s[10:11], vcc
	s_cbranch_execz .LBB53_1037
; %bb.1034:
	s_mov_b32 s12, 0
	v_add_u32_e32 v113, 0xe4, v109
	v_add3_u32 v114, v109, s12, 4
	s_mov_b64 s[12:13], 0
	v_mov_b32_e32 v115, v0
.LBB53_1035:                            ; =>This Inner Loop Header: Depth=1
	buffer_load_dword v116, v114, s[0:3], 0 offen
	ds_read_b32 v117, v113
	v_add_u32_e32 v115, 1, v115
	v_cmp_lt_u32_e32 vcc, 50, v115
	v_add_u32_e32 v113, 4, v113
	v_add_u32_e32 v114, 4, v114
	s_or_b64 s[12:13], vcc, s[12:13]
	s_waitcnt vmcnt(0) lgkmcnt(0)
	v_fmac_f32_e32 v112, v116, v117
	s_andn2_b64 exec, exec, s[12:13]
	s_cbranch_execnz .LBB53_1035
; %bb.1036:
	s_or_b64 exec, exec, s[12:13]
.LBB53_1037:
	s_or_b64 exec, exec, s[10:11]
	v_mov_b32_e32 v113, 0
	ds_read_b32 v113, v113 offset:208
	s_waitcnt lgkmcnt(0)
	v_mul_f32_e32 v112, v112, v113
	buffer_store_dword v112, off, s[0:3], 0 offset:208
.LBB53_1038:
	s_or_b64 exec, exec, s[8:9]
	buffer_load_dword v112, off, s[0:3], 0 offset:212
	v_cmp_ne_u32_e32 vcc, 53, v0
	s_waitcnt vmcnt(0)
	ds_write_b32 v110, v112
	s_waitcnt lgkmcnt(0)
	; wave barrier
	s_and_saveexec_b64 s[8:9], vcc
	s_cbranch_execz .LBB53_1048
; %bb.1039:
	s_and_b64 vcc, exec, s[4:5]
	s_cbranch_vccnz .LBB53_1041
; %bb.1040:
	buffer_load_dword v111, v111, s[0:3], 0 offen
	ds_read_b32 v112, v110
	s_waitcnt vmcnt(0) lgkmcnt(0)
	v_mul_f32_e32 v111, v111, v112
	s_cbranch_execz .LBB53_1042
	s_branch .LBB53_1043
.LBB53_1041:
                                        ; implicit-def: $vgpr111
.LBB53_1042:
	ds_read_b32 v111, v110
.LBB53_1043:
	s_and_saveexec_b64 s[4:5], s[6:7]
	s_cbranch_execz .LBB53_1047
; %bb.1044:
	s_mov_b32 s6, 0
	v_add_u32_e32 v110, 0xe4, v109
	v_add3_u32 v109, v109, s6, 4
	s_mov_b64 s[6:7], 0
.LBB53_1045:                            ; =>This Inner Loop Header: Depth=1
	buffer_load_dword v112, v109, s[0:3], 0 offen
	ds_read_b32 v113, v110
	v_add_u32_e32 v0, 1, v0
	v_cmp_lt_u32_e32 vcc, 51, v0
	v_add_u32_e32 v110, 4, v110
	v_add_u32_e32 v109, 4, v109
	s_or_b64 s[6:7], vcc, s[6:7]
	s_waitcnt vmcnt(0) lgkmcnt(0)
	v_fmac_f32_e32 v111, v112, v113
	s_andn2_b64 exec, exec, s[6:7]
	s_cbranch_execnz .LBB53_1045
; %bb.1046:
	s_or_b64 exec, exec, s[6:7]
.LBB53_1047:
	s_or_b64 exec, exec, s[4:5]
	v_mov_b32_e32 v0, 0
	ds_read_b32 v0, v0 offset:212
	s_waitcnt lgkmcnt(0)
	v_mul_f32_e32 v0, v111, v0
	buffer_store_dword v0, off, s[0:3], 0 offset:212
.LBB53_1048:
	s_or_b64 exec, exec, s[8:9]
.LBB53_1049:
	buffer_load_dword v0, off, s[0:3], 0
	buffer_load_dword v109, off, s[0:3], 0 offset:4
	buffer_load_dword v110, off, s[0:3], 0 offset:8
	;; [unrolled: 1-line block ×15, first 2 shown]
	s_waitcnt vmcnt(15)
	global_store_dword v[105:106], v0, off
	s_waitcnt vmcnt(15)
	global_store_dword v[107:108], v109, off
	;; [unrolled: 2-line block ×3, first 2 shown]
	buffer_load_dword v0, off, s[0:3], 0 offset:64
	s_nop 0
	buffer_load_dword v3, off, s[0:3], 0 offset:68
	buffer_load_dword v4, off, s[0:3], 0 offset:72
	;; [unrolled: 1-line block ×7, first 2 shown]
	s_waitcnt vmcnt(23)
	global_store_dword v[1:2], v111, off
	s_waitcnt vmcnt(23)
	global_store_dword v[5:6], v112, off
	;; [unrolled: 2-line block ×3, first 2 shown]
	buffer_load_dword v1, off, s[0:3], 0 offset:96
	buffer_load_dword v2, off, s[0:3], 0 offset:100
	;; [unrolled: 1-line block ×4, first 2 shown]
	s_nop 0
	buffer_load_dword v9, off, s[0:3], 0 offset:112
	buffer_load_dword v10, off, s[0:3], 0 offset:116
	;; [unrolled: 1-line block ×4, first 2 shown]
	s_waitcnt vmcnt(31)
	global_store_dword v[7:8], v114, off
	s_waitcnt vmcnt(31)
	global_store_dword v[13:14], v115, off
	buffer_load_dword v7, off, s[0:3], 0 offset:128
	buffer_load_dword v8, off, s[0:3], 0 offset:132
	s_nop 0
	buffer_load_dword v13, off, s[0:3], 0 offset:136
	buffer_load_dword v14, off, s[0:3], 0 offset:140
	;; [unrolled: 1-line block ×6, first 2 shown]
	s_waitcnt vmcnt(39)
	global_store_dword v[11:12], v116, off
	s_waitcnt vmcnt(39)
	global_store_dword v[15:16], v117, off
	;; [unrolled: 2-line block ×3, first 2 shown]
	buffer_load_dword v11, off, s[0:3], 0 offset:160
	buffer_load_dword v12, off, s[0:3], 0 offset:164
	;; [unrolled: 1-line block ×4, first 2 shown]
	s_nop 0
	buffer_load_dword v19, off, s[0:3], 0 offset:176
	buffer_load_dword v20, off, s[0:3], 0 offset:180
	;; [unrolled: 1-line block ×4, first 2 shown]
	s_waitcnt vmcnt(47)
	global_store_dword v[17:18], v119, off
	s_waitcnt vmcnt(47)
	global_store_dword v[21:22], v120, off
	buffer_load_dword v17, off, s[0:3], 0 offset:192
	buffer_load_dword v18, off, s[0:3], 0 offset:196
	s_nop 0
	buffer_load_dword v21, off, s[0:3], 0 offset:200
	buffer_load_dword v22, off, s[0:3], 0 offset:204
	;; [unrolled: 1-line block ×4, first 2 shown]
	s_waitcnt vmcnt(53)
	global_store_dword v[23:24], v121, off
	s_waitcnt vmcnt(53)
	global_store_dword v[25:26], v122, off
	;; [unrolled: 2-line block ×41, first 2 shown]
.LBB53_1050:
	s_endpgm
	.section	.rodata,"a",@progbits
	.p2align	6, 0x0
	.amdhsa_kernel _ZN9rocsolver6v33100L18trti2_kernel_smallILi54EfPfEEv13rocblas_fill_17rocblas_diagonal_T1_iil
		.amdhsa_group_segment_fixed_size 440
		.amdhsa_private_segment_fixed_size 224
		.amdhsa_kernarg_size 32
		.amdhsa_user_sgpr_count 6
		.amdhsa_user_sgpr_private_segment_buffer 1
		.amdhsa_user_sgpr_dispatch_ptr 0
		.amdhsa_user_sgpr_queue_ptr 0
		.amdhsa_user_sgpr_kernarg_segment_ptr 1
		.amdhsa_user_sgpr_dispatch_id 0
		.amdhsa_user_sgpr_flat_scratch_init 0
		.amdhsa_user_sgpr_private_segment_size 0
		.amdhsa_uses_dynamic_stack 0
		.amdhsa_system_sgpr_private_segment_wavefront_offset 1
		.amdhsa_system_sgpr_workgroup_id_x 1
		.amdhsa_system_sgpr_workgroup_id_y 0
		.amdhsa_system_sgpr_workgroup_id_z 0
		.amdhsa_system_sgpr_workgroup_info 0
		.amdhsa_system_vgpr_workitem_id 0
		.amdhsa_next_free_vgpr 124
		.amdhsa_next_free_sgpr 67
		.amdhsa_reserve_vcc 1
		.amdhsa_reserve_flat_scratch 0
		.amdhsa_float_round_mode_32 0
		.amdhsa_float_round_mode_16_64 0
		.amdhsa_float_denorm_mode_32 3
		.amdhsa_float_denorm_mode_16_64 3
		.amdhsa_dx10_clamp 1
		.amdhsa_ieee_mode 1
		.amdhsa_fp16_overflow 0
		.amdhsa_exception_fp_ieee_invalid_op 0
		.amdhsa_exception_fp_denorm_src 0
		.amdhsa_exception_fp_ieee_div_zero 0
		.amdhsa_exception_fp_ieee_overflow 0
		.amdhsa_exception_fp_ieee_underflow 0
		.amdhsa_exception_fp_ieee_inexact 0
		.amdhsa_exception_int_div_zero 0
	.end_amdhsa_kernel
	.section	.text._ZN9rocsolver6v33100L18trti2_kernel_smallILi54EfPfEEv13rocblas_fill_17rocblas_diagonal_T1_iil,"axG",@progbits,_ZN9rocsolver6v33100L18trti2_kernel_smallILi54EfPfEEv13rocblas_fill_17rocblas_diagonal_T1_iil,comdat
.Lfunc_end53:
	.size	_ZN9rocsolver6v33100L18trti2_kernel_smallILi54EfPfEEv13rocblas_fill_17rocblas_diagonal_T1_iil, .Lfunc_end53-_ZN9rocsolver6v33100L18trti2_kernel_smallILi54EfPfEEv13rocblas_fill_17rocblas_diagonal_T1_iil
                                        ; -- End function
	.set _ZN9rocsolver6v33100L18trti2_kernel_smallILi54EfPfEEv13rocblas_fill_17rocblas_diagonal_T1_iil.num_vgpr, 124
	.set _ZN9rocsolver6v33100L18trti2_kernel_smallILi54EfPfEEv13rocblas_fill_17rocblas_diagonal_T1_iil.num_agpr, 0
	.set _ZN9rocsolver6v33100L18trti2_kernel_smallILi54EfPfEEv13rocblas_fill_17rocblas_diagonal_T1_iil.numbered_sgpr, 67
	.set _ZN9rocsolver6v33100L18trti2_kernel_smallILi54EfPfEEv13rocblas_fill_17rocblas_diagonal_T1_iil.num_named_barrier, 0
	.set _ZN9rocsolver6v33100L18trti2_kernel_smallILi54EfPfEEv13rocblas_fill_17rocblas_diagonal_T1_iil.private_seg_size, 224
	.set _ZN9rocsolver6v33100L18trti2_kernel_smallILi54EfPfEEv13rocblas_fill_17rocblas_diagonal_T1_iil.uses_vcc, 1
	.set _ZN9rocsolver6v33100L18trti2_kernel_smallILi54EfPfEEv13rocblas_fill_17rocblas_diagonal_T1_iil.uses_flat_scratch, 0
	.set _ZN9rocsolver6v33100L18trti2_kernel_smallILi54EfPfEEv13rocblas_fill_17rocblas_diagonal_T1_iil.has_dyn_sized_stack, 0
	.set _ZN9rocsolver6v33100L18trti2_kernel_smallILi54EfPfEEv13rocblas_fill_17rocblas_diagonal_T1_iil.has_recursion, 0
	.set _ZN9rocsolver6v33100L18trti2_kernel_smallILi54EfPfEEv13rocblas_fill_17rocblas_diagonal_T1_iil.has_indirect_call, 0
	.section	.AMDGPU.csdata,"",@progbits
; Kernel info:
; codeLenInByte = 26304
; TotalNumSgprs: 71
; NumVgprs: 124
; ScratchSize: 224
; MemoryBound: 0
; FloatMode: 240
; IeeeMode: 1
; LDSByteSize: 440 bytes/workgroup (compile time only)
; SGPRBlocks: 8
; VGPRBlocks: 30
; NumSGPRsForWavesPerEU: 71
; NumVGPRsForWavesPerEU: 124
; Occupancy: 2
; WaveLimiterHint : 0
; COMPUTE_PGM_RSRC2:SCRATCH_EN: 1
; COMPUTE_PGM_RSRC2:USER_SGPR: 6
; COMPUTE_PGM_RSRC2:TRAP_HANDLER: 0
; COMPUTE_PGM_RSRC2:TGID_X_EN: 1
; COMPUTE_PGM_RSRC2:TGID_Y_EN: 0
; COMPUTE_PGM_RSRC2:TGID_Z_EN: 0
; COMPUTE_PGM_RSRC2:TIDIG_COMP_CNT: 0
	.section	.text._ZN9rocsolver6v33100L18trti2_kernel_smallILi55EfPfEEv13rocblas_fill_17rocblas_diagonal_T1_iil,"axG",@progbits,_ZN9rocsolver6v33100L18trti2_kernel_smallILi55EfPfEEv13rocblas_fill_17rocblas_diagonal_T1_iil,comdat
	.globl	_ZN9rocsolver6v33100L18trti2_kernel_smallILi55EfPfEEv13rocblas_fill_17rocblas_diagonal_T1_iil ; -- Begin function _ZN9rocsolver6v33100L18trti2_kernel_smallILi55EfPfEEv13rocblas_fill_17rocblas_diagonal_T1_iil
	.p2align	8
	.type	_ZN9rocsolver6v33100L18trti2_kernel_smallILi55EfPfEEv13rocblas_fill_17rocblas_diagonal_T1_iil,@function
_ZN9rocsolver6v33100L18trti2_kernel_smallILi55EfPfEEv13rocblas_fill_17rocblas_diagonal_T1_iil: ; @_ZN9rocsolver6v33100L18trti2_kernel_smallILi55EfPfEEv13rocblas_fill_17rocblas_diagonal_T1_iil
; %bb.0:
	s_add_u32 s0, s0, s7
	s_addc_u32 s1, s1, 0
	v_cmp_gt_u32_e32 vcc, 55, v0
	s_and_saveexec_b64 s[8:9], vcc
	s_cbranch_execz .LBB54_1070
; %bb.1:
	s_load_dwordx8 s[8:15], s[4:5], 0x0
	s_ashr_i32 s7, s6, 31
	v_lshlrev_b32_e32 v111, 2, v0
	s_waitcnt lgkmcnt(0)
	s_ashr_i32 s5, s12, 31
	s_mov_b32 s4, s12
	s_mul_hi_u32 s12, s14, s6
	s_mul_i32 s7, s14, s7
	s_add_i32 s7, s12, s7
	s_mul_i32 s12, s15, s6
	s_add_i32 s7, s7, s12
	s_mul_i32 s6, s14, s6
	s_lshl_b64 s[6:7], s[6:7], 2
	s_add_u32 s6, s10, s6
	s_addc_u32 s7, s11, s7
	s_lshl_b64 s[4:5], s[4:5], 2
	s_add_u32 s4, s6, s4
	s_addc_u32 s5, s7, s5
	s_add_i32 s6, s13, s13
	v_add_u32_e32 v3, s6, v0
	v_ashrrev_i32_e32 v4, 31, v3
	v_lshlrev_b64 v[1:2], 2, v[3:4]
	v_mov_b32_e32 v4, s5
	v_add_co_u32_e32 v1, vcc, s4, v1
	v_add_u32_e32 v3, s13, v3
	v_addc_co_u32_e32 v2, vcc, v4, v2, vcc
	v_ashrrev_i32_e32 v4, 31, v3
	v_lshlrev_b64 v[5:6], 2, v[3:4]
	v_add_u32_e32 v7, s13, v3
	v_mov_b32_e32 v4, s5
	v_add_co_u32_e32 v5, vcc, s4, v5
	v_ashrrev_i32_e32 v8, 31, v7
	v_addc_co_u32_e32 v6, vcc, v4, v6, vcc
	v_lshlrev_b64 v[3:4], 2, v[7:8]
	v_mov_b32_e32 v8, s5
	v_add_co_u32_e32 v3, vcc, s4, v3
	v_add_u32_e32 v7, s13, v7
	v_addc_co_u32_e32 v4, vcc, v8, v4, vcc
	v_ashrrev_i32_e32 v8, 31, v7
	v_lshlrev_b64 v[9:10], 2, v[7:8]
	v_add_u32_e32 v11, s13, v7
	v_mov_b32_e32 v8, s5
	v_add_co_u32_e32 v9, vcc, s4, v9
	v_ashrrev_i32_e32 v12, 31, v11
	v_addc_co_u32_e32 v10, vcc, v8, v10, vcc
	v_lshlrev_b64 v[7:8], 2, v[11:12]
	v_add_u32_e32 v13, s13, v11
	v_mov_b32_e32 v12, s5
	v_add_co_u32_e32 v7, vcc, s4, v7
	v_ashrrev_i32_e32 v14, 31, v13
	v_addc_co_u32_e32 v8, vcc, v12, v8, vcc
	v_lshlrev_b64 v[11:12], 2, v[13:14]
	v_mov_b32_e32 v14, s5
	v_add_co_u32_e32 v11, vcc, s4, v11
	v_add_u32_e32 v13, s13, v13
	v_addc_co_u32_e32 v12, vcc, v14, v12, vcc
	v_ashrrev_i32_e32 v14, 31, v13
	v_lshlrev_b64 v[15:16], 2, v[13:14]
	v_add_u32_e32 v17, s13, v13
	v_mov_b32_e32 v14, s5
	v_add_co_u32_e32 v15, vcc, s4, v15
	v_ashrrev_i32_e32 v18, 31, v17
	v_addc_co_u32_e32 v16, vcc, v14, v16, vcc
	v_lshlrev_b64 v[13:14], 2, v[17:18]
	v_add_u32_e32 v19, s13, v17
	v_mov_b32_e32 v18, s5
	v_add_co_u32_e32 v13, vcc, s4, v13
	v_ashrrev_i32_e32 v20, 31, v19
	v_addc_co_u32_e32 v14, vcc, v18, v14, vcc
	;; [unrolled: 6-line block ×3, first 2 shown]
	v_lshlrev_b64 v[21:22], 2, v[19:20]
	v_mov_b32_e32 v23, s5
	v_add_co_u32_e32 v21, vcc, s4, v21
	v_addc_co_u32_e32 v22, vcc, v23, v22, vcc
	v_add_u32_e32 v23, s13, v19
	v_ashrrev_i32_e32 v24, 31, v23
	v_lshlrev_b64 v[19:20], 2, v[23:24]
	v_add_u32_e32 v23, s13, v23
	v_mov_b32_e32 v25, s5
	v_add_co_u32_e32 v19, vcc, s4, v19
	v_ashrrev_i32_e32 v24, 31, v23
	v_addc_co_u32_e32 v20, vcc, v25, v20, vcc
	v_lshlrev_b64 v[25:26], 2, v[23:24]
	v_mov_b32_e32 v27, s5
	v_add_co_u32_e32 v25, vcc, s4, v25
	v_addc_co_u32_e32 v26, vcc, v27, v26, vcc
	v_add_u32_e32 v27, s13, v23
	v_ashrrev_i32_e32 v28, 31, v27
	v_lshlrev_b64 v[23:24], 2, v[27:28]
	v_mov_b32_e32 v29, s5
	v_add_co_u32_e32 v23, vcc, s4, v23
	v_addc_co_u32_e32 v24, vcc, v29, v24, vcc
	v_add_u32_e32 v29, s13, v27
	v_ashrrev_i32_e32 v30, 31, v29
	;; [unrolled: 6-line block ×38, first 2 shown]
	v_lshlrev_b64 v[99:100], 2, v[101:102]
	v_mov_b32_e32 v103, s5
	v_add_co_u32_e32 v99, vcc, s4, v99
	v_addc_co_u32_e32 v100, vcc, v103, v100, vcc
	v_mov_b32_e32 v102, s5
	v_add_co_u32_e32 v107, vcc, s4, v111
	s_ashr_i32 s7, s13, 31
	s_mov_b32 s6, s13
	v_addc_co_u32_e32 v108, vcc, 0, v102, vcc
	s_lshl_b64 s[6:7], s[6:7], 2
	v_add_u32_e32 v103, s13, v101
	v_mov_b32_e32 v102, s7
	v_add_co_u32_e32 v109, vcc, s6, v107
	v_ashrrev_i32_e32 v104, 31, v103
	v_addc_co_u32_e32 v110, vcc, v108, v102, vcc
	v_lshlrev_b64 v[101:102], 2, v[103:104]
	v_mov_b32_e32 v105, s5
	v_add_co_u32_e32 v101, vcc, s4, v101
	v_addc_co_u32_e32 v102, vcc, v105, v102, vcc
	v_add_u32_e32 v105, s13, v103
	v_ashrrev_i32_e32 v106, 31, v105
	v_lshlrev_b64 v[103:104], 2, v[105:106]
	v_add_u32_e32 v105, s13, v105
	v_ashrrev_i32_e32 v106, 31, v105
	global_load_dword v112, v111, s[4:5]
	global_load_dword v113, v[109:110], off
	global_load_dword v114, v[1:2], off
	;; [unrolled: 1-line block ×5, first 2 shown]
	v_mov_b32_e32 v120, s5
	v_add_co_u32_e32 v103, vcc, s4, v103
	v_lshlrev_b64 v[105:106], 2, v[105:106]
	global_load_dword v118, v[7:8], off
	global_load_dword v119, v[11:12], off
	v_addc_co_u32_e32 v104, vcc, v120, v104, vcc
	v_add_co_u32_e32 v105, vcc, s4, v105
	v_addc_co_u32_e32 v106, vcc, v120, v106, vcc
	global_load_dword v120, v[15:16], off
	global_load_dword v121, v[13:14], off
	;; [unrolled: 1-line block ×3, first 2 shown]
	s_waitcnt vmcnt(10)
	buffer_store_dword v112, off, s[0:3], 0
	s_waitcnt vmcnt(10)
	buffer_store_dword v113, off, s[0:3], 0 offset:4
	s_waitcnt vmcnt(10)
	buffer_store_dword v114, off, s[0:3], 0 offset:8
	s_waitcnt vmcnt(10)
	buffer_store_dword v115, off, s[0:3], 0 offset:12
	s_waitcnt vmcnt(10)
	buffer_store_dword v116, off, s[0:3], 0 offset:16
	s_waitcnt vmcnt(10)
	buffer_store_dword v117, off, s[0:3], 0 offset:20
	global_load_dword v112, v[17:18], off
	global_load_dword v113, v[21:22], off
	;; [unrolled: 1-line block ×7, first 2 shown]
	s_waitcnt vmcnt(17)
	buffer_store_dword v118, off, s[0:3], 0 offset:24
	s_waitcnt vmcnt(17)
	buffer_store_dword v119, off, s[0:3], 0 offset:28
	global_load_dword v118, v[31:32], off
	s_nop 0
	global_load_dword v119, v[33:34], off
	s_waitcnt vmcnt(19)
	buffer_store_dword v120, off, s[0:3], 0 offset:32
	s_waitcnt vmcnt(19)
	buffer_store_dword v121, off, s[0:3], 0 offset:36
	global_load_dword v120, v[35:36], off
	s_nop 0
	global_load_dword v121, v[37:38], off
	s_waitcnt vmcnt(14)
	buffer_store_dword v112, off, s[0:3], 0 offset:40
	s_waitcnt vmcnt(14)
	buffer_store_dword v113, off, s[0:3], 0 offset:44
	;; [unrolled: 2-line block ×7, first 2 shown]
	global_load_dword v112, v[39:40], off
	global_load_dword v113, v[41:42], off
	;; [unrolled: 1-line block ×4, first 2 shown]
	s_waitcnt vmcnt(16)
	buffer_store_dword v118, off, s[0:3], 0 offset:68
	s_waitcnt vmcnt(16)
	buffer_store_dword v119, off, s[0:3], 0 offset:72
	global_load_dword v116, v[47:48], off
	global_load_dword v117, v[49:50], off
	;; [unrolled: 1-line block ×3, first 2 shown]
	s_nop 0
	global_load_dword v119, v[53:54], off
	global_load_dword v123, v[55:56], off
	s_waitcnt vmcnt(19)
	buffer_store_dword v120, off, s[0:3], 0 offset:76
	s_waitcnt vmcnt(19)
	buffer_store_dword v121, off, s[0:3], 0 offset:80
	global_load_dword v120, v[57:58], off
	s_nop 0
	global_load_dword v121, v[59:60], off
	s_waitcnt vmcnt(14)
	buffer_store_dword v112, off, s[0:3], 0 offset:84
	s_waitcnt vmcnt(14)
	buffer_store_dword v113, off, s[0:3], 0 offset:88
	s_waitcnt vmcnt(14)
	buffer_store_dword v114, off, s[0:3], 0 offset:92
	s_waitcnt vmcnt(14)
	buffer_store_dword v115, off, s[0:3], 0 offset:96
	global_load_dword v112, v[61:62], off
	s_waitcnt vmcnt(13)
	buffer_store_dword v116, off, s[0:3], 0 offset:100
	s_waitcnt vmcnt(13)
	buffer_store_dword v117, off, s[0:3], 0 offset:104
	;; [unrolled: 2-line block ×5, first 2 shown]
	global_load_dword v113, v[63:64], off
	global_load_dword v114, v[65:66], off
	;; [unrolled: 1-line block ×8, first 2 shown]
	s_waitcnt vmcnt(19)
	buffer_store_dword v120, off, s[0:3], 0 offset:120
	s_waitcnt vmcnt(19)
	buffer_store_dword v121, off, s[0:3], 0 offset:124
	global_load_dword v120, v[79:80], off
	s_nop 0
	global_load_dword v121, v[81:82], off
	s_waitcnt vmcnt(17)
	buffer_store_dword v112, off, s[0:3], 0 offset:128
	s_waitcnt vmcnt(12)
	buffer_store_dword v113, off, s[0:3], 0 offset:132
	;; [unrolled: 2-line block ×9, first 2 shown]
	global_load_dword v112, v[83:84], off
	global_load_dword v113, v[85:86], off
	global_load_dword v114, v[87:88], off
	global_load_dword v115, v[89:90], off
	global_load_dword v116, v[91:92], off
	global_load_dword v117, v[93:94], off
	s_waitcnt vmcnt(16)
	buffer_store_dword v120, off, s[0:3], 0 offset:164
	s_waitcnt vmcnt(16)
	buffer_store_dword v121, off, s[0:3], 0 offset:168
	global_load_dword v118, v[95:96], off
	global_load_dword v119, v[97:98], off
	;; [unrolled: 1-line block ×3, first 2 shown]
	s_nop 0
	global_load_dword v121, v[101:102], off
	global_load_dword v123, v[103:104], off
	s_cmpk_lg_i32 s9, 0x84
	s_waitcnt vmcnt(12)
	buffer_store_dword v112, off, s[0:3], 0 offset:172
	s_waitcnt vmcnt(12)
	buffer_store_dword v113, off, s[0:3], 0 offset:176
	;; [unrolled: 2-line block ×11, first 2 shown]
	buffer_store_dword v122, off, s[0:3], 0 offset:216
	s_movk_i32 s12, 0x84
	s_cselect_b64 s[10:11], -1, 0
	s_cmpk_eq_i32 s9, 0x84
	v_mov_b32_e32 v112, -1.0
	s_cbranch_scc1 .LBB54_3
; %bb.2:
	v_mov_b32_e32 v112, 0
	v_lshl_add_u32 v112, v0, 2, v112
	buffer_load_dword v113, v112, s[0:3], 0 offen
	s_waitcnt vmcnt(0)
	v_div_scale_f32 v114, s[4:5], v113, v113, 1.0
	v_div_scale_f32 v115, vcc, 1.0, v113, 1.0
	v_rcp_f32_e32 v116, v114
	v_fma_f32 v117, -v114, v116, 1.0
	v_fmac_f32_e32 v116, v117, v116
	v_mul_f32_e32 v117, v115, v116
	v_fma_f32 v118, -v114, v117, v115
	v_fmac_f32_e32 v117, v118, v116
	v_fma_f32 v114, -v114, v117, v115
	v_div_fmas_f32 v114, v114, v116, v117
	v_div_fixup_f32 v113, v114, v113, 1.0
	buffer_store_dword v113, v112, s[0:3], 0 offen
	v_xor_b32_e32 v112, 0x80000000, v113
.LBB54_3:
	ds_write_b32 v111, v112
	s_cmpk_eq_i32 s8, 0x79
	v_add_u32_e32 v112, 0xe0, v111
	v_mov_b32_e32 v113, v111
	s_mov_b64 s[4:5], -1
	s_cbranch_scc1 .LBB54_537
; %bb.4:
	buffer_load_dword v114, off, s[0:3], 0 offset:212
	s_movk_i32 s30, 0x44
	s_movk_i32 s31, 0x48
	s_movk_i32 s33, 0x4c
	s_movk_i32 s34, 0x50
	s_movk_i32 s35, 0x54
	s_movk_i32 s36, 0x58
	s_movk_i32 s37, 0x5c
	s_movk_i32 s38, 0x60
	s_movk_i32 s39, 0x64
	s_movk_i32 s40, 0x68
	s_movk_i32 s41, 0x6c
	s_movk_i32 s42, 0x70
	s_movk_i32 s43, 0x74
	s_movk_i32 s44, 0x78
	s_movk_i32 s45, 0x7c
	s_movk_i32 s46, 0x80
	s_movk_i32 s13, 0x88
	s_movk_i32 s49, 0x8c
	s_movk_i32 s50, 0x90
	s_movk_i32 s51, 0x94
	s_movk_i32 s52, 0x98
	s_movk_i32 s53, 0x9c
	s_movk_i32 s54, 0xa0
	s_movk_i32 s55, 0xa4
	s_movk_i32 s56, 0xa8
	s_movk_i32 s57, 0xac
	s_movk_i32 s58, 0xb0
	s_movk_i32 s59, 0xb4
	s_movk_i32 s60, 0xb8
	s_movk_i32 s61, 0xbc
	s_movk_i32 s62, 0xc0
	s_movk_i32 s63, 0xc4
	s_movk_i32 s64, 0xc8
	s_movk_i32 s65, 0xcc
	s_movk_i32 s66, 0xd0
	v_cmp_eq_u32_e64 s[4:5], 54, v0
	s_waitcnt vmcnt(0)
	ds_write_b32 v112, v114
	s_waitcnt lgkmcnt(0)
	; wave barrier
	s_and_saveexec_b64 s[6:7], s[4:5]
	s_cbranch_execz .LBB54_10
; %bb.5:
	s_and_b64 vcc, exec, s[10:11]
	s_cbranch_vccz .LBB54_7
; %bb.6:
	buffer_load_dword v114, v113, s[0:3], 0 offen
	ds_read_b32 v115, v112
	s_waitcnt vmcnt(0) lgkmcnt(0)
	v_mul_f32_e32 v114, v114, v115
	s_cbranch_execz .LBB54_8
	s_branch .LBB54_9
.LBB54_7:
                                        ; implicit-def: $vgpr114
.LBB54_8:
	ds_read_b32 v114, v112
.LBB54_9:
	v_mov_b32_e32 v115, 0
	ds_read_b32 v115, v115 offset:212
	s_waitcnt lgkmcnt(0)
	v_mul_f32_e32 v114, v114, v115
	buffer_store_dword v114, off, s[0:3], 0 offset:212
.LBB54_10:
	s_or_b64 exec, exec, s[6:7]
	buffer_load_dword v114, off, s[0:3], 0 offset:208
	s_or_b32 s14, 0, 4
	s_or_b32 s15, 0, 8
	s_or_b32 s16, 0, 12
	s_mov_b32 s17, 16
	s_mov_b32 s18, 20
	;; [unrolled: 1-line block ×15, first 2 shown]
	v_cmp_lt_u32_e64 s[6:7], 52, v0
	s_waitcnt vmcnt(0)
	ds_write_b32 v112, v114
	s_waitcnt lgkmcnt(0)
	; wave barrier
	s_and_saveexec_b64 s[8:9], s[6:7]
	s_cbranch_execz .LBB54_16
; %bb.11:
	s_andn2_b64 vcc, exec, s[10:11]
	s_cbranch_vccnz .LBB54_13
; %bb.12:
	buffer_load_dword v114, v113, s[0:3], 0 offen
	ds_read_b32 v115, v112
	s_waitcnt vmcnt(0) lgkmcnt(0)
	v_mul_f32_e32 v114, v114, v115
	s_cbranch_execz .LBB54_14
	s_branch .LBB54_15
.LBB54_13:
                                        ; implicit-def: $vgpr114
.LBB54_14:
	ds_read_b32 v114, v112
.LBB54_15:
	buffer_load_dword v117, off, s[0:3], 0 offset:212
	v_mov_b32_e32 v115, 0
	ds_read2_b32 v[115:116], v115 offset0:52 offset1:109
	s_waitcnt vmcnt(0) lgkmcnt(0)
	v_fma_f32 v116, v117, v116, v114
	v_cndmask_b32_e64 v114, v114, v116, s[4:5]
	v_mul_f32_e32 v114, v114, v115
	buffer_store_dword v114, off, s[0:3], 0 offset:208
.LBB54_16:
	s_or_b64 exec, exec, s[8:9]
	buffer_load_dword v114, off, s[0:3], 0 offset:204
	v_cmp_lt_u32_e64 s[4:5], 51, v0
	s_waitcnt vmcnt(0)
	ds_write_b32 v112, v114
	s_waitcnt lgkmcnt(0)
	; wave barrier
	s_and_saveexec_b64 s[8:9], s[4:5]
	s_cbranch_execz .LBB54_26
; %bb.17:
	s_andn2_b64 vcc, exec, s[10:11]
	s_cbranch_vccnz .LBB54_19
; %bb.18:
	buffer_load_dword v114, v113, s[0:3], 0 offen
	ds_read_b32 v115, v112
	s_waitcnt vmcnt(0) lgkmcnt(0)
	v_mul_f32_e32 v114, v114, v115
	s_cbranch_execz .LBB54_20
	s_branch .LBB54_21
.LBB54_19:
                                        ; implicit-def: $vgpr114
.LBB54_20:
	ds_read_b32 v114, v112
.LBB54_21:
	s_and_saveexec_b64 s[12:13], s[6:7]
	s_cbranch_execz .LBB54_25
; %bb.22:
	v_subrev_u32_e32 v115, 52, v0
	s_movk_i32 s67, 0x1b0
	s_mov_b64 s[6:7], 0
.LBB54_23:                              ; =>This Inner Loop Header: Depth=1
	v_mov_b32_e32 v116, s66
	buffer_load_dword v116, v116, s[0:3], 0 offen
	v_mov_b32_e32 v117, s67
	ds_read_b32 v117, v117
	v_add_u32_e32 v115, -1, v115
	s_add_i32 s67, s67, 4
	s_add_i32 s66, s66, 4
	v_cmp_eq_u32_e32 vcc, 0, v115
	s_or_b64 s[6:7], vcc, s[6:7]
	s_waitcnt vmcnt(0) lgkmcnt(0)
	v_fmac_f32_e32 v114, v116, v117
	s_andn2_b64 exec, exec, s[6:7]
	s_cbranch_execnz .LBB54_23
; %bb.24:
	s_or_b64 exec, exec, s[6:7]
.LBB54_25:
	s_or_b64 exec, exec, s[12:13]
	v_mov_b32_e32 v115, 0
	ds_read_b32 v115, v115 offset:204
	s_waitcnt lgkmcnt(0)
	v_mul_f32_e32 v114, v114, v115
	buffer_store_dword v114, off, s[0:3], 0 offset:204
.LBB54_26:
	s_or_b64 exec, exec, s[8:9]
	buffer_load_dword v114, off, s[0:3], 0 offset:200
	v_cmp_lt_u32_e64 s[6:7], 50, v0
	s_waitcnt vmcnt(0)
	ds_write_b32 v112, v114
	s_waitcnt lgkmcnt(0)
	; wave barrier
	s_and_saveexec_b64 s[8:9], s[6:7]
	s_cbranch_execz .LBB54_36
; %bb.27:
	s_andn2_b64 vcc, exec, s[10:11]
	s_cbranch_vccnz .LBB54_29
; %bb.28:
	buffer_load_dword v114, v113, s[0:3], 0 offen
	ds_read_b32 v115, v112
	s_waitcnt vmcnt(0) lgkmcnt(0)
	v_mul_f32_e32 v114, v114, v115
	s_cbranch_execz .LBB54_30
	s_branch .LBB54_31
.LBB54_29:
                                        ; implicit-def: $vgpr114
.LBB54_30:
	ds_read_b32 v114, v112
.LBB54_31:
	s_and_saveexec_b64 s[12:13], s[4:5]
	s_cbranch_execz .LBB54_35
; %bb.32:
	v_subrev_u32_e32 v115, 51, v0
	s_movk_i32 s66, 0x1ac
	s_mov_b64 s[4:5], 0
.LBB54_33:                              ; =>This Inner Loop Header: Depth=1
	v_mov_b32_e32 v116, s65
	buffer_load_dword v116, v116, s[0:3], 0 offen
	v_mov_b32_e32 v117, s66
	ds_read_b32 v117, v117
	v_add_u32_e32 v115, -1, v115
	s_add_i32 s66, s66, 4
	s_add_i32 s65, s65, 4
	v_cmp_eq_u32_e32 vcc, 0, v115
	s_or_b64 s[4:5], vcc, s[4:5]
	s_waitcnt vmcnt(0) lgkmcnt(0)
	v_fmac_f32_e32 v114, v116, v117
	s_andn2_b64 exec, exec, s[4:5]
	s_cbranch_execnz .LBB54_33
; %bb.34:
	s_or_b64 exec, exec, s[4:5]
.LBB54_35:
	s_or_b64 exec, exec, s[12:13]
	v_mov_b32_e32 v115, 0
	ds_read_b32 v115, v115 offset:200
	s_waitcnt lgkmcnt(0)
	v_mul_f32_e32 v114, v114, v115
	buffer_store_dword v114, off, s[0:3], 0 offset:200
.LBB54_36:
	;; [unrolled: 54-line block ×8, first 2 shown]
	s_or_b64 exec, exec, s[8:9]
	buffer_load_dword v114, off, s[0:3], 0 offset:172
	v_cmp_lt_u32_e64 s[4:5], 43, v0
	s_waitcnt vmcnt(0)
	ds_write_b32 v112, v114
	s_waitcnt lgkmcnt(0)
	; wave barrier
	s_and_saveexec_b64 s[8:9], s[4:5]
	s_cbranch_execz .LBB54_106
; %bb.97:
	s_andn2_b64 vcc, exec, s[10:11]
	s_cbranch_vccnz .LBB54_99
; %bb.98:
	buffer_load_dword v114, v113, s[0:3], 0 offen
	ds_read_b32 v115, v112
	s_waitcnt vmcnt(0) lgkmcnt(0)
	v_mul_f32_e32 v114, v114, v115
	s_cbranch_execz .LBB54_100
	s_branch .LBB54_101
.LBB54_99:
                                        ; implicit-def: $vgpr114
.LBB54_100:
	ds_read_b32 v114, v112
.LBB54_101:
	s_and_saveexec_b64 s[12:13], s[6:7]
	s_cbranch_execz .LBB54_105
; %bb.102:
	v_subrev_u32_e32 v115, 44, v0
	s_movk_i32 s59, 0x190
	s_mov_b64 s[6:7], 0
.LBB54_103:                             ; =>This Inner Loop Header: Depth=1
	v_mov_b32_e32 v116, s58
	buffer_load_dword v116, v116, s[0:3], 0 offen
	v_mov_b32_e32 v117, s59
	ds_read_b32 v117, v117
	v_add_u32_e32 v115, -1, v115
	s_add_i32 s59, s59, 4
	s_add_i32 s58, s58, 4
	v_cmp_eq_u32_e32 vcc, 0, v115
	s_or_b64 s[6:7], vcc, s[6:7]
	s_waitcnt vmcnt(0) lgkmcnt(0)
	v_fmac_f32_e32 v114, v116, v117
	s_andn2_b64 exec, exec, s[6:7]
	s_cbranch_execnz .LBB54_103
; %bb.104:
	s_or_b64 exec, exec, s[6:7]
.LBB54_105:
	s_or_b64 exec, exec, s[12:13]
	v_mov_b32_e32 v115, 0
	ds_read_b32 v115, v115 offset:172
	s_waitcnt lgkmcnt(0)
	v_mul_f32_e32 v114, v114, v115
	buffer_store_dword v114, off, s[0:3], 0 offset:172
.LBB54_106:
	s_or_b64 exec, exec, s[8:9]
	buffer_load_dword v114, off, s[0:3], 0 offset:168
	v_cmp_lt_u32_e64 s[6:7], 42, v0
	s_waitcnt vmcnt(0)
	ds_write_b32 v112, v114
	s_waitcnt lgkmcnt(0)
	; wave barrier
	s_and_saveexec_b64 s[8:9], s[6:7]
	s_cbranch_execz .LBB54_116
; %bb.107:
	s_andn2_b64 vcc, exec, s[10:11]
	s_cbranch_vccnz .LBB54_109
; %bb.108:
	buffer_load_dword v114, v113, s[0:3], 0 offen
	ds_read_b32 v115, v112
	s_waitcnt vmcnt(0) lgkmcnt(0)
	v_mul_f32_e32 v114, v114, v115
	s_cbranch_execz .LBB54_110
	s_branch .LBB54_111
.LBB54_109:
                                        ; implicit-def: $vgpr114
.LBB54_110:
	ds_read_b32 v114, v112
.LBB54_111:
	s_and_saveexec_b64 s[12:13], s[4:5]
	s_cbranch_execz .LBB54_115
; %bb.112:
	v_subrev_u32_e32 v115, 43, v0
	s_movk_i32 s58, 0x18c
	s_mov_b64 s[4:5], 0
.LBB54_113:                             ; =>This Inner Loop Header: Depth=1
	v_mov_b32_e32 v116, s57
	buffer_load_dword v116, v116, s[0:3], 0 offen
	v_mov_b32_e32 v117, s58
	ds_read_b32 v117, v117
	v_add_u32_e32 v115, -1, v115
	s_add_i32 s58, s58, 4
	s_add_i32 s57, s57, 4
	v_cmp_eq_u32_e32 vcc, 0, v115
	s_or_b64 s[4:5], vcc, s[4:5]
	s_waitcnt vmcnt(0) lgkmcnt(0)
	v_fmac_f32_e32 v114, v116, v117
	s_andn2_b64 exec, exec, s[4:5]
	s_cbranch_execnz .LBB54_113
; %bb.114:
	s_or_b64 exec, exec, s[4:5]
.LBB54_115:
	s_or_b64 exec, exec, s[12:13]
	v_mov_b32_e32 v115, 0
	ds_read_b32 v115, v115 offset:168
	s_waitcnt lgkmcnt(0)
	v_mul_f32_e32 v114, v114, v115
	buffer_store_dword v114, off, s[0:3], 0 offset:168
.LBB54_116:
	;; [unrolled: 54-line block ×28, first 2 shown]
	s_or_b64 exec, exec, s[8:9]
	buffer_load_dword v114, off, s[0:3], 0 offset:60
	v_cmp_lt_u32_e64 s[4:5], 15, v0
	s_waitcnt vmcnt(0)
	ds_write_b32 v112, v114
	s_waitcnt lgkmcnt(0)
	; wave barrier
	s_and_saveexec_b64 s[8:9], s[4:5]
	s_cbranch_execz .LBB54_386
; %bb.377:
	s_andn2_b64 vcc, exec, s[10:11]
	s_cbranch_vccnz .LBB54_379
; %bb.378:
	buffer_load_dword v114, v113, s[0:3], 0 offen
	ds_read_b32 v115, v112
	s_waitcnt vmcnt(0) lgkmcnt(0)
	v_mul_f32_e32 v114, v114, v115
	s_cbranch_execz .LBB54_380
	s_branch .LBB54_381
.LBB54_379:
                                        ; implicit-def: $vgpr114
.LBB54_380:
	ds_read_b32 v114, v112
.LBB54_381:
	s_and_saveexec_b64 s[12:13], s[6:7]
	s_cbranch_execz .LBB54_385
; %bb.382:
	v_add_u32_e32 v115, -16, v0
	s_movk_i32 s30, 0x120
	s_mov_b64 s[6:7], 0
.LBB54_383:                             ; =>This Inner Loop Header: Depth=1
	v_mov_b32_e32 v116, s29
	buffer_load_dword v116, v116, s[0:3], 0 offen
	v_mov_b32_e32 v117, s30
	ds_read_b32 v117, v117
	v_add_u32_e32 v115, -1, v115
	s_add_i32 s30, s30, 4
	s_add_i32 s29, s29, 4
	v_cmp_eq_u32_e32 vcc, 0, v115
	s_or_b64 s[6:7], vcc, s[6:7]
	s_waitcnt vmcnt(0) lgkmcnt(0)
	v_fmac_f32_e32 v114, v116, v117
	s_andn2_b64 exec, exec, s[6:7]
	s_cbranch_execnz .LBB54_383
; %bb.384:
	s_or_b64 exec, exec, s[6:7]
.LBB54_385:
	s_or_b64 exec, exec, s[12:13]
	v_mov_b32_e32 v115, 0
	ds_read_b32 v115, v115 offset:60
	s_waitcnt lgkmcnt(0)
	v_mul_f32_e32 v114, v114, v115
	buffer_store_dword v114, off, s[0:3], 0 offset:60
.LBB54_386:
	s_or_b64 exec, exec, s[8:9]
	buffer_load_dword v114, off, s[0:3], 0 offset:56
	v_cmp_lt_u32_e64 s[6:7], 14, v0
	s_waitcnt vmcnt(0)
	ds_write_b32 v112, v114
	s_waitcnt lgkmcnt(0)
	; wave barrier
	s_and_saveexec_b64 s[8:9], s[6:7]
	s_cbranch_execz .LBB54_396
; %bb.387:
	s_andn2_b64 vcc, exec, s[10:11]
	s_cbranch_vccnz .LBB54_389
; %bb.388:
	buffer_load_dword v114, v113, s[0:3], 0 offen
	ds_read_b32 v115, v112
	s_waitcnt vmcnt(0) lgkmcnt(0)
	v_mul_f32_e32 v114, v114, v115
	s_cbranch_execz .LBB54_390
	s_branch .LBB54_391
.LBB54_389:
                                        ; implicit-def: $vgpr114
.LBB54_390:
	ds_read_b32 v114, v112
.LBB54_391:
	s_and_saveexec_b64 s[12:13], s[4:5]
	s_cbranch_execz .LBB54_395
; %bb.392:
	v_add_u32_e32 v115, -15, v0
	s_movk_i32 s29, 0x11c
	s_mov_b64 s[4:5], 0
.LBB54_393:                             ; =>This Inner Loop Header: Depth=1
	v_mov_b32_e32 v116, s28
	buffer_load_dword v116, v116, s[0:3], 0 offen
	v_mov_b32_e32 v117, s29
	ds_read_b32 v117, v117
	v_add_u32_e32 v115, -1, v115
	s_add_i32 s29, s29, 4
	s_add_i32 s28, s28, 4
	v_cmp_eq_u32_e32 vcc, 0, v115
	s_or_b64 s[4:5], vcc, s[4:5]
	s_waitcnt vmcnt(0) lgkmcnt(0)
	v_fmac_f32_e32 v114, v116, v117
	s_andn2_b64 exec, exec, s[4:5]
	s_cbranch_execnz .LBB54_393
; %bb.394:
	s_or_b64 exec, exec, s[4:5]
.LBB54_395:
	s_or_b64 exec, exec, s[12:13]
	v_mov_b32_e32 v115, 0
	ds_read_b32 v115, v115 offset:56
	s_waitcnt lgkmcnt(0)
	v_mul_f32_e32 v114, v114, v115
	buffer_store_dword v114, off, s[0:3], 0 offset:56
.LBB54_396:
	s_or_b64 exec, exec, s[8:9]
	buffer_load_dword v114, off, s[0:3], 0 offset:52
	v_cmp_lt_u32_e64 s[4:5], 13, v0
	s_waitcnt vmcnt(0)
	ds_write_b32 v112, v114
	s_waitcnt lgkmcnt(0)
	; wave barrier
	s_and_saveexec_b64 s[8:9], s[4:5]
	s_cbranch_execz .LBB54_406
; %bb.397:
	s_andn2_b64 vcc, exec, s[10:11]
	s_cbranch_vccnz .LBB54_399
; %bb.398:
	buffer_load_dword v114, v113, s[0:3], 0 offen
	ds_read_b32 v115, v112
	s_waitcnt vmcnt(0) lgkmcnt(0)
	v_mul_f32_e32 v114, v114, v115
	s_cbranch_execz .LBB54_400
	s_branch .LBB54_401
.LBB54_399:
                                        ; implicit-def: $vgpr114
.LBB54_400:
	ds_read_b32 v114, v112
.LBB54_401:
	s_and_saveexec_b64 s[12:13], s[6:7]
	s_cbranch_execz .LBB54_405
; %bb.402:
	v_add_u32_e32 v115, -14, v0
	s_movk_i32 s28, 0x118
	s_mov_b64 s[6:7], 0
.LBB54_403:                             ; =>This Inner Loop Header: Depth=1
	v_mov_b32_e32 v116, s27
	buffer_load_dword v116, v116, s[0:3], 0 offen
	v_mov_b32_e32 v117, s28
	ds_read_b32 v117, v117
	v_add_u32_e32 v115, -1, v115
	s_add_i32 s28, s28, 4
	s_add_i32 s27, s27, 4
	v_cmp_eq_u32_e32 vcc, 0, v115
	s_or_b64 s[6:7], vcc, s[6:7]
	s_waitcnt vmcnt(0) lgkmcnt(0)
	v_fmac_f32_e32 v114, v116, v117
	s_andn2_b64 exec, exec, s[6:7]
	s_cbranch_execnz .LBB54_403
; %bb.404:
	s_or_b64 exec, exec, s[6:7]
.LBB54_405:
	s_or_b64 exec, exec, s[12:13]
	v_mov_b32_e32 v115, 0
	ds_read_b32 v115, v115 offset:52
	s_waitcnt lgkmcnt(0)
	v_mul_f32_e32 v114, v114, v115
	buffer_store_dword v114, off, s[0:3], 0 offset:52
.LBB54_406:
	s_or_b64 exec, exec, s[8:9]
	buffer_load_dword v114, off, s[0:3], 0 offset:48
	v_cmp_lt_u32_e64 s[6:7], 12, v0
	s_waitcnt vmcnt(0)
	ds_write_b32 v112, v114
	s_waitcnt lgkmcnt(0)
	; wave barrier
	s_and_saveexec_b64 s[8:9], s[6:7]
	s_cbranch_execz .LBB54_416
; %bb.407:
	s_andn2_b64 vcc, exec, s[10:11]
	s_cbranch_vccnz .LBB54_409
; %bb.408:
	buffer_load_dword v114, v113, s[0:3], 0 offen
	ds_read_b32 v115, v112
	s_waitcnt vmcnt(0) lgkmcnt(0)
	v_mul_f32_e32 v114, v114, v115
	s_cbranch_execz .LBB54_410
	s_branch .LBB54_411
.LBB54_409:
                                        ; implicit-def: $vgpr114
.LBB54_410:
	ds_read_b32 v114, v112
.LBB54_411:
	s_and_saveexec_b64 s[12:13], s[4:5]
	s_cbranch_execz .LBB54_415
; %bb.412:
	v_add_u32_e32 v115, -13, v0
	s_movk_i32 s27, 0x114
	s_mov_b64 s[4:5], 0
.LBB54_413:                             ; =>This Inner Loop Header: Depth=1
	v_mov_b32_e32 v116, s26
	buffer_load_dword v116, v116, s[0:3], 0 offen
	v_mov_b32_e32 v117, s27
	ds_read_b32 v117, v117
	v_add_u32_e32 v115, -1, v115
	s_add_i32 s27, s27, 4
	s_add_i32 s26, s26, 4
	v_cmp_eq_u32_e32 vcc, 0, v115
	s_or_b64 s[4:5], vcc, s[4:5]
	s_waitcnt vmcnt(0) lgkmcnt(0)
	v_fmac_f32_e32 v114, v116, v117
	s_andn2_b64 exec, exec, s[4:5]
	s_cbranch_execnz .LBB54_413
; %bb.414:
	s_or_b64 exec, exec, s[4:5]
.LBB54_415:
	s_or_b64 exec, exec, s[12:13]
	v_mov_b32_e32 v115, 0
	ds_read_b32 v115, v115 offset:48
	s_waitcnt lgkmcnt(0)
	v_mul_f32_e32 v114, v114, v115
	buffer_store_dword v114, off, s[0:3], 0 offset:48
.LBB54_416:
	s_or_b64 exec, exec, s[8:9]
	buffer_load_dword v114, off, s[0:3], 0 offset:44
	v_cmp_lt_u32_e64 s[4:5], 11, v0
	s_waitcnt vmcnt(0)
	ds_write_b32 v112, v114
	s_waitcnt lgkmcnt(0)
	; wave barrier
	s_and_saveexec_b64 s[8:9], s[4:5]
	s_cbranch_execz .LBB54_426
; %bb.417:
	s_andn2_b64 vcc, exec, s[10:11]
	s_cbranch_vccnz .LBB54_419
; %bb.418:
	buffer_load_dword v114, v113, s[0:3], 0 offen
	ds_read_b32 v115, v112
	s_waitcnt vmcnt(0) lgkmcnt(0)
	v_mul_f32_e32 v114, v114, v115
	s_cbranch_execz .LBB54_420
	s_branch .LBB54_421
.LBB54_419:
                                        ; implicit-def: $vgpr114
.LBB54_420:
	ds_read_b32 v114, v112
.LBB54_421:
	s_and_saveexec_b64 s[12:13], s[6:7]
	s_cbranch_execz .LBB54_425
; %bb.422:
	v_add_u32_e32 v115, -12, v0
	s_movk_i32 s26, 0x110
	s_mov_b64 s[6:7], 0
.LBB54_423:                             ; =>This Inner Loop Header: Depth=1
	v_mov_b32_e32 v116, s25
	buffer_load_dword v116, v116, s[0:3], 0 offen
	v_mov_b32_e32 v117, s26
	ds_read_b32 v117, v117
	v_add_u32_e32 v115, -1, v115
	s_add_i32 s26, s26, 4
	s_add_i32 s25, s25, 4
	v_cmp_eq_u32_e32 vcc, 0, v115
	s_or_b64 s[6:7], vcc, s[6:7]
	s_waitcnt vmcnt(0) lgkmcnt(0)
	v_fmac_f32_e32 v114, v116, v117
	s_andn2_b64 exec, exec, s[6:7]
	s_cbranch_execnz .LBB54_423
; %bb.424:
	s_or_b64 exec, exec, s[6:7]
.LBB54_425:
	s_or_b64 exec, exec, s[12:13]
	v_mov_b32_e32 v115, 0
	ds_read_b32 v115, v115 offset:44
	s_waitcnt lgkmcnt(0)
	v_mul_f32_e32 v114, v114, v115
	buffer_store_dword v114, off, s[0:3], 0 offset:44
.LBB54_426:
	s_or_b64 exec, exec, s[8:9]
	buffer_load_dword v114, off, s[0:3], 0 offset:40
	v_cmp_lt_u32_e64 s[6:7], 10, v0
	s_waitcnt vmcnt(0)
	ds_write_b32 v112, v114
	s_waitcnt lgkmcnt(0)
	; wave barrier
	s_and_saveexec_b64 s[8:9], s[6:7]
	s_cbranch_execz .LBB54_436
; %bb.427:
	s_andn2_b64 vcc, exec, s[10:11]
	s_cbranch_vccnz .LBB54_429
; %bb.428:
	buffer_load_dword v114, v113, s[0:3], 0 offen
	ds_read_b32 v115, v112
	s_waitcnt vmcnt(0) lgkmcnt(0)
	v_mul_f32_e32 v114, v114, v115
	s_cbranch_execz .LBB54_430
	s_branch .LBB54_431
.LBB54_429:
                                        ; implicit-def: $vgpr114
.LBB54_430:
	ds_read_b32 v114, v112
.LBB54_431:
	s_and_saveexec_b64 s[12:13], s[4:5]
	s_cbranch_execz .LBB54_435
; %bb.432:
	v_add_u32_e32 v115, -11, v0
	s_movk_i32 s25, 0x10c
	s_mov_b64 s[4:5], 0
.LBB54_433:                             ; =>This Inner Loop Header: Depth=1
	v_mov_b32_e32 v116, s24
	buffer_load_dword v116, v116, s[0:3], 0 offen
	v_mov_b32_e32 v117, s25
	ds_read_b32 v117, v117
	v_add_u32_e32 v115, -1, v115
	s_add_i32 s25, s25, 4
	s_add_i32 s24, s24, 4
	v_cmp_eq_u32_e32 vcc, 0, v115
	s_or_b64 s[4:5], vcc, s[4:5]
	s_waitcnt vmcnt(0) lgkmcnt(0)
	v_fmac_f32_e32 v114, v116, v117
	s_andn2_b64 exec, exec, s[4:5]
	s_cbranch_execnz .LBB54_433
; %bb.434:
	s_or_b64 exec, exec, s[4:5]
.LBB54_435:
	s_or_b64 exec, exec, s[12:13]
	v_mov_b32_e32 v115, 0
	ds_read_b32 v115, v115 offset:40
	s_waitcnt lgkmcnt(0)
	v_mul_f32_e32 v114, v114, v115
	buffer_store_dword v114, off, s[0:3], 0 offset:40
.LBB54_436:
	s_or_b64 exec, exec, s[8:9]
	buffer_load_dword v114, off, s[0:3], 0 offset:36
	v_cmp_lt_u32_e64 s[4:5], 9, v0
	s_waitcnt vmcnt(0)
	ds_write_b32 v112, v114
	s_waitcnt lgkmcnt(0)
	; wave barrier
	s_and_saveexec_b64 s[8:9], s[4:5]
	s_cbranch_execz .LBB54_446
; %bb.437:
	s_andn2_b64 vcc, exec, s[10:11]
	s_cbranch_vccnz .LBB54_439
; %bb.438:
	buffer_load_dword v114, v113, s[0:3], 0 offen
	ds_read_b32 v115, v112
	s_waitcnt vmcnt(0) lgkmcnt(0)
	v_mul_f32_e32 v114, v114, v115
	s_cbranch_execz .LBB54_440
	s_branch .LBB54_441
.LBB54_439:
                                        ; implicit-def: $vgpr114
.LBB54_440:
	ds_read_b32 v114, v112
.LBB54_441:
	s_and_saveexec_b64 s[12:13], s[6:7]
	s_cbranch_execz .LBB54_445
; %bb.442:
	v_add_u32_e32 v115, -10, v0
	s_movk_i32 s24, 0x108
	s_mov_b64 s[6:7], 0
.LBB54_443:                             ; =>This Inner Loop Header: Depth=1
	v_mov_b32_e32 v116, s23
	buffer_load_dword v116, v116, s[0:3], 0 offen
	v_mov_b32_e32 v117, s24
	ds_read_b32 v117, v117
	v_add_u32_e32 v115, -1, v115
	s_add_i32 s24, s24, 4
	s_add_i32 s23, s23, 4
	v_cmp_eq_u32_e32 vcc, 0, v115
	s_or_b64 s[6:7], vcc, s[6:7]
	s_waitcnt vmcnt(0) lgkmcnt(0)
	v_fmac_f32_e32 v114, v116, v117
	s_andn2_b64 exec, exec, s[6:7]
	s_cbranch_execnz .LBB54_443
; %bb.444:
	s_or_b64 exec, exec, s[6:7]
.LBB54_445:
	s_or_b64 exec, exec, s[12:13]
	v_mov_b32_e32 v115, 0
	ds_read_b32 v115, v115 offset:36
	s_waitcnt lgkmcnt(0)
	v_mul_f32_e32 v114, v114, v115
	buffer_store_dword v114, off, s[0:3], 0 offset:36
.LBB54_446:
	s_or_b64 exec, exec, s[8:9]
	buffer_load_dword v114, off, s[0:3], 0 offset:32
	v_cmp_lt_u32_e64 s[6:7], 8, v0
	s_waitcnt vmcnt(0)
	ds_write_b32 v112, v114
	s_waitcnt lgkmcnt(0)
	; wave barrier
	s_and_saveexec_b64 s[8:9], s[6:7]
	s_cbranch_execz .LBB54_456
; %bb.447:
	s_andn2_b64 vcc, exec, s[10:11]
	s_cbranch_vccnz .LBB54_449
; %bb.448:
	buffer_load_dword v114, v113, s[0:3], 0 offen
	ds_read_b32 v115, v112
	s_waitcnt vmcnt(0) lgkmcnt(0)
	v_mul_f32_e32 v114, v114, v115
	s_cbranch_execz .LBB54_450
	s_branch .LBB54_451
.LBB54_449:
                                        ; implicit-def: $vgpr114
.LBB54_450:
	ds_read_b32 v114, v112
.LBB54_451:
	s_and_saveexec_b64 s[12:13], s[4:5]
	s_cbranch_execz .LBB54_455
; %bb.452:
	v_add_u32_e32 v115, -9, v0
	s_movk_i32 s23, 0x104
	s_mov_b64 s[4:5], 0
.LBB54_453:                             ; =>This Inner Loop Header: Depth=1
	v_mov_b32_e32 v116, s22
	buffer_load_dword v116, v116, s[0:3], 0 offen
	v_mov_b32_e32 v117, s23
	ds_read_b32 v117, v117
	v_add_u32_e32 v115, -1, v115
	s_add_i32 s23, s23, 4
	s_add_i32 s22, s22, 4
	v_cmp_eq_u32_e32 vcc, 0, v115
	s_or_b64 s[4:5], vcc, s[4:5]
	s_waitcnt vmcnt(0) lgkmcnt(0)
	v_fmac_f32_e32 v114, v116, v117
	s_andn2_b64 exec, exec, s[4:5]
	s_cbranch_execnz .LBB54_453
; %bb.454:
	s_or_b64 exec, exec, s[4:5]
.LBB54_455:
	s_or_b64 exec, exec, s[12:13]
	v_mov_b32_e32 v115, 0
	ds_read_b32 v115, v115 offset:32
	s_waitcnt lgkmcnt(0)
	v_mul_f32_e32 v114, v114, v115
	buffer_store_dword v114, off, s[0:3], 0 offset:32
.LBB54_456:
	s_or_b64 exec, exec, s[8:9]
	buffer_load_dword v114, off, s[0:3], 0 offset:28
	v_cmp_lt_u32_e64 s[4:5], 7, v0
	s_waitcnt vmcnt(0)
	ds_write_b32 v112, v114
	s_waitcnt lgkmcnt(0)
	; wave barrier
	s_and_saveexec_b64 s[8:9], s[4:5]
	s_cbranch_execz .LBB54_466
; %bb.457:
	s_andn2_b64 vcc, exec, s[10:11]
	s_cbranch_vccnz .LBB54_459
; %bb.458:
	buffer_load_dword v114, v113, s[0:3], 0 offen
	ds_read_b32 v115, v112
	s_waitcnt vmcnt(0) lgkmcnt(0)
	v_mul_f32_e32 v114, v114, v115
	s_cbranch_execz .LBB54_460
	s_branch .LBB54_461
.LBB54_459:
                                        ; implicit-def: $vgpr114
.LBB54_460:
	ds_read_b32 v114, v112
.LBB54_461:
	s_and_saveexec_b64 s[12:13], s[6:7]
	s_cbranch_execz .LBB54_465
; %bb.462:
	v_add_u32_e32 v115, -8, v0
	s_movk_i32 s22, 0x100
	s_mov_b64 s[6:7], 0
.LBB54_463:                             ; =>This Inner Loop Header: Depth=1
	v_mov_b32_e32 v116, s21
	buffer_load_dword v116, v116, s[0:3], 0 offen
	v_mov_b32_e32 v117, s22
	ds_read_b32 v117, v117
	v_add_u32_e32 v115, -1, v115
	s_add_i32 s22, s22, 4
	s_add_i32 s21, s21, 4
	v_cmp_eq_u32_e32 vcc, 0, v115
	s_or_b64 s[6:7], vcc, s[6:7]
	s_waitcnt vmcnt(0) lgkmcnt(0)
	v_fmac_f32_e32 v114, v116, v117
	s_andn2_b64 exec, exec, s[6:7]
	s_cbranch_execnz .LBB54_463
; %bb.464:
	s_or_b64 exec, exec, s[6:7]
.LBB54_465:
	s_or_b64 exec, exec, s[12:13]
	v_mov_b32_e32 v115, 0
	ds_read_b32 v115, v115 offset:28
	s_waitcnt lgkmcnt(0)
	v_mul_f32_e32 v114, v114, v115
	buffer_store_dword v114, off, s[0:3], 0 offset:28
.LBB54_466:
	s_or_b64 exec, exec, s[8:9]
	buffer_load_dword v114, off, s[0:3], 0 offset:24
	v_cmp_lt_u32_e64 s[6:7], 6, v0
	s_waitcnt vmcnt(0)
	ds_write_b32 v112, v114
	s_waitcnt lgkmcnt(0)
	; wave barrier
	s_and_saveexec_b64 s[8:9], s[6:7]
	s_cbranch_execz .LBB54_476
; %bb.467:
	s_andn2_b64 vcc, exec, s[10:11]
	s_cbranch_vccnz .LBB54_469
; %bb.468:
	buffer_load_dword v114, v113, s[0:3], 0 offen
	ds_read_b32 v115, v112
	s_waitcnt vmcnt(0) lgkmcnt(0)
	v_mul_f32_e32 v114, v114, v115
	s_cbranch_execz .LBB54_470
	s_branch .LBB54_471
.LBB54_469:
                                        ; implicit-def: $vgpr114
.LBB54_470:
	ds_read_b32 v114, v112
.LBB54_471:
	s_and_saveexec_b64 s[12:13], s[4:5]
	s_cbranch_execz .LBB54_475
; %bb.472:
	v_add_u32_e32 v115, -7, v0
	s_movk_i32 s21, 0xfc
	s_mov_b64 s[4:5], 0
.LBB54_473:                             ; =>This Inner Loop Header: Depth=1
	v_mov_b32_e32 v116, s20
	buffer_load_dword v116, v116, s[0:3], 0 offen
	v_mov_b32_e32 v117, s21
	ds_read_b32 v117, v117
	v_add_u32_e32 v115, -1, v115
	s_add_i32 s21, s21, 4
	s_add_i32 s20, s20, 4
	v_cmp_eq_u32_e32 vcc, 0, v115
	s_or_b64 s[4:5], vcc, s[4:5]
	s_waitcnt vmcnt(0) lgkmcnt(0)
	v_fmac_f32_e32 v114, v116, v117
	s_andn2_b64 exec, exec, s[4:5]
	s_cbranch_execnz .LBB54_473
; %bb.474:
	s_or_b64 exec, exec, s[4:5]
.LBB54_475:
	s_or_b64 exec, exec, s[12:13]
	v_mov_b32_e32 v115, 0
	ds_read_b32 v115, v115 offset:24
	s_waitcnt lgkmcnt(0)
	v_mul_f32_e32 v114, v114, v115
	buffer_store_dword v114, off, s[0:3], 0 offset:24
.LBB54_476:
	s_or_b64 exec, exec, s[8:9]
	buffer_load_dword v114, off, s[0:3], 0 offset:20
	v_cmp_lt_u32_e64 s[4:5], 5, v0
	s_waitcnt vmcnt(0)
	ds_write_b32 v112, v114
	s_waitcnt lgkmcnt(0)
	; wave barrier
	s_and_saveexec_b64 s[8:9], s[4:5]
	s_cbranch_execz .LBB54_486
; %bb.477:
	s_andn2_b64 vcc, exec, s[10:11]
	s_cbranch_vccnz .LBB54_479
; %bb.478:
	buffer_load_dword v114, v113, s[0:3], 0 offen
	ds_read_b32 v115, v112
	s_waitcnt vmcnt(0) lgkmcnt(0)
	v_mul_f32_e32 v114, v114, v115
	s_cbranch_execz .LBB54_480
	s_branch .LBB54_481
.LBB54_479:
                                        ; implicit-def: $vgpr114
.LBB54_480:
	ds_read_b32 v114, v112
.LBB54_481:
	s_and_saveexec_b64 s[12:13], s[6:7]
	s_cbranch_execz .LBB54_485
; %bb.482:
	v_add_u32_e32 v115, -6, v0
	s_movk_i32 s20, 0xf8
	s_mov_b64 s[6:7], 0
.LBB54_483:                             ; =>This Inner Loop Header: Depth=1
	v_mov_b32_e32 v116, s19
	buffer_load_dword v116, v116, s[0:3], 0 offen
	v_mov_b32_e32 v117, s20
	ds_read_b32 v117, v117
	v_add_u32_e32 v115, -1, v115
	s_add_i32 s20, s20, 4
	s_add_i32 s19, s19, 4
	v_cmp_eq_u32_e32 vcc, 0, v115
	s_or_b64 s[6:7], vcc, s[6:7]
	s_waitcnt vmcnt(0) lgkmcnt(0)
	v_fmac_f32_e32 v114, v116, v117
	s_andn2_b64 exec, exec, s[6:7]
	s_cbranch_execnz .LBB54_483
; %bb.484:
	s_or_b64 exec, exec, s[6:7]
.LBB54_485:
	s_or_b64 exec, exec, s[12:13]
	v_mov_b32_e32 v115, 0
	ds_read_b32 v115, v115 offset:20
	s_waitcnt lgkmcnt(0)
	v_mul_f32_e32 v114, v114, v115
	buffer_store_dword v114, off, s[0:3], 0 offset:20
.LBB54_486:
	s_or_b64 exec, exec, s[8:9]
	buffer_load_dword v114, off, s[0:3], 0 offset:16
	v_cmp_lt_u32_e64 s[6:7], 4, v0
	s_waitcnt vmcnt(0)
	ds_write_b32 v112, v114
	s_waitcnt lgkmcnt(0)
	; wave barrier
	s_and_saveexec_b64 s[8:9], s[6:7]
	s_cbranch_execz .LBB54_496
; %bb.487:
	s_andn2_b64 vcc, exec, s[10:11]
	s_cbranch_vccnz .LBB54_489
; %bb.488:
	buffer_load_dword v114, v113, s[0:3], 0 offen
	ds_read_b32 v115, v112
	s_waitcnt vmcnt(0) lgkmcnt(0)
	v_mul_f32_e32 v114, v114, v115
	s_cbranch_execz .LBB54_490
	s_branch .LBB54_491
.LBB54_489:
                                        ; implicit-def: $vgpr114
.LBB54_490:
	ds_read_b32 v114, v112
.LBB54_491:
	s_and_saveexec_b64 s[12:13], s[4:5]
	s_cbranch_execz .LBB54_495
; %bb.492:
	v_add_u32_e32 v115, -5, v0
	s_movk_i32 s19, 0xf4
	s_mov_b64 s[4:5], 0
.LBB54_493:                             ; =>This Inner Loop Header: Depth=1
	v_mov_b32_e32 v116, s18
	buffer_load_dword v116, v116, s[0:3], 0 offen
	v_mov_b32_e32 v117, s19
	ds_read_b32 v117, v117
	v_add_u32_e32 v115, -1, v115
	s_add_i32 s19, s19, 4
	s_add_i32 s18, s18, 4
	v_cmp_eq_u32_e32 vcc, 0, v115
	s_or_b64 s[4:5], vcc, s[4:5]
	s_waitcnt vmcnt(0) lgkmcnt(0)
	v_fmac_f32_e32 v114, v116, v117
	s_andn2_b64 exec, exec, s[4:5]
	s_cbranch_execnz .LBB54_493
; %bb.494:
	s_or_b64 exec, exec, s[4:5]
.LBB54_495:
	s_or_b64 exec, exec, s[12:13]
	v_mov_b32_e32 v115, 0
	ds_read_b32 v115, v115 offset:16
	s_waitcnt lgkmcnt(0)
	v_mul_f32_e32 v114, v114, v115
	buffer_store_dword v114, off, s[0:3], 0 offset:16
.LBB54_496:
	s_or_b64 exec, exec, s[8:9]
	buffer_load_dword v114, off, s[0:3], 0 offset:12
	v_cmp_lt_u32_e64 s[4:5], 3, v0
	s_waitcnt vmcnt(0)
	ds_write_b32 v112, v114
	s_waitcnt lgkmcnt(0)
	; wave barrier
	s_and_saveexec_b64 s[8:9], s[4:5]
	s_cbranch_execz .LBB54_506
; %bb.497:
	s_andn2_b64 vcc, exec, s[10:11]
	s_cbranch_vccnz .LBB54_499
; %bb.498:
	buffer_load_dword v114, v113, s[0:3], 0 offen
	ds_read_b32 v115, v112
	s_waitcnt vmcnt(0) lgkmcnt(0)
	v_mul_f32_e32 v114, v114, v115
	s_cbranch_execz .LBB54_500
	s_branch .LBB54_501
.LBB54_499:
                                        ; implicit-def: $vgpr114
.LBB54_500:
	ds_read_b32 v114, v112
.LBB54_501:
	s_and_saveexec_b64 s[12:13], s[6:7]
	s_cbranch_execz .LBB54_505
; %bb.502:
	v_add_u32_e32 v115, -4, v0
	s_movk_i32 s18, 0xf0
	s_mov_b64 s[6:7], 0
.LBB54_503:                             ; =>This Inner Loop Header: Depth=1
	v_mov_b32_e32 v116, s17
	buffer_load_dword v116, v116, s[0:3], 0 offen
	v_mov_b32_e32 v117, s18
	ds_read_b32 v117, v117
	v_add_u32_e32 v115, -1, v115
	s_add_i32 s18, s18, 4
	s_add_i32 s17, s17, 4
	v_cmp_eq_u32_e32 vcc, 0, v115
	s_or_b64 s[6:7], vcc, s[6:7]
	s_waitcnt vmcnt(0) lgkmcnt(0)
	v_fmac_f32_e32 v114, v116, v117
	s_andn2_b64 exec, exec, s[6:7]
	s_cbranch_execnz .LBB54_503
; %bb.504:
	s_or_b64 exec, exec, s[6:7]
.LBB54_505:
	s_or_b64 exec, exec, s[12:13]
	v_mov_b32_e32 v115, 0
	ds_read_b32 v115, v115 offset:12
	s_waitcnt lgkmcnt(0)
	v_mul_f32_e32 v114, v114, v115
	buffer_store_dword v114, off, s[0:3], 0 offset:12
.LBB54_506:
	s_or_b64 exec, exec, s[8:9]
	buffer_load_dword v114, off, s[0:3], 0 offset:8
	v_cmp_lt_u32_e64 s[6:7], 2, v0
	s_waitcnt vmcnt(0)
	ds_write_b32 v112, v114
	s_waitcnt lgkmcnt(0)
	; wave barrier
	s_and_saveexec_b64 s[8:9], s[6:7]
	s_cbranch_execz .LBB54_516
; %bb.507:
	s_andn2_b64 vcc, exec, s[10:11]
	s_cbranch_vccnz .LBB54_509
; %bb.508:
	buffer_load_dword v114, v113, s[0:3], 0 offen
	ds_read_b32 v115, v112
	s_waitcnt vmcnt(0) lgkmcnt(0)
	v_mul_f32_e32 v114, v114, v115
	s_cbranch_execz .LBB54_510
	s_branch .LBB54_511
.LBB54_509:
                                        ; implicit-def: $vgpr114
.LBB54_510:
	ds_read_b32 v114, v112
.LBB54_511:
	s_and_saveexec_b64 s[12:13], s[4:5]
	s_cbranch_execz .LBB54_515
; %bb.512:
	v_add_u32_e32 v115, -3, v0
	s_movk_i32 s17, 0xec
	s_mov_b64 s[4:5], 0
.LBB54_513:                             ; =>This Inner Loop Header: Depth=1
	v_mov_b32_e32 v116, s16
	buffer_load_dword v116, v116, s[0:3], 0 offen
	v_mov_b32_e32 v117, s17
	ds_read_b32 v117, v117
	v_add_u32_e32 v115, -1, v115
	s_add_i32 s17, s17, 4
	s_add_i32 s16, s16, 4
	v_cmp_eq_u32_e32 vcc, 0, v115
	s_or_b64 s[4:5], vcc, s[4:5]
	s_waitcnt vmcnt(0) lgkmcnt(0)
	v_fmac_f32_e32 v114, v116, v117
	s_andn2_b64 exec, exec, s[4:5]
	s_cbranch_execnz .LBB54_513
; %bb.514:
	s_or_b64 exec, exec, s[4:5]
.LBB54_515:
	s_or_b64 exec, exec, s[12:13]
	v_mov_b32_e32 v115, 0
	ds_read_b32 v115, v115 offset:8
	s_waitcnt lgkmcnt(0)
	v_mul_f32_e32 v114, v114, v115
	buffer_store_dword v114, off, s[0:3], 0 offset:8
.LBB54_516:
	s_or_b64 exec, exec, s[8:9]
	buffer_load_dword v114, off, s[0:3], 0 offset:4
	v_cmp_lt_u32_e64 s[4:5], 1, v0
	s_waitcnt vmcnt(0)
	ds_write_b32 v112, v114
	s_waitcnt lgkmcnt(0)
	; wave barrier
	s_and_saveexec_b64 s[8:9], s[4:5]
	s_cbranch_execz .LBB54_526
; %bb.517:
	s_andn2_b64 vcc, exec, s[10:11]
	s_cbranch_vccnz .LBB54_519
; %bb.518:
	buffer_load_dword v114, v113, s[0:3], 0 offen
	ds_read_b32 v115, v112
	s_waitcnt vmcnt(0) lgkmcnt(0)
	v_mul_f32_e32 v114, v114, v115
	s_cbranch_execz .LBB54_520
	s_branch .LBB54_521
.LBB54_519:
                                        ; implicit-def: $vgpr114
.LBB54_520:
	ds_read_b32 v114, v112
.LBB54_521:
	s_and_saveexec_b64 s[12:13], s[6:7]
	s_cbranch_execz .LBB54_525
; %bb.522:
	v_add_u32_e32 v115, -2, v0
	s_movk_i32 s16, 0xe8
	s_mov_b64 s[6:7], 0
.LBB54_523:                             ; =>This Inner Loop Header: Depth=1
	v_mov_b32_e32 v116, s15
	buffer_load_dword v116, v116, s[0:3], 0 offen
	v_mov_b32_e32 v117, s16
	ds_read_b32 v117, v117
	v_add_u32_e32 v115, -1, v115
	s_add_i32 s16, s16, 4
	s_add_i32 s15, s15, 4
	v_cmp_eq_u32_e32 vcc, 0, v115
	s_or_b64 s[6:7], vcc, s[6:7]
	s_waitcnt vmcnt(0) lgkmcnt(0)
	v_fmac_f32_e32 v114, v116, v117
	s_andn2_b64 exec, exec, s[6:7]
	s_cbranch_execnz .LBB54_523
; %bb.524:
	s_or_b64 exec, exec, s[6:7]
.LBB54_525:
	s_or_b64 exec, exec, s[12:13]
	v_mov_b32_e32 v115, 0
	ds_read_b32 v115, v115 offset:4
	s_waitcnt lgkmcnt(0)
	v_mul_f32_e32 v114, v114, v115
	buffer_store_dword v114, off, s[0:3], 0 offset:4
.LBB54_526:
	s_or_b64 exec, exec, s[8:9]
	buffer_load_dword v114, off, s[0:3], 0
	v_cmp_ne_u32_e32 vcc, 0, v0
	s_waitcnt vmcnt(0)
	ds_write_b32 v112, v114
	s_waitcnt lgkmcnt(0)
	; wave barrier
	s_and_saveexec_b64 s[6:7], vcc
	s_cbranch_execz .LBB54_536
; %bb.527:
	s_andn2_b64 vcc, exec, s[10:11]
	s_cbranch_vccnz .LBB54_529
; %bb.528:
	buffer_load_dword v114, v113, s[0:3], 0 offen
	ds_read_b32 v115, v112
	s_waitcnt vmcnt(0) lgkmcnt(0)
	v_mul_f32_e32 v114, v114, v115
	s_cbranch_execz .LBB54_530
	s_branch .LBB54_531
.LBB54_529:
                                        ; implicit-def: $vgpr114
.LBB54_530:
	ds_read_b32 v114, v112
.LBB54_531:
	s_and_saveexec_b64 s[8:9], s[4:5]
	s_cbranch_execz .LBB54_535
; %bb.532:
	v_add_u32_e32 v115, -1, v0
	s_movk_i32 s12, 0xe4
	s_mov_b64 s[4:5], 0
.LBB54_533:                             ; =>This Inner Loop Header: Depth=1
	v_mov_b32_e32 v116, s14
	buffer_load_dword v116, v116, s[0:3], 0 offen
	v_mov_b32_e32 v117, s12
	ds_read_b32 v117, v117
	v_add_u32_e32 v115, -1, v115
	s_add_i32 s12, s12, 4
	s_add_i32 s14, s14, 4
	v_cmp_eq_u32_e32 vcc, 0, v115
	s_or_b64 s[4:5], vcc, s[4:5]
	s_waitcnt vmcnt(0) lgkmcnt(0)
	v_fmac_f32_e32 v114, v116, v117
	s_andn2_b64 exec, exec, s[4:5]
	s_cbranch_execnz .LBB54_533
; %bb.534:
	s_or_b64 exec, exec, s[4:5]
.LBB54_535:
	s_or_b64 exec, exec, s[8:9]
	v_mov_b32_e32 v115, 0
	ds_read_b32 v115, v115
	s_waitcnt lgkmcnt(0)
	v_mul_f32_e32 v114, v114, v115
	buffer_store_dword v114, off, s[0:3], 0
.LBB54_536:
	s_or_b64 exec, exec, s[6:7]
	s_mov_b64 s[4:5], 0
.LBB54_537:
	s_and_b64 vcc, exec, s[4:5]
	s_cbranch_vccz .LBB54_1069
; %bb.538:
	buffer_load_dword v114, off, s[0:3], 0 offset:4
	v_cmp_eq_u32_e64 s[6:7], 0, v0
	s_waitcnt vmcnt(0)
	ds_write_b32 v112, v114
	s_waitcnt lgkmcnt(0)
	; wave barrier
	s_and_saveexec_b64 s[4:5], s[6:7]
	s_cbranch_execz .LBB54_544
; %bb.539:
	s_and_b64 vcc, exec, s[10:11]
	s_cbranch_vccz .LBB54_541
; %bb.540:
	buffer_load_dword v114, v113, s[0:3], 0 offen
	ds_read_b32 v115, v112
	s_waitcnt vmcnt(0) lgkmcnt(0)
	v_mul_f32_e32 v114, v114, v115
	s_cbranch_execz .LBB54_542
	s_branch .LBB54_543
.LBB54_541:
                                        ; implicit-def: $vgpr114
.LBB54_542:
	ds_read_b32 v114, v112
.LBB54_543:
	v_mov_b32_e32 v115, 0
	ds_read_b32 v115, v115 offset:4
	s_waitcnt lgkmcnt(0)
	v_mul_f32_e32 v114, v114, v115
	buffer_store_dword v114, off, s[0:3], 0 offset:4
.LBB54_544:
	s_or_b64 exec, exec, s[4:5]
	buffer_load_dword v114, off, s[0:3], 0 offset:8
	v_cndmask_b32_e64 v115, 0, 1, s[10:11]
	v_cmp_gt_u32_e32 vcc, 2, v0
	v_cmp_ne_u32_e64 s[4:5], 1, v115
	s_waitcnt vmcnt(0)
	ds_write_b32 v112, v114
	s_waitcnt lgkmcnt(0)
	; wave barrier
	s_and_saveexec_b64 s[8:9], vcc
	s_cbranch_execz .LBB54_550
; %bb.545:
	s_and_b64 vcc, exec, s[4:5]
	s_cbranch_vccnz .LBB54_547
; %bb.546:
	buffer_load_dword v114, v113, s[0:3], 0 offen
	ds_read_b32 v115, v112
	s_waitcnt vmcnt(0) lgkmcnt(0)
	v_mul_f32_e32 v114, v114, v115
	s_cbranch_execz .LBB54_548
	s_branch .LBB54_549
.LBB54_547:
                                        ; implicit-def: $vgpr114
.LBB54_548:
	ds_read_b32 v114, v112
.LBB54_549:
	buffer_load_dword v117, off, s[0:3], 0 offset:4
	v_mov_b32_e32 v115, 0
	ds_read2_b32 v[115:116], v115 offset0:2 offset1:57
	s_waitcnt vmcnt(0) lgkmcnt(0)
	v_fma_f32 v116, v117, v116, v114
	v_cndmask_b32_e64 v114, v114, v116, s[6:7]
	v_mul_f32_e32 v114, v114, v115
	buffer_store_dword v114, off, s[0:3], 0 offset:8
.LBB54_550:
	s_or_b64 exec, exec, s[8:9]
	buffer_load_dword v114, off, s[0:3], 0 offset:12
	v_cmp_gt_u32_e32 vcc, 3, v0
	s_waitcnt vmcnt(0)
	ds_write_b32 v112, v114
	s_waitcnt lgkmcnt(0)
	; wave barrier
	s_and_saveexec_b64 s[8:9], vcc
	s_cbranch_execz .LBB54_558
; %bb.551:
	s_and_b64 vcc, exec, s[4:5]
	s_cbranch_vccnz .LBB54_553
; %bb.552:
	buffer_load_dword v114, v113, s[0:3], 0 offen
	ds_read_b32 v115, v112
	s_waitcnt vmcnt(0) lgkmcnt(0)
	v_mul_f32_e32 v114, v114, v115
	s_cbranch_execz .LBB54_554
	s_branch .LBB54_555
.LBB54_553:
                                        ; implicit-def: $vgpr114
.LBB54_554:
	ds_read_b32 v114, v112
.LBB54_555:
	v_cmp_ne_u32_e32 vcc, 2, v0
	s_and_saveexec_b64 s[10:11], vcc
	s_cbranch_execz .LBB54_557
; %bb.556:
	buffer_load_dword v115, v113, s[0:3], 0 offen offset:4
	buffer_load_dword v116, off, s[0:3], 0 offset:8
	v_mov_b32_e32 v117, 0
	ds_read_b32 v118, v112 offset:4
	ds_read_b32 v117, v117 offset:232
	s_waitcnt vmcnt(1) lgkmcnt(1)
	v_fmac_f32_e32 v114, v115, v118
	s_waitcnt vmcnt(0) lgkmcnt(0)
	v_fma_f32 v115, v116, v117, v114
	v_cndmask_b32_e64 v114, v114, v115, s[6:7]
.LBB54_557:
	s_or_b64 exec, exec, s[10:11]
	v_mov_b32_e32 v115, 0
	ds_read_b32 v115, v115 offset:12
	s_waitcnt lgkmcnt(0)
	v_mul_f32_e32 v114, v114, v115
	buffer_store_dword v114, off, s[0:3], 0 offset:12
.LBB54_558:
	s_or_b64 exec, exec, s[8:9]
	buffer_load_dword v114, off, s[0:3], 0 offset:16
	v_cmp_gt_u32_e32 vcc, 4, v0
	s_waitcnt vmcnt(0)
	ds_write_b32 v112, v114
	s_waitcnt lgkmcnt(0)
	; wave barrier
	s_and_saveexec_b64 s[6:7], vcc
	s_cbranch_execz .LBB54_568
; %bb.559:
	s_and_b64 vcc, exec, s[4:5]
	s_cbranch_vccnz .LBB54_561
; %bb.560:
	buffer_load_dword v114, v113, s[0:3], 0 offen
	ds_read_b32 v115, v112
	s_waitcnt vmcnt(0) lgkmcnt(0)
	v_mul_f32_e32 v114, v114, v115
	s_cbranch_execz .LBB54_562
	s_branch .LBB54_563
.LBB54_561:
                                        ; implicit-def: $vgpr114
.LBB54_562:
	ds_read_b32 v114, v112
.LBB54_563:
	v_cmp_ne_u32_e32 vcc, 3, v0
	s_and_saveexec_b64 s[8:9], vcc
	s_cbranch_execz .LBB54_567
; %bb.564:
	s_mov_b32 s10, 0
	v_add_u32_e32 v115, 0xe4, v111
	v_add3_u32 v116, v111, s10, 4
	s_mov_b64 s[10:11], 0
	v_mov_b32_e32 v117, v0
.LBB54_565:                             ; =>This Inner Loop Header: Depth=1
	buffer_load_dword v118, v116, s[0:3], 0 offen
	ds_read_b32 v119, v115
	v_add_u32_e32 v117, 1, v117
	v_cmp_lt_u32_e32 vcc, 2, v117
	v_add_u32_e32 v115, 4, v115
	v_add_u32_e32 v116, 4, v116
	s_or_b64 s[10:11], vcc, s[10:11]
	s_waitcnt vmcnt(0) lgkmcnt(0)
	v_fmac_f32_e32 v114, v118, v119
	s_andn2_b64 exec, exec, s[10:11]
	s_cbranch_execnz .LBB54_565
; %bb.566:
	s_or_b64 exec, exec, s[10:11]
.LBB54_567:
	s_or_b64 exec, exec, s[8:9]
	v_mov_b32_e32 v115, 0
	ds_read_b32 v115, v115 offset:16
	s_waitcnt lgkmcnt(0)
	v_mul_f32_e32 v114, v114, v115
	buffer_store_dword v114, off, s[0:3], 0 offset:16
.LBB54_568:
	s_or_b64 exec, exec, s[6:7]
	buffer_load_dword v114, off, s[0:3], 0 offset:20
	v_cmp_gt_u32_e32 vcc, 5, v0
	s_waitcnt vmcnt(0)
	ds_write_b32 v112, v114
	s_waitcnt lgkmcnt(0)
	; wave barrier
	s_and_saveexec_b64 s[6:7], vcc
	s_cbranch_execz .LBB54_578
; %bb.569:
	s_and_b64 vcc, exec, s[4:5]
	s_cbranch_vccnz .LBB54_571
; %bb.570:
	buffer_load_dword v114, v113, s[0:3], 0 offen
	ds_read_b32 v115, v112
	s_waitcnt vmcnt(0) lgkmcnt(0)
	v_mul_f32_e32 v114, v114, v115
	s_cbranch_execz .LBB54_572
	s_branch .LBB54_573
.LBB54_571:
                                        ; implicit-def: $vgpr114
.LBB54_572:
	ds_read_b32 v114, v112
.LBB54_573:
	v_cmp_ne_u32_e32 vcc, 4, v0
	s_and_saveexec_b64 s[8:9], vcc
	s_cbranch_execz .LBB54_577
; %bb.574:
	s_mov_b32 s10, 0
	v_add_u32_e32 v115, 0xe4, v111
	v_add3_u32 v116, v111, s10, 4
	s_mov_b64 s[10:11], 0
	v_mov_b32_e32 v117, v0
.LBB54_575:                             ; =>This Inner Loop Header: Depth=1
	buffer_load_dword v118, v116, s[0:3], 0 offen
	ds_read_b32 v119, v115
	v_add_u32_e32 v117, 1, v117
	v_cmp_lt_u32_e32 vcc, 3, v117
	v_add_u32_e32 v115, 4, v115
	v_add_u32_e32 v116, 4, v116
	s_or_b64 s[10:11], vcc, s[10:11]
	s_waitcnt vmcnt(0) lgkmcnt(0)
	v_fmac_f32_e32 v114, v118, v119
	s_andn2_b64 exec, exec, s[10:11]
	s_cbranch_execnz .LBB54_575
; %bb.576:
	s_or_b64 exec, exec, s[10:11]
.LBB54_577:
	s_or_b64 exec, exec, s[8:9]
	v_mov_b32_e32 v115, 0
	ds_read_b32 v115, v115 offset:20
	s_waitcnt lgkmcnt(0)
	v_mul_f32_e32 v114, v114, v115
	buffer_store_dword v114, off, s[0:3], 0 offset:20
.LBB54_578:
	;; [unrolled: 55-line block ×44, first 2 shown]
	s_or_b64 exec, exec, s[6:7]
	buffer_load_dword v114, off, s[0:3], 0 offset:192
	v_cmp_gt_u32_e32 vcc, 48, v0
	s_waitcnt vmcnt(0)
	ds_write_b32 v112, v114
	s_waitcnt lgkmcnt(0)
	; wave barrier
	s_and_saveexec_b64 s[6:7], vcc
	s_cbranch_execz .LBB54_1008
; %bb.999:
	s_and_b64 vcc, exec, s[4:5]
	s_cbranch_vccnz .LBB54_1001
; %bb.1000:
	buffer_load_dword v114, v113, s[0:3], 0 offen
	ds_read_b32 v115, v112
	s_waitcnt vmcnt(0) lgkmcnt(0)
	v_mul_f32_e32 v114, v114, v115
	s_cbranch_execz .LBB54_1002
	s_branch .LBB54_1003
.LBB54_1001:
                                        ; implicit-def: $vgpr114
.LBB54_1002:
	ds_read_b32 v114, v112
.LBB54_1003:
	v_cmp_ne_u32_e32 vcc, 47, v0
	s_and_saveexec_b64 s[8:9], vcc
	s_cbranch_execz .LBB54_1007
; %bb.1004:
	s_mov_b32 s10, 0
	v_add_u32_e32 v115, 0xe4, v111
	v_add3_u32 v116, v111, s10, 4
	s_mov_b64 s[10:11], 0
	v_mov_b32_e32 v117, v0
.LBB54_1005:                            ; =>This Inner Loop Header: Depth=1
	buffer_load_dword v118, v116, s[0:3], 0 offen
	ds_read_b32 v119, v115
	v_add_u32_e32 v117, 1, v117
	v_cmp_lt_u32_e32 vcc, 46, v117
	v_add_u32_e32 v115, 4, v115
	v_add_u32_e32 v116, 4, v116
	s_or_b64 s[10:11], vcc, s[10:11]
	s_waitcnt vmcnt(0) lgkmcnt(0)
	v_fmac_f32_e32 v114, v118, v119
	s_andn2_b64 exec, exec, s[10:11]
	s_cbranch_execnz .LBB54_1005
; %bb.1006:
	s_or_b64 exec, exec, s[10:11]
.LBB54_1007:
	s_or_b64 exec, exec, s[8:9]
	v_mov_b32_e32 v115, 0
	ds_read_b32 v115, v115 offset:192
	s_waitcnt lgkmcnt(0)
	v_mul_f32_e32 v114, v114, v115
	buffer_store_dword v114, off, s[0:3], 0 offset:192
.LBB54_1008:
	s_or_b64 exec, exec, s[6:7]
	buffer_load_dword v114, off, s[0:3], 0 offset:196
	v_cmp_gt_u32_e32 vcc, 49, v0
	s_waitcnt vmcnt(0)
	ds_write_b32 v112, v114
	s_waitcnt lgkmcnt(0)
	; wave barrier
	s_and_saveexec_b64 s[6:7], vcc
	s_cbranch_execz .LBB54_1018
; %bb.1009:
	s_and_b64 vcc, exec, s[4:5]
	s_cbranch_vccnz .LBB54_1011
; %bb.1010:
	buffer_load_dword v114, v113, s[0:3], 0 offen
	ds_read_b32 v115, v112
	s_waitcnt vmcnt(0) lgkmcnt(0)
	v_mul_f32_e32 v114, v114, v115
	s_cbranch_execz .LBB54_1012
	s_branch .LBB54_1013
.LBB54_1011:
                                        ; implicit-def: $vgpr114
.LBB54_1012:
	ds_read_b32 v114, v112
.LBB54_1013:
	v_cmp_ne_u32_e32 vcc, 48, v0
	s_and_saveexec_b64 s[8:9], vcc
	s_cbranch_execz .LBB54_1017
; %bb.1014:
	s_mov_b32 s10, 0
	v_add_u32_e32 v115, 0xe4, v111
	v_add3_u32 v116, v111, s10, 4
	s_mov_b64 s[10:11], 0
	v_mov_b32_e32 v117, v0
.LBB54_1015:                            ; =>This Inner Loop Header: Depth=1
	buffer_load_dword v118, v116, s[0:3], 0 offen
	ds_read_b32 v119, v115
	v_add_u32_e32 v117, 1, v117
	v_cmp_lt_u32_e32 vcc, 47, v117
	v_add_u32_e32 v115, 4, v115
	v_add_u32_e32 v116, 4, v116
	s_or_b64 s[10:11], vcc, s[10:11]
	s_waitcnt vmcnt(0) lgkmcnt(0)
	v_fmac_f32_e32 v114, v118, v119
	s_andn2_b64 exec, exec, s[10:11]
	s_cbranch_execnz .LBB54_1015
; %bb.1016:
	s_or_b64 exec, exec, s[10:11]
.LBB54_1017:
	s_or_b64 exec, exec, s[8:9]
	v_mov_b32_e32 v115, 0
	ds_read_b32 v115, v115 offset:196
	s_waitcnt lgkmcnt(0)
	v_mul_f32_e32 v114, v114, v115
	buffer_store_dword v114, off, s[0:3], 0 offset:196
.LBB54_1018:
	;; [unrolled: 55-line block ×5, first 2 shown]
	s_or_b64 exec, exec, s[6:7]
	buffer_load_dword v114, off, s[0:3], 0 offset:212
	v_cmp_gt_u32_e64 s[6:7], 53, v0
	s_waitcnt vmcnt(0)
	ds_write_b32 v112, v114
	s_waitcnt lgkmcnt(0)
	; wave barrier
	s_and_saveexec_b64 s[8:9], s[6:7]
	s_cbranch_execz .LBB54_1058
; %bb.1049:
	s_and_b64 vcc, exec, s[4:5]
	s_cbranch_vccnz .LBB54_1051
; %bb.1050:
	buffer_load_dword v114, v113, s[0:3], 0 offen
	ds_read_b32 v115, v112
	s_waitcnt vmcnt(0) lgkmcnt(0)
	v_mul_f32_e32 v114, v114, v115
	s_cbranch_execz .LBB54_1052
	s_branch .LBB54_1053
.LBB54_1051:
                                        ; implicit-def: $vgpr114
.LBB54_1052:
	ds_read_b32 v114, v112
.LBB54_1053:
	v_cmp_ne_u32_e32 vcc, 52, v0
	s_and_saveexec_b64 s[10:11], vcc
	s_cbranch_execz .LBB54_1057
; %bb.1054:
	s_mov_b32 s12, 0
	v_add_u32_e32 v115, 0xe4, v111
	v_add3_u32 v116, v111, s12, 4
	s_mov_b64 s[12:13], 0
	v_mov_b32_e32 v117, v0
.LBB54_1055:                            ; =>This Inner Loop Header: Depth=1
	buffer_load_dword v118, v116, s[0:3], 0 offen
	ds_read_b32 v119, v115
	v_add_u32_e32 v117, 1, v117
	v_cmp_lt_u32_e32 vcc, 51, v117
	v_add_u32_e32 v115, 4, v115
	v_add_u32_e32 v116, 4, v116
	s_or_b64 s[12:13], vcc, s[12:13]
	s_waitcnt vmcnt(0) lgkmcnt(0)
	v_fmac_f32_e32 v114, v118, v119
	s_andn2_b64 exec, exec, s[12:13]
	s_cbranch_execnz .LBB54_1055
; %bb.1056:
	s_or_b64 exec, exec, s[12:13]
.LBB54_1057:
	s_or_b64 exec, exec, s[10:11]
	v_mov_b32_e32 v115, 0
	ds_read_b32 v115, v115 offset:212
	s_waitcnt lgkmcnt(0)
	v_mul_f32_e32 v114, v114, v115
	buffer_store_dword v114, off, s[0:3], 0 offset:212
.LBB54_1058:
	s_or_b64 exec, exec, s[8:9]
	buffer_load_dword v114, off, s[0:3], 0 offset:216
	v_cmp_ne_u32_e32 vcc, 54, v0
	s_waitcnt vmcnt(0)
	ds_write_b32 v112, v114
	s_waitcnt lgkmcnt(0)
	; wave barrier
	s_and_saveexec_b64 s[8:9], vcc
	s_cbranch_execz .LBB54_1068
; %bb.1059:
	s_and_b64 vcc, exec, s[4:5]
	s_cbranch_vccnz .LBB54_1061
; %bb.1060:
	buffer_load_dword v113, v113, s[0:3], 0 offen
	ds_read_b32 v114, v112
	s_waitcnt vmcnt(0) lgkmcnt(0)
	v_mul_f32_e32 v113, v113, v114
	s_cbranch_execz .LBB54_1062
	s_branch .LBB54_1063
.LBB54_1061:
                                        ; implicit-def: $vgpr113
.LBB54_1062:
	ds_read_b32 v113, v112
.LBB54_1063:
	s_and_saveexec_b64 s[4:5], s[6:7]
	s_cbranch_execz .LBB54_1067
; %bb.1064:
	s_mov_b32 s6, 0
	v_add_u32_e32 v112, 0xe4, v111
	v_add3_u32 v111, v111, s6, 4
	s_mov_b64 s[6:7], 0
.LBB54_1065:                            ; =>This Inner Loop Header: Depth=1
	buffer_load_dword v114, v111, s[0:3], 0 offen
	ds_read_b32 v115, v112
	v_add_u32_e32 v0, 1, v0
	v_cmp_lt_u32_e32 vcc, 52, v0
	v_add_u32_e32 v112, 4, v112
	v_add_u32_e32 v111, 4, v111
	s_or_b64 s[6:7], vcc, s[6:7]
	s_waitcnt vmcnt(0) lgkmcnt(0)
	v_fmac_f32_e32 v113, v114, v115
	s_andn2_b64 exec, exec, s[6:7]
	s_cbranch_execnz .LBB54_1065
; %bb.1066:
	s_or_b64 exec, exec, s[6:7]
.LBB54_1067:
	s_or_b64 exec, exec, s[4:5]
	v_mov_b32_e32 v0, 0
	ds_read_b32 v0, v0 offset:216
	s_waitcnt lgkmcnt(0)
	v_mul_f32_e32 v0, v113, v0
	buffer_store_dword v0, off, s[0:3], 0 offset:216
.LBB54_1068:
	s_or_b64 exec, exec, s[8:9]
.LBB54_1069:
	buffer_load_dword v0, off, s[0:3], 0
	buffer_load_dword v111, off, s[0:3], 0 offset:4
	buffer_load_dword v112, off, s[0:3], 0 offset:8
	;; [unrolled: 1-line block ×13, first 2 shown]
	s_waitcnt vmcnt(13)
	global_store_dword v[107:108], v0, off
	buffer_load_dword v0, off, s[0:3], 0 offset:56
	s_nop 0
	buffer_load_dword v107, off, s[0:3], 0 offset:60
	s_waitcnt vmcnt(15)
	global_store_dword v[109:110], v111, off
	s_waitcnt vmcnt(15)
	global_store_dword v[1:2], v112, off
	s_waitcnt vmcnt(15)
	global_store_dword v[5:6], v113, off
	buffer_load_dword v1, off, s[0:3], 0 offset:64
	buffer_load_dword v2, off, s[0:3], 0 offset:68
	s_nop 0
	buffer_load_dword v5, off, s[0:3], 0 offset:72
	buffer_load_dword v6, off, s[0:3], 0 offset:76
	;; [unrolled: 1-line block ×6, first 2 shown]
	s_waitcnt vmcnt(23)
	global_store_dword v[3:4], v114, off
	s_waitcnt vmcnt(23)
	global_store_dword v[9:10], v115, off
	buffer_load_dword v3, off, s[0:3], 0 offset:96
	buffer_load_dword v4, off, s[0:3], 0 offset:100
	s_nop 0
	buffer_load_dword v9, off, s[0:3], 0 offset:104
	buffer_load_dword v10, off, s[0:3], 0 offset:108
	;; [unrolled: 1-line block ×6, first 2 shown]
	s_waitcnt vmcnt(31)
	global_store_dword v[7:8], v116, off
	s_waitcnt vmcnt(31)
	global_store_dword v[11:12], v117, off
	;; [unrolled: 2-line block ×3, first 2 shown]
	buffer_load_dword v7, off, s[0:3], 0 offset:128
	buffer_load_dword v8, off, s[0:3], 0 offset:132
	;; [unrolled: 1-line block ×4, first 2 shown]
	s_nop 0
	buffer_load_dword v15, off, s[0:3], 0 offset:144
	buffer_load_dword v16, off, s[0:3], 0 offset:148
	buffer_load_dword v116, off, s[0:3], 0 offset:152
	buffer_load_dword v117, off, s[0:3], 0 offset:156
	s_waitcnt vmcnt(39)
	global_store_dword v[13:14], v119, off
	s_waitcnt vmcnt(39)
	global_store_dword v[17:18], v120, off
	;; [unrolled: 2-line block ×3, first 2 shown]
	buffer_load_dword v13, off, s[0:3], 0 offset:160
	buffer_load_dword v14, off, s[0:3], 0 offset:164
	;; [unrolled: 1-line block ×4, first 2 shown]
	s_nop 0
	buffer_load_dword v21, off, s[0:3], 0 offset:176
	buffer_load_dword v22, off, s[0:3], 0 offset:180
	;; [unrolled: 1-line block ×4, first 2 shown]
	s_waitcnt vmcnt(47)
	global_store_dword v[19:20], v122, off
	s_waitcnt vmcnt(47)
	global_store_dword v[25:26], v123, off
	buffer_load_dword v19, off, s[0:3], 0 offset:192
	buffer_load_dword v20, off, s[0:3], 0 offset:196
	s_nop 0
	buffer_load_dword v25, off, s[0:3], 0 offset:200
	buffer_load_dword v26, off, s[0:3], 0 offset:204
	;; [unrolled: 1-line block ×5, first 2 shown]
	s_waitcnt vmcnt(53)
	global_store_dword v[23:24], v0, off
	s_waitcnt vmcnt(53)
	global_store_dword v[27:28], v107, off
	;; [unrolled: 2-line block ×41, first 2 shown]
.LBB54_1070:
	s_endpgm
	.section	.rodata,"a",@progbits
	.p2align	6, 0x0
	.amdhsa_kernel _ZN9rocsolver6v33100L18trti2_kernel_smallILi55EfPfEEv13rocblas_fill_17rocblas_diagonal_T1_iil
		.amdhsa_group_segment_fixed_size 444
		.amdhsa_private_segment_fixed_size 224
		.amdhsa_kernarg_size 32
		.amdhsa_user_sgpr_count 6
		.amdhsa_user_sgpr_private_segment_buffer 1
		.amdhsa_user_sgpr_dispatch_ptr 0
		.amdhsa_user_sgpr_queue_ptr 0
		.amdhsa_user_sgpr_kernarg_segment_ptr 1
		.amdhsa_user_sgpr_dispatch_id 0
		.amdhsa_user_sgpr_flat_scratch_init 0
		.amdhsa_user_sgpr_private_segment_size 0
		.amdhsa_uses_dynamic_stack 0
		.amdhsa_system_sgpr_private_segment_wavefront_offset 1
		.amdhsa_system_sgpr_workgroup_id_x 1
		.amdhsa_system_sgpr_workgroup_id_y 0
		.amdhsa_system_sgpr_workgroup_id_z 0
		.amdhsa_system_sgpr_workgroup_info 0
		.amdhsa_system_vgpr_workitem_id 0
		.amdhsa_next_free_vgpr 124
		.amdhsa_next_free_sgpr 68
		.amdhsa_reserve_vcc 1
		.amdhsa_reserve_flat_scratch 0
		.amdhsa_float_round_mode_32 0
		.amdhsa_float_round_mode_16_64 0
		.amdhsa_float_denorm_mode_32 3
		.amdhsa_float_denorm_mode_16_64 3
		.amdhsa_dx10_clamp 1
		.amdhsa_ieee_mode 1
		.amdhsa_fp16_overflow 0
		.amdhsa_exception_fp_ieee_invalid_op 0
		.amdhsa_exception_fp_denorm_src 0
		.amdhsa_exception_fp_ieee_div_zero 0
		.amdhsa_exception_fp_ieee_overflow 0
		.amdhsa_exception_fp_ieee_underflow 0
		.amdhsa_exception_fp_ieee_inexact 0
		.amdhsa_exception_int_div_zero 0
	.end_amdhsa_kernel
	.section	.text._ZN9rocsolver6v33100L18trti2_kernel_smallILi55EfPfEEv13rocblas_fill_17rocblas_diagonal_T1_iil,"axG",@progbits,_ZN9rocsolver6v33100L18trti2_kernel_smallILi55EfPfEEv13rocblas_fill_17rocblas_diagonal_T1_iil,comdat
.Lfunc_end54:
	.size	_ZN9rocsolver6v33100L18trti2_kernel_smallILi55EfPfEEv13rocblas_fill_17rocblas_diagonal_T1_iil, .Lfunc_end54-_ZN9rocsolver6v33100L18trti2_kernel_smallILi55EfPfEEv13rocblas_fill_17rocblas_diagonal_T1_iil
                                        ; -- End function
	.set _ZN9rocsolver6v33100L18trti2_kernel_smallILi55EfPfEEv13rocblas_fill_17rocblas_diagonal_T1_iil.num_vgpr, 124
	.set _ZN9rocsolver6v33100L18trti2_kernel_smallILi55EfPfEEv13rocblas_fill_17rocblas_diagonal_T1_iil.num_agpr, 0
	.set _ZN9rocsolver6v33100L18trti2_kernel_smallILi55EfPfEEv13rocblas_fill_17rocblas_diagonal_T1_iil.numbered_sgpr, 68
	.set _ZN9rocsolver6v33100L18trti2_kernel_smallILi55EfPfEEv13rocblas_fill_17rocblas_diagonal_T1_iil.num_named_barrier, 0
	.set _ZN9rocsolver6v33100L18trti2_kernel_smallILi55EfPfEEv13rocblas_fill_17rocblas_diagonal_T1_iil.private_seg_size, 224
	.set _ZN9rocsolver6v33100L18trti2_kernel_smallILi55EfPfEEv13rocblas_fill_17rocblas_diagonal_T1_iil.uses_vcc, 1
	.set _ZN9rocsolver6v33100L18trti2_kernel_smallILi55EfPfEEv13rocblas_fill_17rocblas_diagonal_T1_iil.uses_flat_scratch, 0
	.set _ZN9rocsolver6v33100L18trti2_kernel_smallILi55EfPfEEv13rocblas_fill_17rocblas_diagonal_T1_iil.has_dyn_sized_stack, 0
	.set _ZN9rocsolver6v33100L18trti2_kernel_smallILi55EfPfEEv13rocblas_fill_17rocblas_diagonal_T1_iil.has_recursion, 0
	.set _ZN9rocsolver6v33100L18trti2_kernel_smallILi55EfPfEEv13rocblas_fill_17rocblas_diagonal_T1_iil.has_indirect_call, 0
	.section	.AMDGPU.csdata,"",@progbits
; Kernel info:
; codeLenInByte = 26816
; TotalNumSgprs: 72
; NumVgprs: 124
; ScratchSize: 224
; MemoryBound: 0
; FloatMode: 240
; IeeeMode: 1
; LDSByteSize: 444 bytes/workgroup (compile time only)
; SGPRBlocks: 8
; VGPRBlocks: 30
; NumSGPRsForWavesPerEU: 72
; NumVGPRsForWavesPerEU: 124
; Occupancy: 2
; WaveLimiterHint : 0
; COMPUTE_PGM_RSRC2:SCRATCH_EN: 1
; COMPUTE_PGM_RSRC2:USER_SGPR: 6
; COMPUTE_PGM_RSRC2:TRAP_HANDLER: 0
; COMPUTE_PGM_RSRC2:TGID_X_EN: 1
; COMPUTE_PGM_RSRC2:TGID_Y_EN: 0
; COMPUTE_PGM_RSRC2:TGID_Z_EN: 0
; COMPUTE_PGM_RSRC2:TIDIG_COMP_CNT: 0
	.section	.text._ZN9rocsolver6v33100L18trti2_kernel_smallILi56EfPfEEv13rocblas_fill_17rocblas_diagonal_T1_iil,"axG",@progbits,_ZN9rocsolver6v33100L18trti2_kernel_smallILi56EfPfEEv13rocblas_fill_17rocblas_diagonal_T1_iil,comdat
	.globl	_ZN9rocsolver6v33100L18trti2_kernel_smallILi56EfPfEEv13rocblas_fill_17rocblas_diagonal_T1_iil ; -- Begin function _ZN9rocsolver6v33100L18trti2_kernel_smallILi56EfPfEEv13rocblas_fill_17rocblas_diagonal_T1_iil
	.p2align	8
	.type	_ZN9rocsolver6v33100L18trti2_kernel_smallILi56EfPfEEv13rocblas_fill_17rocblas_diagonal_T1_iil,@function
_ZN9rocsolver6v33100L18trti2_kernel_smallILi56EfPfEEv13rocblas_fill_17rocblas_diagonal_T1_iil: ; @_ZN9rocsolver6v33100L18trti2_kernel_smallILi56EfPfEEv13rocblas_fill_17rocblas_diagonal_T1_iil
; %bb.0:
	s_add_u32 s0, s0, s7
	s_addc_u32 s1, s1, 0
	v_cmp_gt_u32_e32 vcc, 56, v0
	s_and_saveexec_b64 s[8:9], vcc
	s_cbranch_execz .LBB55_1090
; %bb.1:
	s_load_dwordx8 s[8:15], s[4:5], 0x0
	s_ashr_i32 s7, s6, 31
	v_lshlrev_b32_e32 v113, 2, v0
	s_waitcnt lgkmcnt(0)
	s_ashr_i32 s5, s12, 31
	s_mov_b32 s4, s12
	s_mul_hi_u32 s12, s14, s6
	s_mul_i32 s7, s14, s7
	s_add_i32 s7, s12, s7
	s_mul_i32 s12, s15, s6
	s_add_i32 s7, s7, s12
	s_mul_i32 s6, s14, s6
	s_lshl_b64 s[6:7], s[6:7], 2
	s_add_u32 s6, s10, s6
	s_addc_u32 s7, s11, s7
	s_lshl_b64 s[4:5], s[4:5], 2
	s_add_u32 s4, s6, s4
	s_addc_u32 s5, s7, s5
	s_add_i32 s6, s13, s13
	v_add_u32_e32 v3, s6, v0
	v_ashrrev_i32_e32 v4, 31, v3
	v_lshlrev_b64 v[1:2], 2, v[3:4]
	v_mov_b32_e32 v4, s5
	v_add_co_u32_e32 v1, vcc, s4, v1
	v_add_u32_e32 v3, s13, v3
	v_addc_co_u32_e32 v2, vcc, v4, v2, vcc
	v_ashrrev_i32_e32 v4, 31, v3
	v_lshlrev_b64 v[5:6], 2, v[3:4]
	v_add_u32_e32 v7, s13, v3
	v_mov_b32_e32 v4, s5
	v_add_co_u32_e32 v5, vcc, s4, v5
	v_ashrrev_i32_e32 v8, 31, v7
	v_addc_co_u32_e32 v6, vcc, v4, v6, vcc
	v_lshlrev_b64 v[3:4], 2, v[7:8]
	v_add_u32_e32 v9, s13, v7
	v_mov_b32_e32 v8, s5
	v_add_co_u32_e32 v3, vcc, s4, v3
	v_ashrrev_i32_e32 v10, 31, v9
	v_addc_co_u32_e32 v4, vcc, v8, v4, vcc
	v_lshlrev_b64 v[7:8], 2, v[9:10]
	v_mov_b32_e32 v10, s5
	v_add_co_u32_e32 v7, vcc, s4, v7
	v_add_u32_e32 v9, s13, v9
	v_addc_co_u32_e32 v8, vcc, v10, v8, vcc
	v_ashrrev_i32_e32 v10, 31, v9
	v_lshlrev_b64 v[11:12], 2, v[9:10]
	v_add_u32_e32 v13, s13, v9
	v_mov_b32_e32 v10, s5
	v_add_co_u32_e32 v11, vcc, s4, v11
	v_ashrrev_i32_e32 v14, 31, v13
	v_addc_co_u32_e32 v12, vcc, v10, v12, vcc
	v_lshlrev_b64 v[9:10], 2, v[13:14]
	v_add_u32_e32 v15, s13, v13
	v_mov_b32_e32 v14, s5
	v_add_co_u32_e32 v9, vcc, s4, v9
	v_ashrrev_i32_e32 v16, 31, v15
	v_addc_co_u32_e32 v10, vcc, v14, v10, vcc
	;; [unrolled: 18-line block ×3, first 2 shown]
	v_lshlrev_b64 v[21:22], 2, v[19:20]
	v_mov_b32_e32 v23, s5
	v_add_co_u32_e32 v21, vcc, s4, v21
	v_addc_co_u32_e32 v22, vcc, v23, v22, vcc
	v_add_u32_e32 v23, s13, v19
	v_ashrrev_i32_e32 v24, 31, v23
	v_lshlrev_b64 v[19:20], 2, v[23:24]
	v_mov_b32_e32 v25, s5
	v_add_co_u32_e32 v19, vcc, s4, v19
	v_addc_co_u32_e32 v20, vcc, v25, v20, vcc
	v_add_u32_e32 v25, s13, v23
	v_ashrrev_i32_e32 v26, 31, v25
	v_lshlrev_b64 v[23:24], 2, v[25:26]
	v_add_u32_e32 v25, s13, v25
	v_mov_b32_e32 v27, s5
	v_add_co_u32_e32 v23, vcc, s4, v23
	v_ashrrev_i32_e32 v26, 31, v25
	v_addc_co_u32_e32 v24, vcc, v27, v24, vcc
	v_lshlrev_b64 v[27:28], 2, v[25:26]
	v_mov_b32_e32 v29, s5
	v_add_co_u32_e32 v27, vcc, s4, v27
	v_addc_co_u32_e32 v28, vcc, v29, v28, vcc
	v_add_u32_e32 v29, s13, v25
	v_ashrrev_i32_e32 v30, 31, v29
	v_lshlrev_b64 v[25:26], 2, v[29:30]
	v_mov_b32_e32 v31, s5
	v_add_co_u32_e32 v25, vcc, s4, v25
	v_addc_co_u32_e32 v26, vcc, v31, v26, vcc
	v_add_u32_e32 v31, s13, v29
	v_ashrrev_i32_e32 v32, 31, v31
	;; [unrolled: 6-line block ×26, first 2 shown]
	v_lshlrev_b64 v[77:78], 2, v[79:80]
	global_load_dword v114, v113, s[4:5]
	v_mov_b32_e32 v81, s5
	v_add_co_u32_e32 v77, vcc, s4, v77
	v_addc_co_u32_e32 v78, vcc, v81, v78, vcc
	v_add_u32_e32 v81, s13, v79
	v_ashrrev_i32_e32 v82, 31, v81
	v_lshlrev_b64 v[79:80], 2, v[81:82]
	v_mov_b32_e32 v83, s5
	v_add_co_u32_e32 v79, vcc, s4, v79
	v_addc_co_u32_e32 v80, vcc, v83, v80, vcc
	v_add_u32_e32 v83, s13, v81
	v_ashrrev_i32_e32 v84, 31, v83
	v_lshlrev_b64 v[81:82], 2, v[83:84]
	;; [unrolled: 6-line block ×14, first 2 shown]
	v_mov_b32_e32 v109, s5
	v_add_co_u32_e32 v105, vcc, s4, v105
	v_addc_co_u32_e32 v106, vcc, v109, v106, vcc
	v_mov_b32_e32 v108, s5
	v_add_co_u32_e32 v109, vcc, s4, v113
	s_ashr_i32 s7, s13, 31
	s_mov_b32 s6, s13
	v_addc_co_u32_e32 v110, vcc, 0, v108, vcc
	s_lshl_b64 s[6:7], s[6:7], 2
	v_mov_b32_e32 v108, s7
	v_add_co_u32_e32 v111, vcc, s6, v109
	v_add_u32_e32 v107, s13, v107
	v_addc_co_u32_e32 v112, vcc, v110, v108, vcc
	v_ashrrev_i32_e32 v108, 31, v107
	v_lshlrev_b64 v[107:108], 2, v[107:108]
	global_load_dword v115, v[111:112], off
	global_load_dword v116, v[1:2], off
	;; [unrolled: 1-line block ×5, first 2 shown]
	v_mov_b32_e32 v120, s5
	v_add_co_u32_e32 v107, vcc, s4, v107
	v_addc_co_u32_e32 v108, vcc, v120, v108, vcc
	global_load_dword v120, v[11:12], off
	global_load_dword v121, v[9:10], off
	;; [unrolled: 1-line block ×4, first 2 shown]
	s_cmpk_lg_i32 s9, 0x84
	s_waitcnt vmcnt(9)
	buffer_store_dword v114, off, s[0:3], 0
	global_load_dword v114, v[17:18], off
	s_waitcnt vmcnt(10)
	buffer_store_dword v115, off, s[0:3], 0 offset:4
	s_waitcnt vmcnt(10)
	buffer_store_dword v116, off, s[0:3], 0 offset:8
	;; [unrolled: 2-line block ×5, first 2 shown]
	global_load_dword v115, v[15:16], off
	global_load_dword v116, v[21:22], off
	;; [unrolled: 1-line block ×4, first 2 shown]
	s_nop 0
	global_load_dword v119, v[27:28], off
	s_waitcnt vmcnt(15)
	buffer_store_dword v120, off, s[0:3], 0 offset:24
	s_waitcnt vmcnt(15)
	buffer_store_dword v121, off, s[0:3], 0 offset:28
	;; [unrolled: 2-line block ×3, first 2 shown]
	global_load_dword v120, v[25:26], off
	global_load_dword v121, v[29:30], off
	s_movk_i32 s12, 0x84
	s_cselect_b64 s[10:11], -1, 0
	s_waitcnt vmcnt(15)
	buffer_store_dword v114, off, s[0:3], 0 offset:36
	global_load_dword v114, v[31:32], off
	s_nop 0
	global_load_dword v122, v[33:34], off
	s_waitcnt vmcnt(12)
	buffer_store_dword v115, off, s[0:3], 0 offset:40
	s_waitcnt vmcnt(12)
	buffer_store_dword v116, off, s[0:3], 0 offset:44
	s_waitcnt vmcnt(12)
	buffer_store_dword v117, off, s[0:3], 0 offset:48
	s_waitcnt vmcnt(12)
	buffer_store_dword v118, off, s[0:3], 0 offset:52
	s_waitcnt vmcnt(12)
	buffer_store_dword v119, off, s[0:3], 0 offset:56
	global_load_dword v115, v[35:36], off
	global_load_dword v116, v[37:38], off
	global_load_dword v117, v[39:40], off
	global_load_dword v118, v[41:42], off
	s_nop 0
	global_load_dword v119, v[43:44], off
	s_waitcnt vmcnt(14)
	buffer_store_dword v120, off, s[0:3], 0 offset:60
	s_waitcnt vmcnt(14)
	buffer_store_dword v121, off, s[0:3], 0 offset:64
	global_load_dword v120, v[45:46], off
	s_waitcnt vmcnt(14)
	buffer_store_dword v114, off, s[0:3], 0 offset:68
	s_waitcnt vmcnt(14)
	buffer_store_dword v122, off, s[0:3], 0 offset:72
	global_load_dword v114, v[47:48], off
	global_load_dword v121, v[49:50], off
	s_nop 0
	global_load_dword v122, v[51:52], off
	s_waitcnt vmcnt(12)
	buffer_store_dword v115, off, s[0:3], 0 offset:76
	s_waitcnt vmcnt(12)
	buffer_store_dword v116, off, s[0:3], 0 offset:80
	;; [unrolled: 2-line block ×5, first 2 shown]
	global_load_dword v115, v[53:54], off
	global_load_dword v116, v[55:56], off
	;; [unrolled: 1-line block ×4, first 2 shown]
	s_nop 0
	global_load_dword v119, v[61:62], off
	s_waitcnt vmcnt(15)
	buffer_store_dword v120, off, s[0:3], 0 offset:96
	s_waitcnt vmcnt(13)
	buffer_store_dword v114, off, s[0:3], 0 offset:100
	;; [unrolled: 2-line block ×4, first 2 shown]
	global_load_dword v114, v[63:64], off
	global_load_dword v120, v[65:66], off
	;; [unrolled: 1-line block ×3, first 2 shown]
	s_nop 0
	global_load_dword v122, v[69:70], off
	s_waitcnt vmcnt(12)
	buffer_store_dword v115, off, s[0:3], 0 offset:112
	s_waitcnt vmcnt(12)
	buffer_store_dword v116, off, s[0:3], 0 offset:116
	;; [unrolled: 2-line block ×5, first 2 shown]
	global_load_dword v115, v[71:72], off
	global_load_dword v116, v[73:74], off
	global_load_dword v117, v[75:76], off
	global_load_dword v118, v[77:78], off
	s_waitcnt vmcnt(12)
	buffer_store_dword v114, off, s[0:3], 0 offset:132
	s_waitcnt vmcnt(12)
	buffer_store_dword v120, off, s[0:3], 0 offset:136
	;; [unrolled: 2-line block ×4, first 2 shown]
	global_load_dword v114, v[79:80], off
	global_load_dword v119, v[81:82], off
	;; [unrolled: 1-line block ×4, first 2 shown]
	s_nop 0
	global_load_dword v122, v[87:88], off
	s_waitcnt vmcnt(12)
	buffer_store_dword v115, off, s[0:3], 0 offset:148
	s_waitcnt vmcnt(12)
	buffer_store_dword v116, off, s[0:3], 0 offset:152
	;; [unrolled: 2-line block ×4, first 2 shown]
	global_load_dword v115, v[89:90], off
	global_load_dword v116, v[91:92], off
	global_load_dword v117, v[93:94], off
	s_waitcnt vmcnt(11)
	buffer_store_dword v114, off, s[0:3], 0 offset:164
	s_waitcnt vmcnt(11)
	buffer_store_dword v119, off, s[0:3], 0 offset:168
	;; [unrolled: 2-line block ×5, first 2 shown]
	global_load_dword v114, v[95:96], off
	global_load_dword v118, v[97:98], off
	;; [unrolled: 1-line block ×6, first 2 shown]
	s_waitcnt vmcnt(13)
	buffer_store_dword v115, off, s[0:3], 0 offset:184
	s_waitcnt vmcnt(13)
	buffer_store_dword v116, off, s[0:3], 0 offset:188
	;; [unrolled: 2-line block ×9, first 2 shown]
	buffer_store_dword v123, off, s[0:3], 0 offset:220
	s_cmpk_eq_i32 s9, 0x84
	v_mov_b32_e32 v114, -1.0
	s_cbranch_scc1 .LBB55_3
; %bb.2:
	v_mov_b32_e32 v114, 0
	v_lshl_add_u32 v114, v0, 2, v114
	buffer_load_dword v115, v114, s[0:3], 0 offen
	s_waitcnt vmcnt(0)
	v_div_scale_f32 v116, s[4:5], v115, v115, 1.0
	v_div_scale_f32 v117, vcc, 1.0, v115, 1.0
	v_rcp_f32_e32 v118, v116
	v_fma_f32 v119, -v116, v118, 1.0
	v_fmac_f32_e32 v118, v119, v118
	v_mul_f32_e32 v119, v117, v118
	v_fma_f32 v120, -v116, v119, v117
	v_fmac_f32_e32 v119, v120, v118
	v_fma_f32 v116, -v116, v119, v117
	v_div_fmas_f32 v116, v116, v118, v119
	v_div_fixup_f32 v115, v116, v115, 1.0
	buffer_store_dword v115, v114, s[0:3], 0 offen
	v_xor_b32_e32 v114, 0x80000000, v115
.LBB55_3:
	ds_write_b32 v113, v114
	s_cmpk_eq_i32 s8, 0x79
	v_add_u32_e32 v114, 0xe0, v113
	v_mov_b32_e32 v115, v113
	s_mov_b64 s[4:5], -1
	s_cbranch_scc1 .LBB55_547
; %bb.4:
	buffer_load_dword v116, off, s[0:3], 0 offset:216
	s_movk_i32 s30, 0x44
	s_movk_i32 s31, 0x48
	;; [unrolled: 1-line block ×36, first 2 shown]
	v_cmp_eq_u32_e64 s[4:5], 55, v0
	s_waitcnt vmcnt(0)
	ds_write_b32 v114, v116
	s_waitcnt lgkmcnt(0)
	; wave barrier
	s_and_saveexec_b64 s[6:7], s[4:5]
	s_cbranch_execz .LBB55_10
; %bb.5:
	s_and_b64 vcc, exec, s[10:11]
	s_cbranch_vccz .LBB55_7
; %bb.6:
	buffer_load_dword v116, v115, s[0:3], 0 offen
	ds_read_b32 v117, v114
	s_waitcnt vmcnt(0) lgkmcnt(0)
	v_mul_f32_e32 v116, v116, v117
	s_cbranch_execz .LBB55_8
	s_branch .LBB55_9
.LBB55_7:
                                        ; implicit-def: $vgpr116
.LBB55_8:
	ds_read_b32 v116, v114
.LBB55_9:
	v_mov_b32_e32 v117, 0
	ds_read_b32 v117, v117 offset:216
	s_waitcnt lgkmcnt(0)
	v_mul_f32_e32 v116, v116, v117
	buffer_store_dword v116, off, s[0:3], 0 offset:216
.LBB55_10:
	s_or_b64 exec, exec, s[6:7]
	buffer_load_dword v116, off, s[0:3], 0 offset:212
	s_or_b32 s14, 0, 4
	s_or_b32 s15, 0, 8
	;; [unrolled: 1-line block ×3, first 2 shown]
	s_mov_b32 s17, 16
	s_mov_b32 s18, 20
	;; [unrolled: 1-line block ×15, first 2 shown]
	v_cmp_lt_u32_e64 s[6:7], 53, v0
	s_waitcnt vmcnt(0)
	ds_write_b32 v114, v116
	s_waitcnt lgkmcnt(0)
	; wave barrier
	s_and_saveexec_b64 s[8:9], s[6:7]
	s_cbranch_execz .LBB55_16
; %bb.11:
	s_andn2_b64 vcc, exec, s[10:11]
	s_cbranch_vccnz .LBB55_13
; %bb.12:
	buffer_load_dword v116, v115, s[0:3], 0 offen
	ds_read_b32 v117, v114
	s_waitcnt vmcnt(0) lgkmcnt(0)
	v_mul_f32_e32 v116, v116, v117
	s_cbranch_execz .LBB55_14
	s_branch .LBB55_15
.LBB55_13:
                                        ; implicit-def: $vgpr116
.LBB55_14:
	ds_read_b32 v116, v114
.LBB55_15:
	buffer_load_dword v119, off, s[0:3], 0 offset:216
	v_mov_b32_e32 v117, 0
	ds_read2_b32 v[117:118], v117 offset0:53 offset1:110
	s_waitcnt vmcnt(0) lgkmcnt(0)
	v_fma_f32 v118, v119, v118, v116
	v_cndmask_b32_e64 v116, v116, v118, s[4:5]
	v_mul_f32_e32 v116, v116, v117
	buffer_store_dword v116, off, s[0:3], 0 offset:212
.LBB55_16:
	s_or_b64 exec, exec, s[8:9]
	buffer_load_dword v116, off, s[0:3], 0 offset:208
	v_cmp_lt_u32_e64 s[4:5], 52, v0
	s_waitcnt vmcnt(0)
	ds_write_b32 v114, v116
	s_waitcnt lgkmcnt(0)
	; wave barrier
	s_and_saveexec_b64 s[8:9], s[4:5]
	s_cbranch_execz .LBB55_26
; %bb.17:
	s_andn2_b64 vcc, exec, s[10:11]
	s_cbranch_vccnz .LBB55_19
; %bb.18:
	buffer_load_dword v116, v115, s[0:3], 0 offen
	ds_read_b32 v117, v114
	s_waitcnt vmcnt(0) lgkmcnt(0)
	v_mul_f32_e32 v116, v116, v117
	s_cbranch_execz .LBB55_20
	s_branch .LBB55_21
.LBB55_19:
                                        ; implicit-def: $vgpr116
.LBB55_20:
	ds_read_b32 v116, v114
.LBB55_21:
	s_and_saveexec_b64 s[12:13], s[6:7]
	s_cbranch_execz .LBB55_25
; %bb.22:
	v_subrev_u32_e32 v117, 53, v0
	s_movk_i32 s68, 0x1b4
	s_mov_b64 s[6:7], 0
.LBB55_23:                              ; =>This Inner Loop Header: Depth=1
	v_mov_b32_e32 v118, s67
	buffer_load_dword v118, v118, s[0:3], 0 offen
	v_mov_b32_e32 v119, s68
	ds_read_b32 v119, v119
	v_add_u32_e32 v117, -1, v117
	s_add_i32 s68, s68, 4
	s_add_i32 s67, s67, 4
	v_cmp_eq_u32_e32 vcc, 0, v117
	s_or_b64 s[6:7], vcc, s[6:7]
	s_waitcnt vmcnt(0) lgkmcnt(0)
	v_fmac_f32_e32 v116, v118, v119
	s_andn2_b64 exec, exec, s[6:7]
	s_cbranch_execnz .LBB55_23
; %bb.24:
	s_or_b64 exec, exec, s[6:7]
.LBB55_25:
	s_or_b64 exec, exec, s[12:13]
	v_mov_b32_e32 v117, 0
	ds_read_b32 v117, v117 offset:208
	s_waitcnt lgkmcnt(0)
	v_mul_f32_e32 v116, v116, v117
	buffer_store_dword v116, off, s[0:3], 0 offset:208
.LBB55_26:
	s_or_b64 exec, exec, s[8:9]
	buffer_load_dword v116, off, s[0:3], 0 offset:204
	v_cmp_lt_u32_e64 s[6:7], 51, v0
	s_waitcnt vmcnt(0)
	ds_write_b32 v114, v116
	s_waitcnt lgkmcnt(0)
	; wave barrier
	s_and_saveexec_b64 s[8:9], s[6:7]
	s_cbranch_execz .LBB55_36
; %bb.27:
	s_andn2_b64 vcc, exec, s[10:11]
	s_cbranch_vccnz .LBB55_29
; %bb.28:
	buffer_load_dword v116, v115, s[0:3], 0 offen
	ds_read_b32 v117, v114
	s_waitcnt vmcnt(0) lgkmcnt(0)
	v_mul_f32_e32 v116, v116, v117
	s_cbranch_execz .LBB55_30
	s_branch .LBB55_31
.LBB55_29:
                                        ; implicit-def: $vgpr116
.LBB55_30:
	ds_read_b32 v116, v114
.LBB55_31:
	s_and_saveexec_b64 s[12:13], s[4:5]
	s_cbranch_execz .LBB55_35
; %bb.32:
	v_subrev_u32_e32 v117, 52, v0
	s_movk_i32 s67, 0x1b0
	s_mov_b64 s[4:5], 0
.LBB55_33:                              ; =>This Inner Loop Header: Depth=1
	v_mov_b32_e32 v118, s66
	buffer_load_dword v118, v118, s[0:3], 0 offen
	v_mov_b32_e32 v119, s67
	ds_read_b32 v119, v119
	v_add_u32_e32 v117, -1, v117
	s_add_i32 s67, s67, 4
	s_add_i32 s66, s66, 4
	v_cmp_eq_u32_e32 vcc, 0, v117
	s_or_b64 s[4:5], vcc, s[4:5]
	s_waitcnt vmcnt(0) lgkmcnt(0)
	v_fmac_f32_e32 v116, v118, v119
	s_andn2_b64 exec, exec, s[4:5]
	s_cbranch_execnz .LBB55_33
; %bb.34:
	s_or_b64 exec, exec, s[4:5]
.LBB55_35:
	s_or_b64 exec, exec, s[12:13]
	v_mov_b32_e32 v117, 0
	ds_read_b32 v117, v117 offset:204
	s_waitcnt lgkmcnt(0)
	v_mul_f32_e32 v116, v116, v117
	buffer_store_dword v116, off, s[0:3], 0 offset:204
.LBB55_36:
	;; [unrolled: 54-line block ×8, first 2 shown]
	s_or_b64 exec, exec, s[8:9]
	buffer_load_dword v116, off, s[0:3], 0 offset:176
	v_cmp_lt_u32_e64 s[4:5], 44, v0
	s_waitcnt vmcnt(0)
	ds_write_b32 v114, v116
	s_waitcnt lgkmcnt(0)
	; wave barrier
	s_and_saveexec_b64 s[8:9], s[4:5]
	s_cbranch_execz .LBB55_106
; %bb.97:
	s_andn2_b64 vcc, exec, s[10:11]
	s_cbranch_vccnz .LBB55_99
; %bb.98:
	buffer_load_dword v116, v115, s[0:3], 0 offen
	ds_read_b32 v117, v114
	s_waitcnt vmcnt(0) lgkmcnt(0)
	v_mul_f32_e32 v116, v116, v117
	s_cbranch_execz .LBB55_100
	s_branch .LBB55_101
.LBB55_99:
                                        ; implicit-def: $vgpr116
.LBB55_100:
	ds_read_b32 v116, v114
.LBB55_101:
	s_and_saveexec_b64 s[12:13], s[6:7]
	s_cbranch_execz .LBB55_105
; %bb.102:
	v_subrev_u32_e32 v117, 45, v0
	s_movk_i32 s60, 0x194
	s_mov_b64 s[6:7], 0
.LBB55_103:                             ; =>This Inner Loop Header: Depth=1
	v_mov_b32_e32 v118, s59
	buffer_load_dword v118, v118, s[0:3], 0 offen
	v_mov_b32_e32 v119, s60
	ds_read_b32 v119, v119
	v_add_u32_e32 v117, -1, v117
	s_add_i32 s60, s60, 4
	s_add_i32 s59, s59, 4
	v_cmp_eq_u32_e32 vcc, 0, v117
	s_or_b64 s[6:7], vcc, s[6:7]
	s_waitcnt vmcnt(0) lgkmcnt(0)
	v_fmac_f32_e32 v116, v118, v119
	s_andn2_b64 exec, exec, s[6:7]
	s_cbranch_execnz .LBB55_103
; %bb.104:
	s_or_b64 exec, exec, s[6:7]
.LBB55_105:
	s_or_b64 exec, exec, s[12:13]
	v_mov_b32_e32 v117, 0
	ds_read_b32 v117, v117 offset:176
	s_waitcnt lgkmcnt(0)
	v_mul_f32_e32 v116, v116, v117
	buffer_store_dword v116, off, s[0:3], 0 offset:176
.LBB55_106:
	s_or_b64 exec, exec, s[8:9]
	buffer_load_dword v116, off, s[0:3], 0 offset:172
	v_cmp_lt_u32_e64 s[6:7], 43, v0
	s_waitcnt vmcnt(0)
	ds_write_b32 v114, v116
	s_waitcnt lgkmcnt(0)
	; wave barrier
	s_and_saveexec_b64 s[8:9], s[6:7]
	s_cbranch_execz .LBB55_116
; %bb.107:
	s_andn2_b64 vcc, exec, s[10:11]
	s_cbranch_vccnz .LBB55_109
; %bb.108:
	buffer_load_dword v116, v115, s[0:3], 0 offen
	ds_read_b32 v117, v114
	s_waitcnt vmcnt(0) lgkmcnt(0)
	v_mul_f32_e32 v116, v116, v117
	s_cbranch_execz .LBB55_110
	s_branch .LBB55_111
.LBB55_109:
                                        ; implicit-def: $vgpr116
.LBB55_110:
	ds_read_b32 v116, v114
.LBB55_111:
	s_and_saveexec_b64 s[12:13], s[4:5]
	s_cbranch_execz .LBB55_115
; %bb.112:
	v_subrev_u32_e32 v117, 44, v0
	s_movk_i32 s59, 0x190
	s_mov_b64 s[4:5], 0
.LBB55_113:                             ; =>This Inner Loop Header: Depth=1
	v_mov_b32_e32 v118, s58
	buffer_load_dword v118, v118, s[0:3], 0 offen
	v_mov_b32_e32 v119, s59
	ds_read_b32 v119, v119
	v_add_u32_e32 v117, -1, v117
	s_add_i32 s59, s59, 4
	s_add_i32 s58, s58, 4
	v_cmp_eq_u32_e32 vcc, 0, v117
	s_or_b64 s[4:5], vcc, s[4:5]
	s_waitcnt vmcnt(0) lgkmcnt(0)
	v_fmac_f32_e32 v116, v118, v119
	s_andn2_b64 exec, exec, s[4:5]
	s_cbranch_execnz .LBB55_113
; %bb.114:
	s_or_b64 exec, exec, s[4:5]
.LBB55_115:
	s_or_b64 exec, exec, s[12:13]
	v_mov_b32_e32 v117, 0
	ds_read_b32 v117, v117 offset:172
	s_waitcnt lgkmcnt(0)
	v_mul_f32_e32 v116, v116, v117
	buffer_store_dword v116, off, s[0:3], 0 offset:172
.LBB55_116:
	;; [unrolled: 54-line block ×29, first 2 shown]
	s_or_b64 exec, exec, s[8:9]
	buffer_load_dword v116, off, s[0:3], 0 offset:60
	v_cmp_lt_u32_e64 s[6:7], 15, v0
	s_waitcnt vmcnt(0)
	ds_write_b32 v114, v116
	s_waitcnt lgkmcnt(0)
	; wave barrier
	s_and_saveexec_b64 s[8:9], s[6:7]
	s_cbranch_execz .LBB55_396
; %bb.387:
	s_andn2_b64 vcc, exec, s[10:11]
	s_cbranch_vccnz .LBB55_389
; %bb.388:
	buffer_load_dword v116, v115, s[0:3], 0 offen
	ds_read_b32 v117, v114
	s_waitcnt vmcnt(0) lgkmcnt(0)
	v_mul_f32_e32 v116, v116, v117
	s_cbranch_execz .LBB55_390
	s_branch .LBB55_391
.LBB55_389:
                                        ; implicit-def: $vgpr116
.LBB55_390:
	ds_read_b32 v116, v114
.LBB55_391:
	s_and_saveexec_b64 s[12:13], s[4:5]
	s_cbranch_execz .LBB55_395
; %bb.392:
	v_add_u32_e32 v117, -16, v0
	s_movk_i32 s30, 0x120
	s_mov_b64 s[4:5], 0
.LBB55_393:                             ; =>This Inner Loop Header: Depth=1
	v_mov_b32_e32 v118, s29
	buffer_load_dword v118, v118, s[0:3], 0 offen
	v_mov_b32_e32 v119, s30
	ds_read_b32 v119, v119
	v_add_u32_e32 v117, -1, v117
	s_add_i32 s30, s30, 4
	s_add_i32 s29, s29, 4
	v_cmp_eq_u32_e32 vcc, 0, v117
	s_or_b64 s[4:5], vcc, s[4:5]
	s_waitcnt vmcnt(0) lgkmcnt(0)
	v_fmac_f32_e32 v116, v118, v119
	s_andn2_b64 exec, exec, s[4:5]
	s_cbranch_execnz .LBB55_393
; %bb.394:
	s_or_b64 exec, exec, s[4:5]
.LBB55_395:
	s_or_b64 exec, exec, s[12:13]
	v_mov_b32_e32 v117, 0
	ds_read_b32 v117, v117 offset:60
	s_waitcnt lgkmcnt(0)
	v_mul_f32_e32 v116, v116, v117
	buffer_store_dword v116, off, s[0:3], 0 offset:60
.LBB55_396:
	s_or_b64 exec, exec, s[8:9]
	buffer_load_dword v116, off, s[0:3], 0 offset:56
	v_cmp_lt_u32_e64 s[4:5], 14, v0
	s_waitcnt vmcnt(0)
	ds_write_b32 v114, v116
	s_waitcnt lgkmcnt(0)
	; wave barrier
	s_and_saveexec_b64 s[8:9], s[4:5]
	s_cbranch_execz .LBB55_406
; %bb.397:
	s_andn2_b64 vcc, exec, s[10:11]
	s_cbranch_vccnz .LBB55_399
; %bb.398:
	buffer_load_dword v116, v115, s[0:3], 0 offen
	ds_read_b32 v117, v114
	s_waitcnt vmcnt(0) lgkmcnt(0)
	v_mul_f32_e32 v116, v116, v117
	s_cbranch_execz .LBB55_400
	s_branch .LBB55_401
.LBB55_399:
                                        ; implicit-def: $vgpr116
.LBB55_400:
	ds_read_b32 v116, v114
.LBB55_401:
	s_and_saveexec_b64 s[12:13], s[6:7]
	s_cbranch_execz .LBB55_405
; %bb.402:
	v_add_u32_e32 v117, -15, v0
	s_movk_i32 s29, 0x11c
	s_mov_b64 s[6:7], 0
.LBB55_403:                             ; =>This Inner Loop Header: Depth=1
	v_mov_b32_e32 v118, s28
	buffer_load_dword v118, v118, s[0:3], 0 offen
	v_mov_b32_e32 v119, s29
	ds_read_b32 v119, v119
	v_add_u32_e32 v117, -1, v117
	s_add_i32 s29, s29, 4
	s_add_i32 s28, s28, 4
	v_cmp_eq_u32_e32 vcc, 0, v117
	s_or_b64 s[6:7], vcc, s[6:7]
	s_waitcnt vmcnt(0) lgkmcnt(0)
	v_fmac_f32_e32 v116, v118, v119
	s_andn2_b64 exec, exec, s[6:7]
	s_cbranch_execnz .LBB55_403
; %bb.404:
	s_or_b64 exec, exec, s[6:7]
.LBB55_405:
	s_or_b64 exec, exec, s[12:13]
	v_mov_b32_e32 v117, 0
	ds_read_b32 v117, v117 offset:56
	s_waitcnt lgkmcnt(0)
	v_mul_f32_e32 v116, v116, v117
	buffer_store_dword v116, off, s[0:3], 0 offset:56
.LBB55_406:
	;; [unrolled: 54-line block ×15, first 2 shown]
	s_or_b64 exec, exec, s[8:9]
	buffer_load_dword v116, off, s[0:3], 0
	v_cmp_ne_u32_e32 vcc, 0, v0
	s_waitcnt vmcnt(0)
	ds_write_b32 v114, v116
	s_waitcnt lgkmcnt(0)
	; wave barrier
	s_and_saveexec_b64 s[4:5], vcc
	s_cbranch_execz .LBB55_546
; %bb.537:
	s_andn2_b64 vcc, exec, s[10:11]
	s_cbranch_vccnz .LBB55_539
; %bb.538:
	buffer_load_dword v116, v115, s[0:3], 0 offen
	ds_read_b32 v117, v114
	s_waitcnt vmcnt(0) lgkmcnt(0)
	v_mul_f32_e32 v116, v116, v117
	s_cbranch_execz .LBB55_540
	s_branch .LBB55_541
.LBB55_539:
                                        ; implicit-def: $vgpr116
.LBB55_540:
	ds_read_b32 v116, v114
.LBB55_541:
	s_and_saveexec_b64 s[8:9], s[6:7]
	s_cbranch_execz .LBB55_545
; %bb.542:
	v_add_u32_e32 v117, -1, v0
	s_movk_i32 s12, 0xe4
	s_mov_b64 s[6:7], 0
.LBB55_543:                             ; =>This Inner Loop Header: Depth=1
	v_mov_b32_e32 v118, s14
	buffer_load_dword v118, v118, s[0:3], 0 offen
	v_mov_b32_e32 v119, s12
	ds_read_b32 v119, v119
	v_add_u32_e32 v117, -1, v117
	s_add_i32 s12, s12, 4
	s_add_i32 s14, s14, 4
	v_cmp_eq_u32_e32 vcc, 0, v117
	s_or_b64 s[6:7], vcc, s[6:7]
	s_waitcnt vmcnt(0) lgkmcnt(0)
	v_fmac_f32_e32 v116, v118, v119
	s_andn2_b64 exec, exec, s[6:7]
	s_cbranch_execnz .LBB55_543
; %bb.544:
	s_or_b64 exec, exec, s[6:7]
.LBB55_545:
	s_or_b64 exec, exec, s[8:9]
	v_mov_b32_e32 v117, 0
	ds_read_b32 v117, v117
	s_waitcnt lgkmcnt(0)
	v_mul_f32_e32 v116, v116, v117
	buffer_store_dword v116, off, s[0:3], 0
.LBB55_546:
	s_or_b64 exec, exec, s[4:5]
	s_mov_b64 s[4:5], 0
.LBB55_547:
	s_and_b64 vcc, exec, s[4:5]
	s_cbranch_vccz .LBB55_1089
; %bb.548:
	buffer_load_dword v116, off, s[0:3], 0 offset:4
	v_cmp_eq_u32_e64 s[6:7], 0, v0
	s_waitcnt vmcnt(0)
	ds_write_b32 v114, v116
	s_waitcnt lgkmcnt(0)
	; wave barrier
	s_and_saveexec_b64 s[4:5], s[6:7]
	s_cbranch_execz .LBB55_554
; %bb.549:
	s_and_b64 vcc, exec, s[10:11]
	s_cbranch_vccz .LBB55_551
; %bb.550:
	buffer_load_dword v116, v115, s[0:3], 0 offen
	ds_read_b32 v117, v114
	s_waitcnt vmcnt(0) lgkmcnt(0)
	v_mul_f32_e32 v116, v116, v117
	s_cbranch_execz .LBB55_552
	s_branch .LBB55_553
.LBB55_551:
                                        ; implicit-def: $vgpr116
.LBB55_552:
	ds_read_b32 v116, v114
.LBB55_553:
	v_mov_b32_e32 v117, 0
	ds_read_b32 v117, v117 offset:4
	s_waitcnt lgkmcnt(0)
	v_mul_f32_e32 v116, v116, v117
	buffer_store_dword v116, off, s[0:3], 0 offset:4
.LBB55_554:
	s_or_b64 exec, exec, s[4:5]
	buffer_load_dword v116, off, s[0:3], 0 offset:8
	v_cndmask_b32_e64 v117, 0, 1, s[10:11]
	v_cmp_gt_u32_e32 vcc, 2, v0
	v_cmp_ne_u32_e64 s[4:5], 1, v117
	s_waitcnt vmcnt(0)
	ds_write_b32 v114, v116
	s_waitcnt lgkmcnt(0)
	; wave barrier
	s_and_saveexec_b64 s[8:9], vcc
	s_cbranch_execz .LBB55_560
; %bb.555:
	s_and_b64 vcc, exec, s[4:5]
	s_cbranch_vccnz .LBB55_557
; %bb.556:
	buffer_load_dword v116, v115, s[0:3], 0 offen
	ds_read_b32 v117, v114
	s_waitcnt vmcnt(0) lgkmcnt(0)
	v_mul_f32_e32 v116, v116, v117
	s_cbranch_execz .LBB55_558
	s_branch .LBB55_559
.LBB55_557:
                                        ; implicit-def: $vgpr116
.LBB55_558:
	ds_read_b32 v116, v114
.LBB55_559:
	buffer_load_dword v119, off, s[0:3], 0 offset:4
	v_mov_b32_e32 v117, 0
	ds_read2_b32 v[117:118], v117 offset0:2 offset1:57
	s_waitcnt vmcnt(0) lgkmcnt(0)
	v_fma_f32 v118, v119, v118, v116
	v_cndmask_b32_e64 v116, v116, v118, s[6:7]
	v_mul_f32_e32 v116, v116, v117
	buffer_store_dword v116, off, s[0:3], 0 offset:8
.LBB55_560:
	s_or_b64 exec, exec, s[8:9]
	buffer_load_dword v116, off, s[0:3], 0 offset:12
	v_cmp_gt_u32_e32 vcc, 3, v0
	s_waitcnt vmcnt(0)
	ds_write_b32 v114, v116
	s_waitcnt lgkmcnt(0)
	; wave barrier
	s_and_saveexec_b64 s[8:9], vcc
	s_cbranch_execz .LBB55_568
; %bb.561:
	s_and_b64 vcc, exec, s[4:5]
	s_cbranch_vccnz .LBB55_563
; %bb.562:
	buffer_load_dword v116, v115, s[0:3], 0 offen
	ds_read_b32 v117, v114
	s_waitcnt vmcnt(0) lgkmcnt(0)
	v_mul_f32_e32 v116, v116, v117
	s_cbranch_execz .LBB55_564
	s_branch .LBB55_565
.LBB55_563:
                                        ; implicit-def: $vgpr116
.LBB55_564:
	ds_read_b32 v116, v114
.LBB55_565:
	v_cmp_ne_u32_e32 vcc, 2, v0
	s_and_saveexec_b64 s[10:11], vcc
	s_cbranch_execz .LBB55_567
; %bb.566:
	buffer_load_dword v117, v115, s[0:3], 0 offen offset:4
	buffer_load_dword v118, off, s[0:3], 0 offset:8
	v_mov_b32_e32 v119, 0
	ds_read_b32 v120, v114 offset:4
	ds_read_b32 v119, v119 offset:232
	s_waitcnt vmcnt(1) lgkmcnt(1)
	v_fmac_f32_e32 v116, v117, v120
	s_waitcnt vmcnt(0) lgkmcnt(0)
	v_fma_f32 v117, v118, v119, v116
	v_cndmask_b32_e64 v116, v116, v117, s[6:7]
.LBB55_567:
	s_or_b64 exec, exec, s[10:11]
	v_mov_b32_e32 v117, 0
	ds_read_b32 v117, v117 offset:12
	s_waitcnt lgkmcnt(0)
	v_mul_f32_e32 v116, v116, v117
	buffer_store_dword v116, off, s[0:3], 0 offset:12
.LBB55_568:
	s_or_b64 exec, exec, s[8:9]
	buffer_load_dword v116, off, s[0:3], 0 offset:16
	v_cmp_gt_u32_e32 vcc, 4, v0
	s_waitcnt vmcnt(0)
	ds_write_b32 v114, v116
	s_waitcnt lgkmcnt(0)
	; wave barrier
	s_and_saveexec_b64 s[6:7], vcc
	s_cbranch_execz .LBB55_578
; %bb.569:
	s_and_b64 vcc, exec, s[4:5]
	s_cbranch_vccnz .LBB55_571
; %bb.570:
	buffer_load_dword v116, v115, s[0:3], 0 offen
	ds_read_b32 v117, v114
	s_waitcnt vmcnt(0) lgkmcnt(0)
	v_mul_f32_e32 v116, v116, v117
	s_cbranch_execz .LBB55_572
	s_branch .LBB55_573
.LBB55_571:
                                        ; implicit-def: $vgpr116
.LBB55_572:
	ds_read_b32 v116, v114
.LBB55_573:
	v_cmp_ne_u32_e32 vcc, 3, v0
	s_and_saveexec_b64 s[8:9], vcc
	s_cbranch_execz .LBB55_577
; %bb.574:
	s_mov_b32 s10, 0
	v_add_u32_e32 v117, 0xe4, v113
	v_add3_u32 v118, v113, s10, 4
	s_mov_b64 s[10:11], 0
	v_mov_b32_e32 v119, v0
.LBB55_575:                             ; =>This Inner Loop Header: Depth=1
	buffer_load_dword v120, v118, s[0:3], 0 offen
	ds_read_b32 v121, v117
	v_add_u32_e32 v119, 1, v119
	v_cmp_lt_u32_e32 vcc, 2, v119
	v_add_u32_e32 v117, 4, v117
	v_add_u32_e32 v118, 4, v118
	s_or_b64 s[10:11], vcc, s[10:11]
	s_waitcnt vmcnt(0) lgkmcnt(0)
	v_fmac_f32_e32 v116, v120, v121
	s_andn2_b64 exec, exec, s[10:11]
	s_cbranch_execnz .LBB55_575
; %bb.576:
	s_or_b64 exec, exec, s[10:11]
.LBB55_577:
	s_or_b64 exec, exec, s[8:9]
	v_mov_b32_e32 v117, 0
	ds_read_b32 v117, v117 offset:16
	s_waitcnt lgkmcnt(0)
	v_mul_f32_e32 v116, v116, v117
	buffer_store_dword v116, off, s[0:3], 0 offset:16
.LBB55_578:
	s_or_b64 exec, exec, s[6:7]
	buffer_load_dword v116, off, s[0:3], 0 offset:20
	v_cmp_gt_u32_e32 vcc, 5, v0
	s_waitcnt vmcnt(0)
	ds_write_b32 v114, v116
	s_waitcnt lgkmcnt(0)
	; wave barrier
	s_and_saveexec_b64 s[6:7], vcc
	s_cbranch_execz .LBB55_588
; %bb.579:
	s_and_b64 vcc, exec, s[4:5]
	s_cbranch_vccnz .LBB55_581
; %bb.580:
	buffer_load_dword v116, v115, s[0:3], 0 offen
	ds_read_b32 v117, v114
	s_waitcnt vmcnt(0) lgkmcnt(0)
	v_mul_f32_e32 v116, v116, v117
	s_cbranch_execz .LBB55_582
	s_branch .LBB55_583
.LBB55_581:
                                        ; implicit-def: $vgpr116
.LBB55_582:
	ds_read_b32 v116, v114
.LBB55_583:
	v_cmp_ne_u32_e32 vcc, 4, v0
	s_and_saveexec_b64 s[8:9], vcc
	s_cbranch_execz .LBB55_587
; %bb.584:
	s_mov_b32 s10, 0
	v_add_u32_e32 v117, 0xe4, v113
	v_add3_u32 v118, v113, s10, 4
	s_mov_b64 s[10:11], 0
	v_mov_b32_e32 v119, v0
.LBB55_585:                             ; =>This Inner Loop Header: Depth=1
	buffer_load_dword v120, v118, s[0:3], 0 offen
	ds_read_b32 v121, v117
	v_add_u32_e32 v119, 1, v119
	v_cmp_lt_u32_e32 vcc, 3, v119
	v_add_u32_e32 v117, 4, v117
	v_add_u32_e32 v118, 4, v118
	s_or_b64 s[10:11], vcc, s[10:11]
	s_waitcnt vmcnt(0) lgkmcnt(0)
	v_fmac_f32_e32 v116, v120, v121
	s_andn2_b64 exec, exec, s[10:11]
	s_cbranch_execnz .LBB55_585
; %bb.586:
	s_or_b64 exec, exec, s[10:11]
.LBB55_587:
	s_or_b64 exec, exec, s[8:9]
	v_mov_b32_e32 v117, 0
	ds_read_b32 v117, v117 offset:20
	s_waitcnt lgkmcnt(0)
	v_mul_f32_e32 v116, v116, v117
	buffer_store_dword v116, off, s[0:3], 0 offset:20
.LBB55_588:
	;; [unrolled: 55-line block ×43, first 2 shown]
	s_or_b64 exec, exec, s[6:7]
	buffer_load_dword v116, off, s[0:3], 0 offset:188
	v_cmp_gt_u32_e32 vcc, 47, v0
	s_waitcnt vmcnt(0)
	ds_write_b32 v114, v116
	s_waitcnt lgkmcnt(0)
	; wave barrier
	s_and_saveexec_b64 s[6:7], vcc
	s_cbranch_execz .LBB55_1008
; %bb.999:
	s_and_b64 vcc, exec, s[4:5]
	s_cbranch_vccnz .LBB55_1001
; %bb.1000:
	buffer_load_dword v116, v115, s[0:3], 0 offen
	ds_read_b32 v117, v114
	s_waitcnt vmcnt(0) lgkmcnt(0)
	v_mul_f32_e32 v116, v116, v117
	s_cbranch_execz .LBB55_1002
	s_branch .LBB55_1003
.LBB55_1001:
                                        ; implicit-def: $vgpr116
.LBB55_1002:
	ds_read_b32 v116, v114
.LBB55_1003:
	v_cmp_ne_u32_e32 vcc, 46, v0
	s_and_saveexec_b64 s[8:9], vcc
	s_cbranch_execz .LBB55_1007
; %bb.1004:
	s_mov_b32 s10, 0
	v_add_u32_e32 v117, 0xe4, v113
	v_add3_u32 v118, v113, s10, 4
	s_mov_b64 s[10:11], 0
	v_mov_b32_e32 v119, v0
.LBB55_1005:                            ; =>This Inner Loop Header: Depth=1
	buffer_load_dword v120, v118, s[0:3], 0 offen
	ds_read_b32 v121, v117
	v_add_u32_e32 v119, 1, v119
	v_cmp_lt_u32_e32 vcc, 45, v119
	v_add_u32_e32 v117, 4, v117
	v_add_u32_e32 v118, 4, v118
	s_or_b64 s[10:11], vcc, s[10:11]
	s_waitcnt vmcnt(0) lgkmcnt(0)
	v_fmac_f32_e32 v116, v120, v121
	s_andn2_b64 exec, exec, s[10:11]
	s_cbranch_execnz .LBB55_1005
; %bb.1006:
	s_or_b64 exec, exec, s[10:11]
.LBB55_1007:
	s_or_b64 exec, exec, s[8:9]
	v_mov_b32_e32 v117, 0
	ds_read_b32 v117, v117 offset:188
	s_waitcnt lgkmcnt(0)
	v_mul_f32_e32 v116, v116, v117
	buffer_store_dword v116, off, s[0:3], 0 offset:188
.LBB55_1008:
	s_or_b64 exec, exec, s[6:7]
	buffer_load_dword v116, off, s[0:3], 0 offset:192
	v_cmp_gt_u32_e32 vcc, 48, v0
	s_waitcnt vmcnt(0)
	ds_write_b32 v114, v116
	s_waitcnt lgkmcnt(0)
	; wave barrier
	s_and_saveexec_b64 s[6:7], vcc
	s_cbranch_execz .LBB55_1018
; %bb.1009:
	s_and_b64 vcc, exec, s[4:5]
	s_cbranch_vccnz .LBB55_1011
; %bb.1010:
	buffer_load_dword v116, v115, s[0:3], 0 offen
	ds_read_b32 v117, v114
	s_waitcnt vmcnt(0) lgkmcnt(0)
	v_mul_f32_e32 v116, v116, v117
	s_cbranch_execz .LBB55_1012
	s_branch .LBB55_1013
.LBB55_1011:
                                        ; implicit-def: $vgpr116
.LBB55_1012:
	ds_read_b32 v116, v114
.LBB55_1013:
	v_cmp_ne_u32_e32 vcc, 47, v0
	s_and_saveexec_b64 s[8:9], vcc
	s_cbranch_execz .LBB55_1017
; %bb.1014:
	s_mov_b32 s10, 0
	v_add_u32_e32 v117, 0xe4, v113
	v_add3_u32 v118, v113, s10, 4
	s_mov_b64 s[10:11], 0
	v_mov_b32_e32 v119, v0
.LBB55_1015:                            ; =>This Inner Loop Header: Depth=1
	buffer_load_dword v120, v118, s[0:3], 0 offen
	ds_read_b32 v121, v117
	v_add_u32_e32 v119, 1, v119
	v_cmp_lt_u32_e32 vcc, 46, v119
	v_add_u32_e32 v117, 4, v117
	v_add_u32_e32 v118, 4, v118
	s_or_b64 s[10:11], vcc, s[10:11]
	s_waitcnt vmcnt(0) lgkmcnt(0)
	v_fmac_f32_e32 v116, v120, v121
	s_andn2_b64 exec, exec, s[10:11]
	s_cbranch_execnz .LBB55_1015
; %bb.1016:
	s_or_b64 exec, exec, s[10:11]
.LBB55_1017:
	s_or_b64 exec, exec, s[8:9]
	v_mov_b32_e32 v117, 0
	ds_read_b32 v117, v117 offset:192
	s_waitcnt lgkmcnt(0)
	v_mul_f32_e32 v116, v116, v117
	buffer_store_dword v116, off, s[0:3], 0 offset:192
.LBB55_1018:
	;; [unrolled: 55-line block ×7, first 2 shown]
	s_or_b64 exec, exec, s[6:7]
	buffer_load_dword v116, off, s[0:3], 0 offset:216
	v_cmp_gt_u32_e64 s[6:7], 54, v0
	s_waitcnt vmcnt(0)
	ds_write_b32 v114, v116
	s_waitcnt lgkmcnt(0)
	; wave barrier
	s_and_saveexec_b64 s[8:9], s[6:7]
	s_cbranch_execz .LBB55_1078
; %bb.1069:
	s_and_b64 vcc, exec, s[4:5]
	s_cbranch_vccnz .LBB55_1071
; %bb.1070:
	buffer_load_dword v116, v115, s[0:3], 0 offen
	ds_read_b32 v117, v114
	s_waitcnt vmcnt(0) lgkmcnt(0)
	v_mul_f32_e32 v116, v116, v117
	s_cbranch_execz .LBB55_1072
	s_branch .LBB55_1073
.LBB55_1071:
                                        ; implicit-def: $vgpr116
.LBB55_1072:
	ds_read_b32 v116, v114
.LBB55_1073:
	v_cmp_ne_u32_e32 vcc, 53, v0
	s_and_saveexec_b64 s[10:11], vcc
	s_cbranch_execz .LBB55_1077
; %bb.1074:
	s_mov_b32 s12, 0
	v_add_u32_e32 v117, 0xe4, v113
	v_add3_u32 v118, v113, s12, 4
	s_mov_b64 s[12:13], 0
	v_mov_b32_e32 v119, v0
.LBB55_1075:                            ; =>This Inner Loop Header: Depth=1
	buffer_load_dword v120, v118, s[0:3], 0 offen
	ds_read_b32 v121, v117
	v_add_u32_e32 v119, 1, v119
	v_cmp_lt_u32_e32 vcc, 52, v119
	v_add_u32_e32 v117, 4, v117
	v_add_u32_e32 v118, 4, v118
	s_or_b64 s[12:13], vcc, s[12:13]
	s_waitcnt vmcnt(0) lgkmcnt(0)
	v_fmac_f32_e32 v116, v120, v121
	s_andn2_b64 exec, exec, s[12:13]
	s_cbranch_execnz .LBB55_1075
; %bb.1076:
	s_or_b64 exec, exec, s[12:13]
.LBB55_1077:
	s_or_b64 exec, exec, s[10:11]
	v_mov_b32_e32 v117, 0
	ds_read_b32 v117, v117 offset:216
	s_waitcnt lgkmcnt(0)
	v_mul_f32_e32 v116, v116, v117
	buffer_store_dword v116, off, s[0:3], 0 offset:216
.LBB55_1078:
	s_or_b64 exec, exec, s[8:9]
	buffer_load_dword v116, off, s[0:3], 0 offset:220
	v_cmp_ne_u32_e32 vcc, 55, v0
	s_waitcnt vmcnt(0)
	ds_write_b32 v114, v116
	s_waitcnt lgkmcnt(0)
	; wave barrier
	s_and_saveexec_b64 s[8:9], vcc
	s_cbranch_execz .LBB55_1088
; %bb.1079:
	s_and_b64 vcc, exec, s[4:5]
	s_cbranch_vccnz .LBB55_1081
; %bb.1080:
	buffer_load_dword v115, v115, s[0:3], 0 offen
	ds_read_b32 v116, v114
	s_waitcnt vmcnt(0) lgkmcnt(0)
	v_mul_f32_e32 v115, v115, v116
	s_cbranch_execz .LBB55_1082
	s_branch .LBB55_1083
.LBB55_1081:
                                        ; implicit-def: $vgpr115
.LBB55_1082:
	ds_read_b32 v115, v114
.LBB55_1083:
	s_and_saveexec_b64 s[4:5], s[6:7]
	s_cbranch_execz .LBB55_1087
; %bb.1084:
	s_mov_b32 s6, 0
	v_add_u32_e32 v114, 0xe4, v113
	v_add3_u32 v113, v113, s6, 4
	s_mov_b64 s[6:7], 0
.LBB55_1085:                            ; =>This Inner Loop Header: Depth=1
	buffer_load_dword v116, v113, s[0:3], 0 offen
	ds_read_b32 v117, v114
	v_add_u32_e32 v0, 1, v0
	v_cmp_lt_u32_e32 vcc, 53, v0
	v_add_u32_e32 v114, 4, v114
	v_add_u32_e32 v113, 4, v113
	s_or_b64 s[6:7], vcc, s[6:7]
	s_waitcnt vmcnt(0) lgkmcnt(0)
	v_fmac_f32_e32 v115, v116, v117
	s_andn2_b64 exec, exec, s[6:7]
	s_cbranch_execnz .LBB55_1085
; %bb.1086:
	s_or_b64 exec, exec, s[6:7]
.LBB55_1087:
	s_or_b64 exec, exec, s[4:5]
	v_mov_b32_e32 v0, 0
	ds_read_b32 v0, v0 offset:220
	s_waitcnt lgkmcnt(0)
	v_mul_f32_e32 v0, v115, v0
	buffer_store_dword v0, off, s[0:3], 0 offset:220
.LBB55_1088:
	s_or_b64 exec, exec, s[8:9]
.LBB55_1089:
	buffer_load_dword v0, off, s[0:3], 0
	buffer_load_dword v113, off, s[0:3], 0 offset:4
	buffer_load_dword v114, off, s[0:3], 0 offset:8
	;; [unrolled: 1-line block ×11, first 2 shown]
	s_waitcnt vmcnt(11)
	global_store_dword v[109:110], v0, off
	buffer_load_dword v0, off, s[0:3], 0 offset:48
	s_nop 0
	buffer_load_dword v109, off, s[0:3], 0 offset:52
	buffer_load_dword v110, off, s[0:3], 0 offset:56
	s_waitcnt vmcnt(14)
	global_store_dword v[111:112], v113, off
	buffer_load_dword v111, off, s[0:3], 0 offset:60
	s_waitcnt vmcnt(15)
	global_store_dword v[1:2], v114, off
	s_waitcnt vmcnt(15)
	global_store_dword v[5:6], v115, off
	buffer_load_dword v1, off, s[0:3], 0 offset:64
	buffer_load_dword v2, off, s[0:3], 0 offset:68
	s_nop 0
	buffer_load_dword v5, off, s[0:3], 0 offset:72
	buffer_load_dword v6, off, s[0:3], 0 offset:76
	;; [unrolled: 1-line block ×6, first 2 shown]
	s_waitcnt vmcnt(23)
	global_store_dword v[3:4], v116, off
	s_waitcnt vmcnt(23)
	global_store_dword v[7:8], v117, off
	s_waitcnt vmcnt(23)
	global_store_dword v[11:12], v118, off
	buffer_load_dword v3, off, s[0:3], 0 offset:96
	buffer_load_dword v4, off, s[0:3], 0 offset:100
	;; [unrolled: 1-line block ×4, first 2 shown]
	s_nop 0
	buffer_load_dword v11, off, s[0:3], 0 offset:112
	buffer_load_dword v12, off, s[0:3], 0 offset:116
	;; [unrolled: 1-line block ×4, first 2 shown]
	s_waitcnt vmcnt(31)
	global_store_dword v[9:10], v119, off
	s_waitcnt vmcnt(31)
	global_store_dword v[13:14], v120, off
	;; [unrolled: 2-line block ×3, first 2 shown]
	buffer_load_dword v9, off, s[0:3], 0 offset:128
	buffer_load_dword v10, off, s[0:3], 0 offset:132
	;; [unrolled: 1-line block ×4, first 2 shown]
	s_nop 0
	buffer_load_dword v17, off, s[0:3], 0 offset:144
	buffer_load_dword v18, off, s[0:3], 0 offset:148
	;; [unrolled: 1-line block ×4, first 2 shown]
	s_waitcnt vmcnt(39)
	global_store_dword v[15:16], v122, off
	s_waitcnt vmcnt(39)
	global_store_dword v[21:22], v123, off
	buffer_load_dword v15, off, s[0:3], 0 offset:160
	buffer_load_dword v16, off, s[0:3], 0 offset:164
	s_nop 0
	buffer_load_dword v21, off, s[0:3], 0 offset:168
	buffer_load_dword v22, off, s[0:3], 0 offset:172
	;; [unrolled: 1-line block ×6, first 2 shown]
	s_waitcnt vmcnt(46)
	global_store_dword v[19:20], v0, off
	s_waitcnt vmcnt(46)
	global_store_dword v[23:24], v109, off
	;; [unrolled: 2-line block ×3, first 2 shown]
	buffer_load_dword v0, off, s[0:3], 0 offset:192
	buffer_load_dword v19, off, s[0:3], 0 offset:196
	;; [unrolled: 1-line block ×8, first 2 shown]
	s_waitcnt vmcnt(53)
	global_store_dword v[25:26], v111, off
	s_waitcnt vmcnt(51)
	global_store_dword v[29:30], v1, off
	;; [unrolled: 2-line block ×41, first 2 shown]
.LBB55_1090:
	s_endpgm
	.section	.rodata,"a",@progbits
	.p2align	6, 0x0
	.amdhsa_kernel _ZN9rocsolver6v33100L18trti2_kernel_smallILi56EfPfEEv13rocblas_fill_17rocblas_diagonal_T1_iil
		.amdhsa_group_segment_fixed_size 448
		.amdhsa_private_segment_fixed_size 240
		.amdhsa_kernarg_size 32
		.amdhsa_user_sgpr_count 6
		.amdhsa_user_sgpr_private_segment_buffer 1
		.amdhsa_user_sgpr_dispatch_ptr 0
		.amdhsa_user_sgpr_queue_ptr 0
		.amdhsa_user_sgpr_kernarg_segment_ptr 1
		.amdhsa_user_sgpr_dispatch_id 0
		.amdhsa_user_sgpr_flat_scratch_init 0
		.amdhsa_user_sgpr_private_segment_size 0
		.amdhsa_uses_dynamic_stack 0
		.amdhsa_system_sgpr_private_segment_wavefront_offset 1
		.amdhsa_system_sgpr_workgroup_id_x 1
		.amdhsa_system_sgpr_workgroup_id_y 0
		.amdhsa_system_sgpr_workgroup_id_z 0
		.amdhsa_system_sgpr_workgroup_info 0
		.amdhsa_system_vgpr_workitem_id 0
		.amdhsa_next_free_vgpr 124
		.amdhsa_next_free_sgpr 69
		.amdhsa_reserve_vcc 1
		.amdhsa_reserve_flat_scratch 0
		.amdhsa_float_round_mode_32 0
		.amdhsa_float_round_mode_16_64 0
		.amdhsa_float_denorm_mode_32 3
		.amdhsa_float_denorm_mode_16_64 3
		.amdhsa_dx10_clamp 1
		.amdhsa_ieee_mode 1
		.amdhsa_fp16_overflow 0
		.amdhsa_exception_fp_ieee_invalid_op 0
		.amdhsa_exception_fp_denorm_src 0
		.amdhsa_exception_fp_ieee_div_zero 0
		.amdhsa_exception_fp_ieee_overflow 0
		.amdhsa_exception_fp_ieee_underflow 0
		.amdhsa_exception_fp_ieee_inexact 0
		.amdhsa_exception_int_div_zero 0
	.end_amdhsa_kernel
	.section	.text._ZN9rocsolver6v33100L18trti2_kernel_smallILi56EfPfEEv13rocblas_fill_17rocblas_diagonal_T1_iil,"axG",@progbits,_ZN9rocsolver6v33100L18trti2_kernel_smallILi56EfPfEEv13rocblas_fill_17rocblas_diagonal_T1_iil,comdat
.Lfunc_end55:
	.size	_ZN9rocsolver6v33100L18trti2_kernel_smallILi56EfPfEEv13rocblas_fill_17rocblas_diagonal_T1_iil, .Lfunc_end55-_ZN9rocsolver6v33100L18trti2_kernel_smallILi56EfPfEEv13rocblas_fill_17rocblas_diagonal_T1_iil
                                        ; -- End function
	.set _ZN9rocsolver6v33100L18trti2_kernel_smallILi56EfPfEEv13rocblas_fill_17rocblas_diagonal_T1_iil.num_vgpr, 124
	.set _ZN9rocsolver6v33100L18trti2_kernel_smallILi56EfPfEEv13rocblas_fill_17rocblas_diagonal_T1_iil.num_agpr, 0
	.set _ZN9rocsolver6v33100L18trti2_kernel_smallILi56EfPfEEv13rocblas_fill_17rocblas_diagonal_T1_iil.numbered_sgpr, 69
	.set _ZN9rocsolver6v33100L18trti2_kernel_smallILi56EfPfEEv13rocblas_fill_17rocblas_diagonal_T1_iil.num_named_barrier, 0
	.set _ZN9rocsolver6v33100L18trti2_kernel_smallILi56EfPfEEv13rocblas_fill_17rocblas_diagonal_T1_iil.private_seg_size, 240
	.set _ZN9rocsolver6v33100L18trti2_kernel_smallILi56EfPfEEv13rocblas_fill_17rocblas_diagonal_T1_iil.uses_vcc, 1
	.set _ZN9rocsolver6v33100L18trti2_kernel_smallILi56EfPfEEv13rocblas_fill_17rocblas_diagonal_T1_iil.uses_flat_scratch, 0
	.set _ZN9rocsolver6v33100L18trti2_kernel_smallILi56EfPfEEv13rocblas_fill_17rocblas_diagonal_T1_iil.has_dyn_sized_stack, 0
	.set _ZN9rocsolver6v33100L18trti2_kernel_smallILi56EfPfEEv13rocblas_fill_17rocblas_diagonal_T1_iil.has_recursion, 0
	.set _ZN9rocsolver6v33100L18trti2_kernel_smallILi56EfPfEEv13rocblas_fill_17rocblas_diagonal_T1_iil.has_indirect_call, 0
	.section	.AMDGPU.csdata,"",@progbits
; Kernel info:
; codeLenInByte = 27316
; TotalNumSgprs: 73
; NumVgprs: 124
; ScratchSize: 240
; MemoryBound: 0
; FloatMode: 240
; IeeeMode: 1
; LDSByteSize: 448 bytes/workgroup (compile time only)
; SGPRBlocks: 9
; VGPRBlocks: 30
; NumSGPRsForWavesPerEU: 73
; NumVGPRsForWavesPerEU: 124
; Occupancy: 2
; WaveLimiterHint : 0
; COMPUTE_PGM_RSRC2:SCRATCH_EN: 1
; COMPUTE_PGM_RSRC2:USER_SGPR: 6
; COMPUTE_PGM_RSRC2:TRAP_HANDLER: 0
; COMPUTE_PGM_RSRC2:TGID_X_EN: 1
; COMPUTE_PGM_RSRC2:TGID_Y_EN: 0
; COMPUTE_PGM_RSRC2:TGID_Z_EN: 0
; COMPUTE_PGM_RSRC2:TIDIG_COMP_CNT: 0
	.section	.text._ZN9rocsolver6v33100L18trti2_kernel_smallILi57EfPfEEv13rocblas_fill_17rocblas_diagonal_T1_iil,"axG",@progbits,_ZN9rocsolver6v33100L18trti2_kernel_smallILi57EfPfEEv13rocblas_fill_17rocblas_diagonal_T1_iil,comdat
	.globl	_ZN9rocsolver6v33100L18trti2_kernel_smallILi57EfPfEEv13rocblas_fill_17rocblas_diagonal_T1_iil ; -- Begin function _ZN9rocsolver6v33100L18trti2_kernel_smallILi57EfPfEEv13rocblas_fill_17rocblas_diagonal_T1_iil
	.p2align	8
	.type	_ZN9rocsolver6v33100L18trti2_kernel_smallILi57EfPfEEv13rocblas_fill_17rocblas_diagonal_T1_iil,@function
_ZN9rocsolver6v33100L18trti2_kernel_smallILi57EfPfEEv13rocblas_fill_17rocblas_diagonal_T1_iil: ; @_ZN9rocsolver6v33100L18trti2_kernel_smallILi57EfPfEEv13rocblas_fill_17rocblas_diagonal_T1_iil
; %bb.0:
	s_add_u32 s0, s0, s7
	s_addc_u32 s1, s1, 0
	v_cmp_gt_u32_e32 vcc, 57, v0
	s_and_saveexec_b64 s[8:9], vcc
	s_cbranch_execz .LBB56_1110
; %bb.1:
	s_load_dwordx8 s[8:15], s[4:5], 0x0
	s_ashr_i32 s7, s6, 31
	v_lshlrev_b32_e32 v115, 2, v0
	s_waitcnt lgkmcnt(0)
	s_ashr_i32 s5, s12, 31
	s_mov_b32 s4, s12
	s_mul_hi_u32 s12, s14, s6
	s_mul_i32 s7, s14, s7
	s_add_i32 s7, s12, s7
	s_mul_i32 s12, s15, s6
	s_add_i32 s7, s7, s12
	s_mul_i32 s6, s14, s6
	s_lshl_b64 s[6:7], s[6:7], 2
	s_add_u32 s6, s10, s6
	s_addc_u32 s7, s11, s7
	s_lshl_b64 s[4:5], s[4:5], 2
	s_add_u32 s4, s6, s4
	s_addc_u32 s5, s7, s5
	s_add_i32 s6, s13, s13
	v_add_u32_e32 v3, s6, v0
	v_ashrrev_i32_e32 v4, 31, v3
	v_lshlrev_b64 v[1:2], 2, v[3:4]
	v_add_u32_e32 v5, s13, v3
	v_mov_b32_e32 v4, s5
	v_add_co_u32_e32 v1, vcc, s4, v1
	v_ashrrev_i32_e32 v6, 31, v5
	v_addc_co_u32_e32 v2, vcc, v4, v2, vcc
	v_lshlrev_b64 v[3:4], 2, v[5:6]
	v_mov_b32_e32 v6, s5
	v_add_co_u32_e32 v3, vcc, s4, v3
	v_add_u32_e32 v5, s13, v5
	v_addc_co_u32_e32 v4, vcc, v6, v4, vcc
	v_ashrrev_i32_e32 v6, 31, v5
	v_lshlrev_b64 v[7:8], 2, v[5:6]
	v_add_u32_e32 v9, s13, v5
	v_mov_b32_e32 v6, s5
	v_add_co_u32_e32 v7, vcc, s4, v7
	v_ashrrev_i32_e32 v10, 31, v9
	v_addc_co_u32_e32 v8, vcc, v6, v8, vcc
	v_lshlrev_b64 v[5:6], 2, v[9:10]
	v_add_u32_e32 v11, s13, v9
	v_mov_b32_e32 v10, s5
	v_add_co_u32_e32 v5, vcc, s4, v5
	v_ashrrev_i32_e32 v12, 31, v11
	v_addc_co_u32_e32 v6, vcc, v10, v6, vcc
	v_lshlrev_b64 v[9:10], 2, v[11:12]
	v_mov_b32_e32 v12, s5
	v_add_co_u32_e32 v9, vcc, s4, v9
	v_add_u32_e32 v11, s13, v11
	v_addc_co_u32_e32 v10, vcc, v12, v10, vcc
	v_ashrrev_i32_e32 v12, 31, v11
	v_lshlrev_b64 v[13:14], 2, v[11:12]
	v_add_u32_e32 v15, s13, v11
	v_mov_b32_e32 v12, s5
	v_add_co_u32_e32 v13, vcc, s4, v13
	v_ashrrev_i32_e32 v16, 31, v15
	v_addc_co_u32_e32 v14, vcc, v12, v14, vcc
	v_lshlrev_b64 v[11:12], 2, v[15:16]
	v_mov_b32_e32 v16, s5
	v_add_co_u32_e32 v11, vcc, s4, v11
	v_add_u32_e32 v15, s13, v15
	v_addc_co_u32_e32 v12, vcc, v16, v12, vcc
	v_ashrrev_i32_e32 v16, 31, v15
	v_lshlrev_b64 v[17:18], 2, v[15:16]
	v_add_u32_e32 v19, s13, v15
	v_mov_b32_e32 v16, s5
	v_add_co_u32_e32 v17, vcc, s4, v17
	v_ashrrev_i32_e32 v20, 31, v19
	v_addc_co_u32_e32 v18, vcc, v16, v18, vcc
	v_lshlrev_b64 v[15:16], 2, v[19:20]
	v_mov_b32_e32 v21, s5
	v_add_co_u32_e32 v15, vcc, s4, v15
	v_addc_co_u32_e32 v16, vcc, v21, v16, vcc
	v_add_u32_e32 v21, s13, v19
	v_ashrrev_i32_e32 v22, 31, v21
	v_lshlrev_b64 v[19:20], 2, v[21:22]
	v_add_u32_e32 v21, s13, v21
	v_mov_b32_e32 v23, s5
	v_add_co_u32_e32 v19, vcc, s4, v19
	v_ashrrev_i32_e32 v22, 31, v21
	v_addc_co_u32_e32 v20, vcc, v23, v20, vcc
	v_lshlrev_b64 v[23:24], 2, v[21:22]
	v_mov_b32_e32 v25, s5
	v_add_co_u32_e32 v23, vcc, s4, v23
	v_addc_co_u32_e32 v24, vcc, v25, v24, vcc
	v_add_u32_e32 v25, s13, v21
	v_ashrrev_i32_e32 v26, 31, v25
	v_lshlrev_b64 v[21:22], 2, v[25:26]
	v_mov_b32_e32 v27, s5
	v_add_co_u32_e32 v21, vcc, s4, v21
	v_addc_co_u32_e32 v22, vcc, v27, v22, vcc
	v_add_u32_e32 v27, s13, v25
	v_ashrrev_i32_e32 v28, 31, v27
	v_lshlrev_b64 v[25:26], 2, v[27:28]
	v_add_u32_e32 v27, s13, v27
	v_mov_b32_e32 v29, s5
	v_add_co_u32_e32 v25, vcc, s4, v25
	v_ashrrev_i32_e32 v28, 31, v27
	v_addc_co_u32_e32 v26, vcc, v29, v26, vcc
	v_lshlrev_b64 v[29:30], 2, v[27:28]
	v_mov_b32_e32 v31, s5
	v_add_co_u32_e32 v29, vcc, s4, v29
	v_addc_co_u32_e32 v30, vcc, v31, v30, vcc
	v_add_u32_e32 v31, s13, v27
	v_ashrrev_i32_e32 v32, 31, v31
	v_lshlrev_b64 v[27:28], 2, v[31:32]
	v_mov_b32_e32 v33, s5
	v_add_co_u32_e32 v27, vcc, s4, v27
	v_addc_co_u32_e32 v28, vcc, v33, v28, vcc
	v_add_u32_e32 v33, s13, v31
	v_ashrrev_i32_e32 v34, 31, v33
	;; [unrolled: 6-line block ×25, first 2 shown]
	v_lshlrev_b64 v[77:78], 2, v[79:80]
	v_mov_b32_e32 v81, s5
	v_add_co_u32_e32 v77, vcc, s4, v77
	v_addc_co_u32_e32 v78, vcc, v81, v78, vcc
	v_add_u32_e32 v81, s13, v79
	global_load_dword v113, v115, s[4:5]
	v_ashrrev_i32_e32 v82, 31, v81
	v_lshlrev_b64 v[79:80], 2, v[81:82]
	v_mov_b32_e32 v83, s5
	v_add_co_u32_e32 v79, vcc, s4, v79
	v_addc_co_u32_e32 v80, vcc, v83, v80, vcc
	v_add_u32_e32 v83, s13, v81
	v_ashrrev_i32_e32 v84, 31, v83
	v_lshlrev_b64 v[81:82], 2, v[83:84]
	v_mov_b32_e32 v85, s5
	v_add_co_u32_e32 v81, vcc, s4, v81
	v_addc_co_u32_e32 v82, vcc, v85, v82, vcc
	v_add_u32_e32 v85, s13, v83
	;; [unrolled: 6-line block ×14, first 2 shown]
	v_ashrrev_i32_e32 v110, 31, v109
	v_lshlrev_b64 v[107:108], 2, v[109:110]
	v_add_u32_e32 v109, s13, v109
	v_ashrrev_i32_e32 v110, 31, v109
	v_mov_b32_e32 v111, s5
	v_add_co_u32_e32 v107, vcc, s4, v107
	v_lshlrev_b64 v[109:110], 2, v[109:110]
	v_addc_co_u32_e32 v108, vcc, v111, v108, vcc
	v_add_co_u32_e32 v109, vcc, s4, v109
	v_addc_co_u32_e32 v110, vcc, v111, v110, vcc
	v_mov_b32_e32 v112, s5
	v_add_co_u32_e32 v111, vcc, s4, v115
	s_ashr_i32 s5, s13, 31
	s_mov_b32 s4, s13
	v_addc_co_u32_e32 v112, vcc, 0, v112, vcc
	s_lshl_b64 s[4:5], s[4:5], 2
	s_waitcnt vmcnt(0)
	buffer_store_dword v113, off, s[0:3], 0
	v_mov_b32_e32 v114, s5
	v_add_co_u32_e32 v113, vcc, s4, v111
	v_addc_co_u32_e32 v114, vcc, v112, v114, vcc
	global_load_dword v116, v[113:114], off
	global_load_dword v117, v[1:2], off
	global_load_dword v118, v[3:4], off
	global_load_dword v119, v[7:8], off
	global_load_dword v120, v[5:6], off
	global_load_dword v121, v[9:10], off
	global_load_dword v122, v[13:14], off
	global_load_dword v123, v[11:12], off
	s_waitcnt vmcnt(7)
	buffer_store_dword v116, off, s[0:3], 0 offset:4
	s_waitcnt vmcnt(7)
	buffer_store_dword v117, off, s[0:3], 0 offset:8
	s_waitcnt vmcnt(7)
	buffer_store_dword v118, off, s[0:3], 0 offset:12
	s_waitcnt vmcnt(7)
	buffer_store_dword v119, off, s[0:3], 0 offset:16
	s_waitcnt vmcnt(7)
	buffer_store_dword v120, off, s[0:3], 0 offset:20
	s_waitcnt vmcnt(7)
	buffer_store_dword v121, off, s[0:3], 0 offset:24
	s_waitcnt vmcnt(7)
	buffer_store_dword v122, off, s[0:3], 0 offset:28
	s_waitcnt vmcnt(7)
	buffer_store_dword v123, off, s[0:3], 0 offset:32
	global_load_dword v116, v[17:18], off
	global_load_dword v117, v[15:16], off
	global_load_dword v118, v[19:20], off
	global_load_dword v119, v[23:24], off
	global_load_dword v120, v[21:22], off
	global_load_dword v121, v[25:26], off
	global_load_dword v122, v[29:30], off
	global_load_dword v123, v[27:28], off
	s_waitcnt vmcnt(7)
	buffer_store_dword v116, off, s[0:3], 0 offset:36
	s_waitcnt vmcnt(7)
	buffer_store_dword v117, off, s[0:3], 0 offset:40
	s_waitcnt vmcnt(7)
	buffer_store_dword v118, off, s[0:3], 0 offset:44
	s_waitcnt vmcnt(7)
	buffer_store_dword v119, off, s[0:3], 0 offset:48
	s_waitcnt vmcnt(7)
	buffer_store_dword v120, off, s[0:3], 0 offset:52
	s_waitcnt vmcnt(7)
	buffer_store_dword v121, off, s[0:3], 0 offset:56
	s_waitcnt vmcnt(7)
	buffer_store_dword v122, off, s[0:3], 0 offset:60
	s_waitcnt vmcnt(7)
	buffer_store_dword v123, off, s[0:3], 0 offset:64
	;; [unrolled: 24-line block ×6, first 2 shown]
	global_load_dword v116, v[95:96], off
	global_load_dword v117, v[97:98], off
	;; [unrolled: 1-line block ×8, first 2 shown]
	s_cmpk_lg_i32 s9, 0x84
	s_waitcnt vmcnt(7)
	buffer_store_dword v116, off, s[0:3], 0 offset:196
	s_waitcnt vmcnt(7)
	buffer_store_dword v117, off, s[0:3], 0 offset:200
	;; [unrolled: 2-line block ×8, first 2 shown]
	s_movk_i32 s12, 0x84
	s_cselect_b64 s[10:11], -1, 0
	s_cmpk_eq_i32 s9, 0x84
	v_mov_b32_e32 v116, -1.0
	s_cbranch_scc1 .LBB56_3
; %bb.2:
	v_mov_b32_e32 v116, 0
	v_lshl_add_u32 v116, v0, 2, v116
	buffer_load_dword v117, v116, s[0:3], 0 offen
	s_waitcnt vmcnt(0)
	v_div_scale_f32 v118, s[4:5], v117, v117, 1.0
	v_div_scale_f32 v119, vcc, 1.0, v117, 1.0
	v_rcp_f32_e32 v120, v118
	v_fma_f32 v121, -v118, v120, 1.0
	v_fmac_f32_e32 v120, v121, v120
	v_mul_f32_e32 v121, v119, v120
	v_fma_f32 v122, -v118, v121, v119
	v_fmac_f32_e32 v121, v122, v120
	v_fma_f32 v118, -v118, v121, v119
	v_div_fmas_f32 v118, v118, v120, v121
	v_div_fixup_f32 v117, v118, v117, 1.0
	buffer_store_dword v117, v116, s[0:3], 0 offen
	v_xor_b32_e32 v116, 0x80000000, v117
.LBB56_3:
	ds_write_b32 v115, v116
	s_cmpk_eq_i32 s8, 0x79
	v_add_u32_e32 v116, 0xf0, v115
	v_mov_b32_e32 v117, v115
	s_mov_b64 s[4:5], -1
	s_cbranch_scc1 .LBB56_557
; %bb.4:
	buffer_load_dword v118, off, s[0:3], 0 offset:220
	s_movk_i32 s30, 0x44
	s_movk_i32 s31, 0x48
	;; [unrolled: 1-line block ×37, first 2 shown]
	v_cmp_eq_u32_e64 s[4:5], 56, v0
	s_waitcnt vmcnt(0)
	ds_write_b32 v116, v118
	s_waitcnt lgkmcnt(0)
	; wave barrier
	s_and_saveexec_b64 s[6:7], s[4:5]
	s_cbranch_execz .LBB56_10
; %bb.5:
	s_and_b64 vcc, exec, s[10:11]
	s_cbranch_vccz .LBB56_7
; %bb.6:
	buffer_load_dword v118, v117, s[0:3], 0 offen
	ds_read_b32 v119, v116
	s_waitcnt vmcnt(0) lgkmcnt(0)
	v_mul_f32_e32 v118, v118, v119
	s_cbranch_execz .LBB56_8
	s_branch .LBB56_9
.LBB56_7:
                                        ; implicit-def: $vgpr118
.LBB56_8:
	ds_read_b32 v118, v116
.LBB56_9:
	v_mov_b32_e32 v119, 0
	ds_read_b32 v119, v119 offset:220
	s_waitcnt lgkmcnt(0)
	v_mul_f32_e32 v118, v118, v119
	buffer_store_dword v118, off, s[0:3], 0 offset:220
.LBB56_10:
	s_or_b64 exec, exec, s[6:7]
	buffer_load_dword v118, off, s[0:3], 0 offset:216
	s_or_b32 s14, 0, 4
	s_or_b32 s15, 0, 8
	;; [unrolled: 1-line block ×3, first 2 shown]
	s_mov_b32 s17, 16
	s_mov_b32 s18, 20
	;; [unrolled: 1-line block ×15, first 2 shown]
	v_cmp_lt_u32_e64 s[6:7], 54, v0
	s_waitcnt vmcnt(0)
	ds_write_b32 v116, v118
	s_waitcnt lgkmcnt(0)
	; wave barrier
	s_and_saveexec_b64 s[8:9], s[6:7]
	s_cbranch_execz .LBB56_16
; %bb.11:
	s_andn2_b64 vcc, exec, s[10:11]
	s_cbranch_vccnz .LBB56_13
; %bb.12:
	buffer_load_dword v118, v117, s[0:3], 0 offen
	ds_read_b32 v119, v116
	s_waitcnt vmcnt(0) lgkmcnt(0)
	v_mul_f32_e32 v118, v118, v119
	s_cbranch_execz .LBB56_14
	s_branch .LBB56_15
.LBB56_13:
                                        ; implicit-def: $vgpr118
.LBB56_14:
	ds_read_b32 v118, v116
.LBB56_15:
	buffer_load_dword v121, off, s[0:3], 0 offset:220
	v_mov_b32_e32 v119, 0
	ds_read2_b32 v[119:120], v119 offset0:54 offset1:115
	s_waitcnt vmcnt(0) lgkmcnt(0)
	v_fma_f32 v120, v121, v120, v118
	v_cndmask_b32_e64 v118, v118, v120, s[4:5]
	v_mul_f32_e32 v118, v118, v119
	buffer_store_dword v118, off, s[0:3], 0 offset:216
.LBB56_16:
	s_or_b64 exec, exec, s[8:9]
	buffer_load_dword v118, off, s[0:3], 0 offset:212
	v_cmp_lt_u32_e64 s[4:5], 53, v0
	s_waitcnt vmcnt(0)
	ds_write_b32 v116, v118
	s_waitcnt lgkmcnt(0)
	; wave barrier
	s_and_saveexec_b64 s[8:9], s[4:5]
	s_cbranch_execz .LBB56_26
; %bb.17:
	s_andn2_b64 vcc, exec, s[10:11]
	s_cbranch_vccnz .LBB56_19
; %bb.18:
	buffer_load_dword v118, v117, s[0:3], 0 offen
	ds_read_b32 v119, v116
	s_waitcnt vmcnt(0) lgkmcnt(0)
	v_mul_f32_e32 v118, v118, v119
	s_cbranch_execz .LBB56_20
	s_branch .LBB56_21
.LBB56_19:
                                        ; implicit-def: $vgpr118
.LBB56_20:
	ds_read_b32 v118, v116
.LBB56_21:
	s_and_saveexec_b64 s[12:13], s[6:7]
	s_cbranch_execz .LBB56_25
; %bb.22:
	v_subrev_u32_e32 v119, 54, v0
	s_movk_i32 s69, 0x1c8
	s_mov_b64 s[6:7], 0
.LBB56_23:                              ; =>This Inner Loop Header: Depth=1
	v_mov_b32_e32 v120, s68
	buffer_load_dword v120, v120, s[0:3], 0 offen
	v_mov_b32_e32 v121, s69
	ds_read_b32 v121, v121
	v_add_u32_e32 v119, -1, v119
	s_add_i32 s69, s69, 4
	s_add_i32 s68, s68, 4
	v_cmp_eq_u32_e32 vcc, 0, v119
	s_or_b64 s[6:7], vcc, s[6:7]
	s_waitcnt vmcnt(0) lgkmcnt(0)
	v_fmac_f32_e32 v118, v120, v121
	s_andn2_b64 exec, exec, s[6:7]
	s_cbranch_execnz .LBB56_23
; %bb.24:
	s_or_b64 exec, exec, s[6:7]
.LBB56_25:
	s_or_b64 exec, exec, s[12:13]
	v_mov_b32_e32 v119, 0
	ds_read_b32 v119, v119 offset:212
	s_waitcnt lgkmcnt(0)
	v_mul_f32_e32 v118, v118, v119
	buffer_store_dword v118, off, s[0:3], 0 offset:212
.LBB56_26:
	s_or_b64 exec, exec, s[8:9]
	buffer_load_dword v118, off, s[0:3], 0 offset:208
	v_cmp_lt_u32_e64 s[6:7], 52, v0
	s_waitcnt vmcnt(0)
	ds_write_b32 v116, v118
	s_waitcnt lgkmcnt(0)
	; wave barrier
	s_and_saveexec_b64 s[8:9], s[6:7]
	s_cbranch_execz .LBB56_36
; %bb.27:
	s_andn2_b64 vcc, exec, s[10:11]
	s_cbranch_vccnz .LBB56_29
; %bb.28:
	buffer_load_dword v118, v117, s[0:3], 0 offen
	ds_read_b32 v119, v116
	s_waitcnt vmcnt(0) lgkmcnt(0)
	v_mul_f32_e32 v118, v118, v119
	s_cbranch_execz .LBB56_30
	s_branch .LBB56_31
.LBB56_29:
                                        ; implicit-def: $vgpr118
.LBB56_30:
	ds_read_b32 v118, v116
.LBB56_31:
	s_and_saveexec_b64 s[12:13], s[4:5]
	s_cbranch_execz .LBB56_35
; %bb.32:
	v_subrev_u32_e32 v119, 53, v0
	s_movk_i32 s68, 0x1c4
	s_mov_b64 s[4:5], 0
.LBB56_33:                              ; =>This Inner Loop Header: Depth=1
	v_mov_b32_e32 v120, s67
	buffer_load_dword v120, v120, s[0:3], 0 offen
	v_mov_b32_e32 v121, s68
	ds_read_b32 v121, v121
	v_add_u32_e32 v119, -1, v119
	s_add_i32 s68, s68, 4
	s_add_i32 s67, s67, 4
	v_cmp_eq_u32_e32 vcc, 0, v119
	s_or_b64 s[4:5], vcc, s[4:5]
	s_waitcnt vmcnt(0) lgkmcnt(0)
	v_fmac_f32_e32 v118, v120, v121
	s_andn2_b64 exec, exec, s[4:5]
	s_cbranch_execnz .LBB56_33
; %bb.34:
	s_or_b64 exec, exec, s[4:5]
.LBB56_35:
	s_or_b64 exec, exec, s[12:13]
	v_mov_b32_e32 v119, 0
	ds_read_b32 v119, v119 offset:208
	s_waitcnt lgkmcnt(0)
	v_mul_f32_e32 v118, v118, v119
	buffer_store_dword v118, off, s[0:3], 0 offset:208
.LBB56_36:
	;; [unrolled: 54-line block ×8, first 2 shown]
	s_or_b64 exec, exec, s[8:9]
	buffer_load_dword v118, off, s[0:3], 0 offset:180
	v_cmp_lt_u32_e64 s[4:5], 45, v0
	s_waitcnt vmcnt(0)
	ds_write_b32 v116, v118
	s_waitcnt lgkmcnt(0)
	; wave barrier
	s_and_saveexec_b64 s[8:9], s[4:5]
	s_cbranch_execz .LBB56_106
; %bb.97:
	s_andn2_b64 vcc, exec, s[10:11]
	s_cbranch_vccnz .LBB56_99
; %bb.98:
	buffer_load_dword v118, v117, s[0:3], 0 offen
	ds_read_b32 v119, v116
	s_waitcnt vmcnt(0) lgkmcnt(0)
	v_mul_f32_e32 v118, v118, v119
	s_cbranch_execz .LBB56_100
	s_branch .LBB56_101
.LBB56_99:
                                        ; implicit-def: $vgpr118
.LBB56_100:
	ds_read_b32 v118, v116
.LBB56_101:
	s_and_saveexec_b64 s[12:13], s[6:7]
	s_cbranch_execz .LBB56_105
; %bb.102:
	v_subrev_u32_e32 v119, 46, v0
	s_movk_i32 s61, 0x1a8
	s_mov_b64 s[6:7], 0
.LBB56_103:                             ; =>This Inner Loop Header: Depth=1
	v_mov_b32_e32 v120, s60
	buffer_load_dword v120, v120, s[0:3], 0 offen
	v_mov_b32_e32 v121, s61
	ds_read_b32 v121, v121
	v_add_u32_e32 v119, -1, v119
	s_add_i32 s61, s61, 4
	s_add_i32 s60, s60, 4
	v_cmp_eq_u32_e32 vcc, 0, v119
	s_or_b64 s[6:7], vcc, s[6:7]
	s_waitcnt vmcnt(0) lgkmcnt(0)
	v_fmac_f32_e32 v118, v120, v121
	s_andn2_b64 exec, exec, s[6:7]
	s_cbranch_execnz .LBB56_103
; %bb.104:
	s_or_b64 exec, exec, s[6:7]
.LBB56_105:
	s_or_b64 exec, exec, s[12:13]
	v_mov_b32_e32 v119, 0
	ds_read_b32 v119, v119 offset:180
	s_waitcnt lgkmcnt(0)
	v_mul_f32_e32 v118, v118, v119
	buffer_store_dword v118, off, s[0:3], 0 offset:180
.LBB56_106:
	s_or_b64 exec, exec, s[8:9]
	buffer_load_dword v118, off, s[0:3], 0 offset:176
	v_cmp_lt_u32_e64 s[6:7], 44, v0
	s_waitcnt vmcnt(0)
	ds_write_b32 v116, v118
	s_waitcnt lgkmcnt(0)
	; wave barrier
	s_and_saveexec_b64 s[8:9], s[6:7]
	s_cbranch_execz .LBB56_116
; %bb.107:
	s_andn2_b64 vcc, exec, s[10:11]
	s_cbranch_vccnz .LBB56_109
; %bb.108:
	buffer_load_dword v118, v117, s[0:3], 0 offen
	ds_read_b32 v119, v116
	s_waitcnt vmcnt(0) lgkmcnt(0)
	v_mul_f32_e32 v118, v118, v119
	s_cbranch_execz .LBB56_110
	s_branch .LBB56_111
.LBB56_109:
                                        ; implicit-def: $vgpr118
.LBB56_110:
	ds_read_b32 v118, v116
.LBB56_111:
	s_and_saveexec_b64 s[12:13], s[4:5]
	s_cbranch_execz .LBB56_115
; %bb.112:
	v_subrev_u32_e32 v119, 45, v0
	s_movk_i32 s60, 0x1a4
	s_mov_b64 s[4:5], 0
.LBB56_113:                             ; =>This Inner Loop Header: Depth=1
	v_mov_b32_e32 v120, s59
	buffer_load_dword v120, v120, s[0:3], 0 offen
	v_mov_b32_e32 v121, s60
	ds_read_b32 v121, v121
	v_add_u32_e32 v119, -1, v119
	s_add_i32 s60, s60, 4
	s_add_i32 s59, s59, 4
	v_cmp_eq_u32_e32 vcc, 0, v119
	s_or_b64 s[4:5], vcc, s[4:5]
	s_waitcnt vmcnt(0) lgkmcnt(0)
	v_fmac_f32_e32 v118, v120, v121
	s_andn2_b64 exec, exec, s[4:5]
	s_cbranch_execnz .LBB56_113
; %bb.114:
	s_or_b64 exec, exec, s[4:5]
.LBB56_115:
	s_or_b64 exec, exec, s[12:13]
	v_mov_b32_e32 v119, 0
	ds_read_b32 v119, v119 offset:176
	s_waitcnt lgkmcnt(0)
	v_mul_f32_e32 v118, v118, v119
	buffer_store_dword v118, off, s[0:3], 0 offset:176
.LBB56_116:
	;; [unrolled: 54-line block ×30, first 2 shown]
	s_or_b64 exec, exec, s[8:9]
	buffer_load_dword v118, off, s[0:3], 0 offset:60
	v_cmp_lt_u32_e64 s[4:5], 15, v0
	s_waitcnt vmcnt(0)
	ds_write_b32 v116, v118
	s_waitcnt lgkmcnt(0)
	; wave barrier
	s_and_saveexec_b64 s[8:9], s[4:5]
	s_cbranch_execz .LBB56_406
; %bb.397:
	s_andn2_b64 vcc, exec, s[10:11]
	s_cbranch_vccnz .LBB56_399
; %bb.398:
	buffer_load_dword v118, v117, s[0:3], 0 offen
	ds_read_b32 v119, v116
	s_waitcnt vmcnt(0) lgkmcnt(0)
	v_mul_f32_e32 v118, v118, v119
	s_cbranch_execz .LBB56_400
	s_branch .LBB56_401
.LBB56_399:
                                        ; implicit-def: $vgpr118
.LBB56_400:
	ds_read_b32 v118, v116
.LBB56_401:
	s_and_saveexec_b64 s[12:13], s[6:7]
	s_cbranch_execz .LBB56_405
; %bb.402:
	v_add_u32_e32 v119, -16, v0
	s_movk_i32 s30, 0x130
	s_mov_b64 s[6:7], 0
.LBB56_403:                             ; =>This Inner Loop Header: Depth=1
	v_mov_b32_e32 v120, s29
	buffer_load_dword v120, v120, s[0:3], 0 offen
	v_mov_b32_e32 v121, s30
	ds_read_b32 v121, v121
	v_add_u32_e32 v119, -1, v119
	s_add_i32 s30, s30, 4
	s_add_i32 s29, s29, 4
	v_cmp_eq_u32_e32 vcc, 0, v119
	s_or_b64 s[6:7], vcc, s[6:7]
	s_waitcnt vmcnt(0) lgkmcnt(0)
	v_fmac_f32_e32 v118, v120, v121
	s_andn2_b64 exec, exec, s[6:7]
	s_cbranch_execnz .LBB56_403
; %bb.404:
	s_or_b64 exec, exec, s[6:7]
.LBB56_405:
	s_or_b64 exec, exec, s[12:13]
	v_mov_b32_e32 v119, 0
	ds_read_b32 v119, v119 offset:60
	s_waitcnt lgkmcnt(0)
	v_mul_f32_e32 v118, v118, v119
	buffer_store_dword v118, off, s[0:3], 0 offset:60
.LBB56_406:
	s_or_b64 exec, exec, s[8:9]
	buffer_load_dword v118, off, s[0:3], 0 offset:56
	v_cmp_lt_u32_e64 s[6:7], 14, v0
	s_waitcnt vmcnt(0)
	ds_write_b32 v116, v118
	s_waitcnt lgkmcnt(0)
	; wave barrier
	s_and_saveexec_b64 s[8:9], s[6:7]
	s_cbranch_execz .LBB56_416
; %bb.407:
	s_andn2_b64 vcc, exec, s[10:11]
	s_cbranch_vccnz .LBB56_409
; %bb.408:
	buffer_load_dword v118, v117, s[0:3], 0 offen
	ds_read_b32 v119, v116
	s_waitcnt vmcnt(0) lgkmcnt(0)
	v_mul_f32_e32 v118, v118, v119
	s_cbranch_execz .LBB56_410
	s_branch .LBB56_411
.LBB56_409:
                                        ; implicit-def: $vgpr118
.LBB56_410:
	ds_read_b32 v118, v116
.LBB56_411:
	s_and_saveexec_b64 s[12:13], s[4:5]
	s_cbranch_execz .LBB56_415
; %bb.412:
	v_add_u32_e32 v119, -15, v0
	s_movk_i32 s29, 0x12c
	s_mov_b64 s[4:5], 0
.LBB56_413:                             ; =>This Inner Loop Header: Depth=1
	v_mov_b32_e32 v120, s28
	buffer_load_dword v120, v120, s[0:3], 0 offen
	v_mov_b32_e32 v121, s29
	ds_read_b32 v121, v121
	v_add_u32_e32 v119, -1, v119
	s_add_i32 s29, s29, 4
	s_add_i32 s28, s28, 4
	v_cmp_eq_u32_e32 vcc, 0, v119
	s_or_b64 s[4:5], vcc, s[4:5]
	s_waitcnt vmcnt(0) lgkmcnt(0)
	v_fmac_f32_e32 v118, v120, v121
	s_andn2_b64 exec, exec, s[4:5]
	s_cbranch_execnz .LBB56_413
; %bb.414:
	s_or_b64 exec, exec, s[4:5]
.LBB56_415:
	s_or_b64 exec, exec, s[12:13]
	v_mov_b32_e32 v119, 0
	ds_read_b32 v119, v119 offset:56
	s_waitcnt lgkmcnt(0)
	v_mul_f32_e32 v118, v118, v119
	buffer_store_dword v118, off, s[0:3], 0 offset:56
.LBB56_416:
	;; [unrolled: 54-line block ×15, first 2 shown]
	s_or_b64 exec, exec, s[8:9]
	buffer_load_dword v118, off, s[0:3], 0
	v_cmp_ne_u32_e32 vcc, 0, v0
	s_waitcnt vmcnt(0)
	ds_write_b32 v116, v118
	s_waitcnt lgkmcnt(0)
	; wave barrier
	s_and_saveexec_b64 s[6:7], vcc
	s_cbranch_execz .LBB56_556
; %bb.547:
	s_andn2_b64 vcc, exec, s[10:11]
	s_cbranch_vccnz .LBB56_549
; %bb.548:
	buffer_load_dword v118, v117, s[0:3], 0 offen
	ds_read_b32 v119, v116
	s_waitcnt vmcnt(0) lgkmcnt(0)
	v_mul_f32_e32 v118, v118, v119
	s_cbranch_execz .LBB56_550
	s_branch .LBB56_551
.LBB56_549:
                                        ; implicit-def: $vgpr118
.LBB56_550:
	ds_read_b32 v118, v116
.LBB56_551:
	s_and_saveexec_b64 s[8:9], s[4:5]
	s_cbranch_execz .LBB56_555
; %bb.552:
	v_add_u32_e32 v119, -1, v0
	s_movk_i32 s12, 0xf4
	s_mov_b64 s[4:5], 0
.LBB56_553:                             ; =>This Inner Loop Header: Depth=1
	v_mov_b32_e32 v120, s14
	buffer_load_dword v120, v120, s[0:3], 0 offen
	v_mov_b32_e32 v121, s12
	ds_read_b32 v121, v121
	v_add_u32_e32 v119, -1, v119
	s_add_i32 s12, s12, 4
	s_add_i32 s14, s14, 4
	v_cmp_eq_u32_e32 vcc, 0, v119
	s_or_b64 s[4:5], vcc, s[4:5]
	s_waitcnt vmcnt(0) lgkmcnt(0)
	v_fmac_f32_e32 v118, v120, v121
	s_andn2_b64 exec, exec, s[4:5]
	s_cbranch_execnz .LBB56_553
; %bb.554:
	s_or_b64 exec, exec, s[4:5]
.LBB56_555:
	s_or_b64 exec, exec, s[8:9]
	v_mov_b32_e32 v119, 0
	ds_read_b32 v119, v119
	s_waitcnt lgkmcnt(0)
	v_mul_f32_e32 v118, v118, v119
	buffer_store_dword v118, off, s[0:3], 0
.LBB56_556:
	s_or_b64 exec, exec, s[6:7]
	s_mov_b64 s[4:5], 0
.LBB56_557:
	s_and_b64 vcc, exec, s[4:5]
	s_cbranch_vccz .LBB56_1109
; %bb.558:
	buffer_load_dword v118, off, s[0:3], 0 offset:4
	v_cmp_eq_u32_e64 s[6:7], 0, v0
	s_waitcnt vmcnt(0)
	ds_write_b32 v116, v118
	s_waitcnt lgkmcnt(0)
	; wave barrier
	s_and_saveexec_b64 s[4:5], s[6:7]
	s_cbranch_execz .LBB56_564
; %bb.559:
	s_and_b64 vcc, exec, s[10:11]
	s_cbranch_vccz .LBB56_561
; %bb.560:
	buffer_load_dword v118, v117, s[0:3], 0 offen
	ds_read_b32 v119, v116
	s_waitcnt vmcnt(0) lgkmcnt(0)
	v_mul_f32_e32 v118, v118, v119
	s_cbranch_execz .LBB56_562
	s_branch .LBB56_563
.LBB56_561:
                                        ; implicit-def: $vgpr118
.LBB56_562:
	ds_read_b32 v118, v116
.LBB56_563:
	v_mov_b32_e32 v119, 0
	ds_read_b32 v119, v119 offset:4
	s_waitcnt lgkmcnt(0)
	v_mul_f32_e32 v118, v118, v119
	buffer_store_dword v118, off, s[0:3], 0 offset:4
.LBB56_564:
	s_or_b64 exec, exec, s[4:5]
	buffer_load_dword v118, off, s[0:3], 0 offset:8
	v_cndmask_b32_e64 v119, 0, 1, s[10:11]
	v_cmp_gt_u32_e32 vcc, 2, v0
	v_cmp_ne_u32_e64 s[4:5], 1, v119
	s_waitcnt vmcnt(0)
	ds_write_b32 v116, v118
	s_waitcnt lgkmcnt(0)
	; wave barrier
	s_and_saveexec_b64 s[8:9], vcc
	s_cbranch_execz .LBB56_570
; %bb.565:
	s_and_b64 vcc, exec, s[4:5]
	s_cbranch_vccnz .LBB56_567
; %bb.566:
	buffer_load_dword v118, v117, s[0:3], 0 offen
	ds_read_b32 v119, v116
	s_waitcnt vmcnt(0) lgkmcnt(0)
	v_mul_f32_e32 v118, v118, v119
	s_cbranch_execz .LBB56_568
	s_branch .LBB56_569
.LBB56_567:
                                        ; implicit-def: $vgpr118
.LBB56_568:
	ds_read_b32 v118, v116
.LBB56_569:
	buffer_load_dword v121, off, s[0:3], 0 offset:4
	v_mov_b32_e32 v119, 0
	ds_read2_b32 v[119:120], v119 offset0:2 offset1:61
	s_waitcnt vmcnt(0) lgkmcnt(0)
	v_fma_f32 v120, v121, v120, v118
	v_cndmask_b32_e64 v118, v118, v120, s[6:7]
	v_mul_f32_e32 v118, v118, v119
	buffer_store_dword v118, off, s[0:3], 0 offset:8
.LBB56_570:
	s_or_b64 exec, exec, s[8:9]
	buffer_load_dword v118, off, s[0:3], 0 offset:12
	v_cmp_gt_u32_e32 vcc, 3, v0
	s_waitcnt vmcnt(0)
	ds_write_b32 v116, v118
	s_waitcnt lgkmcnt(0)
	; wave barrier
	s_and_saveexec_b64 s[8:9], vcc
	s_cbranch_execz .LBB56_578
; %bb.571:
	s_and_b64 vcc, exec, s[4:5]
	s_cbranch_vccnz .LBB56_573
; %bb.572:
	buffer_load_dword v118, v117, s[0:3], 0 offen
	ds_read_b32 v119, v116
	s_waitcnt vmcnt(0) lgkmcnt(0)
	v_mul_f32_e32 v118, v118, v119
	s_cbranch_execz .LBB56_574
	s_branch .LBB56_575
.LBB56_573:
                                        ; implicit-def: $vgpr118
.LBB56_574:
	ds_read_b32 v118, v116
.LBB56_575:
	v_cmp_ne_u32_e32 vcc, 2, v0
	s_and_saveexec_b64 s[10:11], vcc
	s_cbranch_execz .LBB56_577
; %bb.576:
	buffer_load_dword v119, v117, s[0:3], 0 offen offset:4
	buffer_load_dword v120, off, s[0:3], 0 offset:8
	v_mov_b32_e32 v121, 0
	ds_read_b32 v122, v116 offset:4
	ds_read_b32 v121, v121 offset:248
	s_waitcnt vmcnt(1) lgkmcnt(1)
	v_fmac_f32_e32 v118, v119, v122
	s_waitcnt vmcnt(0) lgkmcnt(0)
	v_fma_f32 v119, v120, v121, v118
	v_cndmask_b32_e64 v118, v118, v119, s[6:7]
.LBB56_577:
	s_or_b64 exec, exec, s[10:11]
	v_mov_b32_e32 v119, 0
	ds_read_b32 v119, v119 offset:12
	s_waitcnt lgkmcnt(0)
	v_mul_f32_e32 v118, v118, v119
	buffer_store_dword v118, off, s[0:3], 0 offset:12
.LBB56_578:
	s_or_b64 exec, exec, s[8:9]
	buffer_load_dword v118, off, s[0:3], 0 offset:16
	v_cmp_gt_u32_e32 vcc, 4, v0
	s_waitcnt vmcnt(0)
	ds_write_b32 v116, v118
	s_waitcnt lgkmcnt(0)
	; wave barrier
	s_and_saveexec_b64 s[6:7], vcc
	s_cbranch_execz .LBB56_588
; %bb.579:
	s_and_b64 vcc, exec, s[4:5]
	s_cbranch_vccnz .LBB56_581
; %bb.580:
	buffer_load_dword v118, v117, s[0:3], 0 offen
	ds_read_b32 v119, v116
	s_waitcnt vmcnt(0) lgkmcnt(0)
	v_mul_f32_e32 v118, v118, v119
	s_cbranch_execz .LBB56_582
	s_branch .LBB56_583
.LBB56_581:
                                        ; implicit-def: $vgpr118
.LBB56_582:
	ds_read_b32 v118, v116
.LBB56_583:
	v_cmp_ne_u32_e32 vcc, 3, v0
	s_and_saveexec_b64 s[8:9], vcc
	s_cbranch_execz .LBB56_587
; %bb.584:
	s_mov_b32 s10, 0
	v_add_u32_e32 v119, 0xf4, v115
	v_add3_u32 v120, v115, s10, 4
	s_mov_b64 s[10:11], 0
	v_mov_b32_e32 v121, v0
.LBB56_585:                             ; =>This Inner Loop Header: Depth=1
	buffer_load_dword v122, v120, s[0:3], 0 offen
	ds_read_b32 v123, v119
	v_add_u32_e32 v121, 1, v121
	v_cmp_lt_u32_e32 vcc, 2, v121
	v_add_u32_e32 v119, 4, v119
	v_add_u32_e32 v120, 4, v120
	s_or_b64 s[10:11], vcc, s[10:11]
	s_waitcnt vmcnt(0) lgkmcnt(0)
	v_fmac_f32_e32 v118, v122, v123
	s_andn2_b64 exec, exec, s[10:11]
	s_cbranch_execnz .LBB56_585
; %bb.586:
	s_or_b64 exec, exec, s[10:11]
.LBB56_587:
	s_or_b64 exec, exec, s[8:9]
	v_mov_b32_e32 v119, 0
	ds_read_b32 v119, v119 offset:16
	s_waitcnt lgkmcnt(0)
	v_mul_f32_e32 v118, v118, v119
	buffer_store_dword v118, off, s[0:3], 0 offset:16
.LBB56_588:
	s_or_b64 exec, exec, s[6:7]
	buffer_load_dword v118, off, s[0:3], 0 offset:20
	v_cmp_gt_u32_e32 vcc, 5, v0
	s_waitcnt vmcnt(0)
	ds_write_b32 v116, v118
	s_waitcnt lgkmcnt(0)
	; wave barrier
	s_and_saveexec_b64 s[6:7], vcc
	s_cbranch_execz .LBB56_598
; %bb.589:
	s_and_b64 vcc, exec, s[4:5]
	s_cbranch_vccnz .LBB56_591
; %bb.590:
	buffer_load_dword v118, v117, s[0:3], 0 offen
	ds_read_b32 v119, v116
	s_waitcnt vmcnt(0) lgkmcnt(0)
	v_mul_f32_e32 v118, v118, v119
	s_cbranch_execz .LBB56_592
	s_branch .LBB56_593
.LBB56_591:
                                        ; implicit-def: $vgpr118
.LBB56_592:
	ds_read_b32 v118, v116
.LBB56_593:
	v_cmp_ne_u32_e32 vcc, 4, v0
	s_and_saveexec_b64 s[8:9], vcc
	s_cbranch_execz .LBB56_597
; %bb.594:
	s_mov_b32 s10, 0
	v_add_u32_e32 v119, 0xf4, v115
	v_add3_u32 v120, v115, s10, 4
	s_mov_b64 s[10:11], 0
	v_mov_b32_e32 v121, v0
.LBB56_595:                             ; =>This Inner Loop Header: Depth=1
	buffer_load_dword v122, v120, s[0:3], 0 offen
	ds_read_b32 v123, v119
	v_add_u32_e32 v121, 1, v121
	v_cmp_lt_u32_e32 vcc, 3, v121
	v_add_u32_e32 v119, 4, v119
	v_add_u32_e32 v120, 4, v120
	s_or_b64 s[10:11], vcc, s[10:11]
	s_waitcnt vmcnt(0) lgkmcnt(0)
	v_fmac_f32_e32 v118, v122, v123
	s_andn2_b64 exec, exec, s[10:11]
	s_cbranch_execnz .LBB56_595
; %bb.596:
	s_or_b64 exec, exec, s[10:11]
.LBB56_597:
	s_or_b64 exec, exec, s[8:9]
	v_mov_b32_e32 v119, 0
	ds_read_b32 v119, v119 offset:20
	s_waitcnt lgkmcnt(0)
	v_mul_f32_e32 v118, v118, v119
	buffer_store_dword v118, off, s[0:3], 0 offset:20
.LBB56_598:
	;; [unrolled: 55-line block ×42, first 2 shown]
	s_or_b64 exec, exec, s[6:7]
	buffer_load_dword v118, off, s[0:3], 0 offset:184
	v_cmp_gt_u32_e32 vcc, 46, v0
	s_waitcnt vmcnt(0)
	ds_write_b32 v116, v118
	s_waitcnt lgkmcnt(0)
	; wave barrier
	s_and_saveexec_b64 s[6:7], vcc
	s_cbranch_execz .LBB56_1008
; %bb.999:
	s_and_b64 vcc, exec, s[4:5]
	s_cbranch_vccnz .LBB56_1001
; %bb.1000:
	buffer_load_dword v118, v117, s[0:3], 0 offen
	ds_read_b32 v119, v116
	s_waitcnt vmcnt(0) lgkmcnt(0)
	v_mul_f32_e32 v118, v118, v119
	s_cbranch_execz .LBB56_1002
	s_branch .LBB56_1003
.LBB56_1001:
                                        ; implicit-def: $vgpr118
.LBB56_1002:
	ds_read_b32 v118, v116
.LBB56_1003:
	v_cmp_ne_u32_e32 vcc, 45, v0
	s_and_saveexec_b64 s[8:9], vcc
	s_cbranch_execz .LBB56_1007
; %bb.1004:
	s_mov_b32 s10, 0
	v_add_u32_e32 v119, 0xf4, v115
	v_add3_u32 v120, v115, s10, 4
	s_mov_b64 s[10:11], 0
	v_mov_b32_e32 v121, v0
.LBB56_1005:                            ; =>This Inner Loop Header: Depth=1
	buffer_load_dword v122, v120, s[0:3], 0 offen
	ds_read_b32 v123, v119
	v_add_u32_e32 v121, 1, v121
	v_cmp_lt_u32_e32 vcc, 44, v121
	v_add_u32_e32 v119, 4, v119
	v_add_u32_e32 v120, 4, v120
	s_or_b64 s[10:11], vcc, s[10:11]
	s_waitcnt vmcnt(0) lgkmcnt(0)
	v_fmac_f32_e32 v118, v122, v123
	s_andn2_b64 exec, exec, s[10:11]
	s_cbranch_execnz .LBB56_1005
; %bb.1006:
	s_or_b64 exec, exec, s[10:11]
.LBB56_1007:
	s_or_b64 exec, exec, s[8:9]
	v_mov_b32_e32 v119, 0
	ds_read_b32 v119, v119 offset:184
	s_waitcnt lgkmcnt(0)
	v_mul_f32_e32 v118, v118, v119
	buffer_store_dword v118, off, s[0:3], 0 offset:184
.LBB56_1008:
	s_or_b64 exec, exec, s[6:7]
	buffer_load_dword v118, off, s[0:3], 0 offset:188
	v_cmp_gt_u32_e32 vcc, 47, v0
	s_waitcnt vmcnt(0)
	ds_write_b32 v116, v118
	s_waitcnt lgkmcnt(0)
	; wave barrier
	s_and_saveexec_b64 s[6:7], vcc
	s_cbranch_execz .LBB56_1018
; %bb.1009:
	s_and_b64 vcc, exec, s[4:5]
	s_cbranch_vccnz .LBB56_1011
; %bb.1010:
	buffer_load_dword v118, v117, s[0:3], 0 offen
	ds_read_b32 v119, v116
	s_waitcnt vmcnt(0) lgkmcnt(0)
	v_mul_f32_e32 v118, v118, v119
	s_cbranch_execz .LBB56_1012
	s_branch .LBB56_1013
.LBB56_1011:
                                        ; implicit-def: $vgpr118
.LBB56_1012:
	ds_read_b32 v118, v116
.LBB56_1013:
	v_cmp_ne_u32_e32 vcc, 46, v0
	s_and_saveexec_b64 s[8:9], vcc
	s_cbranch_execz .LBB56_1017
; %bb.1014:
	s_mov_b32 s10, 0
	v_add_u32_e32 v119, 0xf4, v115
	v_add3_u32 v120, v115, s10, 4
	s_mov_b64 s[10:11], 0
	v_mov_b32_e32 v121, v0
.LBB56_1015:                            ; =>This Inner Loop Header: Depth=1
	buffer_load_dword v122, v120, s[0:3], 0 offen
	ds_read_b32 v123, v119
	v_add_u32_e32 v121, 1, v121
	v_cmp_lt_u32_e32 vcc, 45, v121
	v_add_u32_e32 v119, 4, v119
	v_add_u32_e32 v120, 4, v120
	s_or_b64 s[10:11], vcc, s[10:11]
	s_waitcnt vmcnt(0) lgkmcnt(0)
	v_fmac_f32_e32 v118, v122, v123
	s_andn2_b64 exec, exec, s[10:11]
	s_cbranch_execnz .LBB56_1015
; %bb.1016:
	s_or_b64 exec, exec, s[10:11]
.LBB56_1017:
	s_or_b64 exec, exec, s[8:9]
	v_mov_b32_e32 v119, 0
	ds_read_b32 v119, v119 offset:188
	s_waitcnt lgkmcnt(0)
	v_mul_f32_e32 v118, v118, v119
	buffer_store_dword v118, off, s[0:3], 0 offset:188
.LBB56_1018:
	;; [unrolled: 55-line block ×9, first 2 shown]
	s_or_b64 exec, exec, s[6:7]
	buffer_load_dword v118, off, s[0:3], 0 offset:220
	v_cmp_gt_u32_e64 s[6:7], 55, v0
	s_waitcnt vmcnt(0)
	ds_write_b32 v116, v118
	s_waitcnt lgkmcnt(0)
	; wave barrier
	s_and_saveexec_b64 s[8:9], s[6:7]
	s_cbranch_execz .LBB56_1098
; %bb.1089:
	s_and_b64 vcc, exec, s[4:5]
	s_cbranch_vccnz .LBB56_1091
; %bb.1090:
	buffer_load_dword v118, v117, s[0:3], 0 offen
	ds_read_b32 v119, v116
	s_waitcnt vmcnt(0) lgkmcnt(0)
	v_mul_f32_e32 v118, v118, v119
	s_cbranch_execz .LBB56_1092
	s_branch .LBB56_1093
.LBB56_1091:
                                        ; implicit-def: $vgpr118
.LBB56_1092:
	ds_read_b32 v118, v116
.LBB56_1093:
	v_cmp_ne_u32_e32 vcc, 54, v0
	s_and_saveexec_b64 s[10:11], vcc
	s_cbranch_execz .LBB56_1097
; %bb.1094:
	s_mov_b32 s12, 0
	v_add_u32_e32 v119, 0xf4, v115
	v_add3_u32 v120, v115, s12, 4
	s_mov_b64 s[12:13], 0
	v_mov_b32_e32 v121, v0
.LBB56_1095:                            ; =>This Inner Loop Header: Depth=1
	buffer_load_dword v122, v120, s[0:3], 0 offen
	ds_read_b32 v123, v119
	v_add_u32_e32 v121, 1, v121
	v_cmp_lt_u32_e32 vcc, 53, v121
	v_add_u32_e32 v119, 4, v119
	v_add_u32_e32 v120, 4, v120
	s_or_b64 s[12:13], vcc, s[12:13]
	s_waitcnt vmcnt(0) lgkmcnt(0)
	v_fmac_f32_e32 v118, v122, v123
	s_andn2_b64 exec, exec, s[12:13]
	s_cbranch_execnz .LBB56_1095
; %bb.1096:
	s_or_b64 exec, exec, s[12:13]
.LBB56_1097:
	s_or_b64 exec, exec, s[10:11]
	v_mov_b32_e32 v119, 0
	ds_read_b32 v119, v119 offset:220
	s_waitcnt lgkmcnt(0)
	v_mul_f32_e32 v118, v118, v119
	buffer_store_dword v118, off, s[0:3], 0 offset:220
.LBB56_1098:
	s_or_b64 exec, exec, s[8:9]
	buffer_load_dword v118, off, s[0:3], 0 offset:224
	v_cmp_ne_u32_e32 vcc, 56, v0
	s_waitcnt vmcnt(0)
	ds_write_b32 v116, v118
	s_waitcnt lgkmcnt(0)
	; wave barrier
	s_and_saveexec_b64 s[8:9], vcc
	s_cbranch_execz .LBB56_1108
; %bb.1099:
	s_and_b64 vcc, exec, s[4:5]
	s_cbranch_vccnz .LBB56_1101
; %bb.1100:
	buffer_load_dword v117, v117, s[0:3], 0 offen
	ds_read_b32 v118, v116
	s_waitcnt vmcnt(0) lgkmcnt(0)
	v_mul_f32_e32 v117, v117, v118
	s_cbranch_execz .LBB56_1102
	s_branch .LBB56_1103
.LBB56_1101:
                                        ; implicit-def: $vgpr117
.LBB56_1102:
	ds_read_b32 v117, v116
.LBB56_1103:
	s_and_saveexec_b64 s[4:5], s[6:7]
	s_cbranch_execz .LBB56_1107
; %bb.1104:
	s_mov_b32 s6, 0
	v_add_u32_e32 v116, 0xf4, v115
	v_add3_u32 v115, v115, s6, 4
	s_mov_b64 s[6:7], 0
.LBB56_1105:                            ; =>This Inner Loop Header: Depth=1
	buffer_load_dword v118, v115, s[0:3], 0 offen
	ds_read_b32 v119, v116
	v_add_u32_e32 v0, 1, v0
	v_cmp_lt_u32_e32 vcc, 54, v0
	v_add_u32_e32 v116, 4, v116
	v_add_u32_e32 v115, 4, v115
	s_or_b64 s[6:7], vcc, s[6:7]
	s_waitcnt vmcnt(0) lgkmcnt(0)
	v_fmac_f32_e32 v117, v118, v119
	s_andn2_b64 exec, exec, s[6:7]
	s_cbranch_execnz .LBB56_1105
; %bb.1106:
	s_or_b64 exec, exec, s[6:7]
.LBB56_1107:
	s_or_b64 exec, exec, s[4:5]
	v_mov_b32_e32 v0, 0
	ds_read_b32 v0, v0 offset:224
	s_waitcnt lgkmcnt(0)
	v_mul_f32_e32 v0, v117, v0
	buffer_store_dword v0, off, s[0:3], 0 offset:224
.LBB56_1108:
	s_or_b64 exec, exec, s[8:9]
.LBB56_1109:
	buffer_load_dword v0, off, s[0:3], 0
	buffer_load_dword v115, off, s[0:3], 0 offset:4
	buffer_load_dword v116, off, s[0:3], 0 offset:8
	;; [unrolled: 1-line block ×9, first 2 shown]
	s_waitcnt vmcnt(9)
	global_store_dword v[111:112], v0, off
	buffer_load_dword v0, off, s[0:3], 0 offset:40
	s_nop 0
	buffer_load_dword v111, off, s[0:3], 0 offset:44
	buffer_load_dword v112, off, s[0:3], 0 offset:48
	s_waitcnt vmcnt(12)
	global_store_dword v[113:114], v115, off
	buffer_load_dword v113, off, s[0:3], 0 offset:52
	s_nop 0
	buffer_load_dword v114, off, s[0:3], 0 offset:56
	buffer_load_dword v115, off, s[0:3], 0 offset:60
	s_waitcnt vmcnt(15)
	global_store_dword v[1:2], v116, off
	s_waitcnt vmcnt(15)
	global_store_dword v[3:4], v117, off
	;; [unrolled: 2-line block ×3, first 2 shown]
	buffer_load_dword v1, off, s[0:3], 0 offset:64
	buffer_load_dword v2, off, s[0:3], 0 offset:68
	buffer_load_dword v3, off, s[0:3], 0 offset:72
	buffer_load_dword v4, off, s[0:3], 0 offset:76
	s_nop 0
	buffer_load_dword v7, off, s[0:3], 0 offset:80
	buffer_load_dword v8, off, s[0:3], 0 offset:84
	buffer_load_dword v116, off, s[0:3], 0 offset:88
	buffer_load_dword v117, off, s[0:3], 0 offset:92
	s_waitcnt vmcnt(23)
	global_store_dword v[5:6], v119, off
	s_waitcnt vmcnt(23)
	global_store_dword v[9:10], v120, off
	s_waitcnt vmcnt(23)
	global_store_dword v[13:14], v121, off
	buffer_load_dword v5, off, s[0:3], 0 offset:96
	buffer_load_dword v6, off, s[0:3], 0 offset:100
	;; [unrolled: 1-line block ×4, first 2 shown]
	s_nop 0
	buffer_load_dword v13, off, s[0:3], 0 offset:112
	buffer_load_dword v14, off, s[0:3], 0 offset:116
	;; [unrolled: 1-line block ×4, first 2 shown]
	s_waitcnt vmcnt(31)
	global_store_dword v[11:12], v122, off
	s_waitcnt vmcnt(31)
	global_store_dword v[17:18], v123, off
	buffer_load_dword v11, off, s[0:3], 0 offset:128
	buffer_load_dword v12, off, s[0:3], 0 offset:132
	s_nop 0
	buffer_load_dword v17, off, s[0:3], 0 offset:136
	buffer_load_dword v18, off, s[0:3], 0 offset:140
	;; [unrolled: 1-line block ×6, first 2 shown]
	s_waitcnt vmcnt(38)
	global_store_dword v[15:16], v0, off
	s_waitcnt vmcnt(38)
	global_store_dword v[19:20], v111, off
	;; [unrolled: 2-line block ×3, first 2 shown]
	buffer_load_dword v0, off, s[0:3], 0 offset:160
	buffer_load_dword v15, off, s[0:3], 0 offset:164
	;; [unrolled: 1-line block ×8, first 2 shown]
	s_waitcnt vmcnt(45)
	global_store_dword v[21:22], v113, off
	s_waitcnt vmcnt(45)
	global_store_dword v[25:26], v114, off
	;; [unrolled: 2-line block ×3, first 2 shown]
	buffer_load_dword v21, off, s[0:3], 0 offset:192
	buffer_load_dword v22, off, s[0:3], 0 offset:196
	;; [unrolled: 1-line block ×4, first 2 shown]
	s_nop 0
	buffer_load_dword v29, off, s[0:3], 0 offset:208
	buffer_load_dword v30, off, s[0:3], 0 offset:212
	;; [unrolled: 1-line block ×5, first 2 shown]
	s_waitcnt vmcnt(51)
	global_store_dword v[27:28], v1, off
	s_waitcnt vmcnt(51)
	global_store_dword v[31:32], v2, off
	;; [unrolled: 2-line block ×41, first 2 shown]
.LBB56_1110:
	s_endpgm
	.section	.rodata,"a",@progbits
	.p2align	6, 0x0
	.amdhsa_kernel _ZN9rocsolver6v33100L18trti2_kernel_smallILi57EfPfEEv13rocblas_fill_17rocblas_diagonal_T1_iil
		.amdhsa_group_segment_fixed_size 468
		.amdhsa_private_segment_fixed_size 240
		.amdhsa_kernarg_size 32
		.amdhsa_user_sgpr_count 6
		.amdhsa_user_sgpr_private_segment_buffer 1
		.amdhsa_user_sgpr_dispatch_ptr 0
		.amdhsa_user_sgpr_queue_ptr 0
		.amdhsa_user_sgpr_kernarg_segment_ptr 1
		.amdhsa_user_sgpr_dispatch_id 0
		.amdhsa_user_sgpr_flat_scratch_init 0
		.amdhsa_user_sgpr_private_segment_size 0
		.amdhsa_uses_dynamic_stack 0
		.amdhsa_system_sgpr_private_segment_wavefront_offset 1
		.amdhsa_system_sgpr_workgroup_id_x 1
		.amdhsa_system_sgpr_workgroup_id_y 0
		.amdhsa_system_sgpr_workgroup_id_z 0
		.amdhsa_system_sgpr_workgroup_info 0
		.amdhsa_system_vgpr_workitem_id 0
		.amdhsa_next_free_vgpr 124
		.amdhsa_next_free_sgpr 70
		.amdhsa_reserve_vcc 1
		.amdhsa_reserve_flat_scratch 0
		.amdhsa_float_round_mode_32 0
		.amdhsa_float_round_mode_16_64 0
		.amdhsa_float_denorm_mode_32 3
		.amdhsa_float_denorm_mode_16_64 3
		.amdhsa_dx10_clamp 1
		.amdhsa_ieee_mode 1
		.amdhsa_fp16_overflow 0
		.amdhsa_exception_fp_ieee_invalid_op 0
		.amdhsa_exception_fp_denorm_src 0
		.amdhsa_exception_fp_ieee_div_zero 0
		.amdhsa_exception_fp_ieee_overflow 0
		.amdhsa_exception_fp_ieee_underflow 0
		.amdhsa_exception_fp_ieee_inexact 0
		.amdhsa_exception_int_div_zero 0
	.end_amdhsa_kernel
	.section	.text._ZN9rocsolver6v33100L18trti2_kernel_smallILi57EfPfEEv13rocblas_fill_17rocblas_diagonal_T1_iil,"axG",@progbits,_ZN9rocsolver6v33100L18trti2_kernel_smallILi57EfPfEEv13rocblas_fill_17rocblas_diagonal_T1_iil,comdat
.Lfunc_end56:
	.size	_ZN9rocsolver6v33100L18trti2_kernel_smallILi57EfPfEEv13rocblas_fill_17rocblas_diagonal_T1_iil, .Lfunc_end56-_ZN9rocsolver6v33100L18trti2_kernel_smallILi57EfPfEEv13rocblas_fill_17rocblas_diagonal_T1_iil
                                        ; -- End function
	.set _ZN9rocsolver6v33100L18trti2_kernel_smallILi57EfPfEEv13rocblas_fill_17rocblas_diagonal_T1_iil.num_vgpr, 124
	.set _ZN9rocsolver6v33100L18trti2_kernel_smallILi57EfPfEEv13rocblas_fill_17rocblas_diagonal_T1_iil.num_agpr, 0
	.set _ZN9rocsolver6v33100L18trti2_kernel_smallILi57EfPfEEv13rocblas_fill_17rocblas_diagonal_T1_iil.numbered_sgpr, 70
	.set _ZN9rocsolver6v33100L18trti2_kernel_smallILi57EfPfEEv13rocblas_fill_17rocblas_diagonal_T1_iil.num_named_barrier, 0
	.set _ZN9rocsolver6v33100L18trti2_kernel_smallILi57EfPfEEv13rocblas_fill_17rocblas_diagonal_T1_iil.private_seg_size, 240
	.set _ZN9rocsolver6v33100L18trti2_kernel_smallILi57EfPfEEv13rocblas_fill_17rocblas_diagonal_T1_iil.uses_vcc, 1
	.set _ZN9rocsolver6v33100L18trti2_kernel_smallILi57EfPfEEv13rocblas_fill_17rocblas_diagonal_T1_iil.uses_flat_scratch, 0
	.set _ZN9rocsolver6v33100L18trti2_kernel_smallILi57EfPfEEv13rocblas_fill_17rocblas_diagonal_T1_iil.has_dyn_sized_stack, 0
	.set _ZN9rocsolver6v33100L18trti2_kernel_smallILi57EfPfEEv13rocblas_fill_17rocblas_diagonal_T1_iil.has_recursion, 0
	.set _ZN9rocsolver6v33100L18trti2_kernel_smallILi57EfPfEEv13rocblas_fill_17rocblas_diagonal_T1_iil.has_indirect_call, 0
	.section	.AMDGPU.csdata,"",@progbits
; Kernel info:
; codeLenInByte = 27788
; TotalNumSgprs: 74
; NumVgprs: 124
; ScratchSize: 240
; MemoryBound: 0
; FloatMode: 240
; IeeeMode: 1
; LDSByteSize: 468 bytes/workgroup (compile time only)
; SGPRBlocks: 9
; VGPRBlocks: 30
; NumSGPRsForWavesPerEU: 74
; NumVGPRsForWavesPerEU: 124
; Occupancy: 2
; WaveLimiterHint : 0
; COMPUTE_PGM_RSRC2:SCRATCH_EN: 1
; COMPUTE_PGM_RSRC2:USER_SGPR: 6
; COMPUTE_PGM_RSRC2:TRAP_HANDLER: 0
; COMPUTE_PGM_RSRC2:TGID_X_EN: 1
; COMPUTE_PGM_RSRC2:TGID_Y_EN: 0
; COMPUTE_PGM_RSRC2:TGID_Z_EN: 0
; COMPUTE_PGM_RSRC2:TIDIG_COMP_CNT: 0
	.section	.text._ZN9rocsolver6v33100L18trti2_kernel_smallILi58EfPfEEv13rocblas_fill_17rocblas_diagonal_T1_iil,"axG",@progbits,_ZN9rocsolver6v33100L18trti2_kernel_smallILi58EfPfEEv13rocblas_fill_17rocblas_diagonal_T1_iil,comdat
	.globl	_ZN9rocsolver6v33100L18trti2_kernel_smallILi58EfPfEEv13rocblas_fill_17rocblas_diagonal_T1_iil ; -- Begin function _ZN9rocsolver6v33100L18trti2_kernel_smallILi58EfPfEEv13rocblas_fill_17rocblas_diagonal_T1_iil
	.p2align	8
	.type	_ZN9rocsolver6v33100L18trti2_kernel_smallILi58EfPfEEv13rocblas_fill_17rocblas_diagonal_T1_iil,@function
_ZN9rocsolver6v33100L18trti2_kernel_smallILi58EfPfEEv13rocblas_fill_17rocblas_diagonal_T1_iil: ; @_ZN9rocsolver6v33100L18trti2_kernel_smallILi58EfPfEEv13rocblas_fill_17rocblas_diagonal_T1_iil
; %bb.0:
	s_add_u32 s0, s0, s7
	s_addc_u32 s1, s1, 0
	v_cmp_gt_u32_e32 vcc, 58, v0
	s_and_saveexec_b64 s[8:9], vcc
	s_cbranch_execz .LBB57_1130
; %bb.1:
	s_load_dwordx8 s[8:15], s[4:5], 0x0
	s_ashr_i32 s7, s6, 31
	v_lshlrev_b32_e32 v117, 2, v0
	s_waitcnt lgkmcnt(0)
	s_ashr_i32 s5, s12, 31
	s_mov_b32 s4, s12
	s_mul_hi_u32 s12, s14, s6
	s_mul_i32 s7, s14, s7
	s_add_i32 s7, s12, s7
	s_mul_i32 s12, s15, s6
	s_add_i32 s7, s7, s12
	s_mul_i32 s6, s14, s6
	s_lshl_b64 s[6:7], s[6:7], 2
	s_add_u32 s6, s10, s6
	s_addc_u32 s7, s11, s7
	s_lshl_b64 s[4:5], s[4:5], 2
	s_add_u32 s4, s6, s4
	s_addc_u32 s5, s7, s5
	s_add_i32 s6, s13, s13
	v_add_u32_e32 v3, s6, v0
	v_ashrrev_i32_e32 v4, 31, v3
	v_lshlrev_b64 v[1:2], 2, v[3:4]
	v_add_u32_e32 v5, s13, v3
	v_mov_b32_e32 v4, s5
	v_add_co_u32_e32 v1, vcc, s4, v1
	v_ashrrev_i32_e32 v6, 31, v5
	v_addc_co_u32_e32 v2, vcc, v4, v2, vcc
	v_lshlrev_b64 v[3:4], 2, v[5:6]
	v_add_u32_e32 v7, s13, v5
	v_mov_b32_e32 v6, s5
	v_add_co_u32_e32 v3, vcc, s4, v3
	v_ashrrev_i32_e32 v8, 31, v7
	v_addc_co_u32_e32 v4, vcc, v6, v4, vcc
	v_lshlrev_b64 v[5:6], 2, v[7:8]
	v_mov_b32_e32 v8, s5
	v_add_co_u32_e32 v5, vcc, s4, v5
	v_add_u32_e32 v7, s13, v7
	v_addc_co_u32_e32 v6, vcc, v8, v6, vcc
	v_ashrrev_i32_e32 v8, 31, v7
	v_lshlrev_b64 v[9:10], 2, v[7:8]
	v_add_u32_e32 v11, s13, v7
	v_mov_b32_e32 v8, s5
	v_add_co_u32_e32 v9, vcc, s4, v9
	v_ashrrev_i32_e32 v12, 31, v11
	v_addc_co_u32_e32 v10, vcc, v8, v10, vcc
	v_lshlrev_b64 v[7:8], 2, v[11:12]
	v_mov_b32_e32 v12, s5
	v_add_co_u32_e32 v7, vcc, s4, v7
	v_add_u32_e32 v11, s13, v11
	v_addc_co_u32_e32 v8, vcc, v12, v8, vcc
	v_ashrrev_i32_e32 v12, 31, v11
	v_lshlrev_b64 v[13:14], 2, v[11:12]
	v_add_u32_e32 v15, s13, v11
	v_mov_b32_e32 v12, s5
	v_add_co_u32_e32 v13, vcc, s4, v13
	v_ashrrev_i32_e32 v16, 31, v15
	v_addc_co_u32_e32 v14, vcc, v12, v14, vcc
	v_lshlrev_b64 v[11:12], 2, v[15:16]
	v_add_u32_e32 v17, s13, v15
	v_mov_b32_e32 v16, s5
	v_add_co_u32_e32 v11, vcc, s4, v11
	v_ashrrev_i32_e32 v18, 31, v17
	v_addc_co_u32_e32 v12, vcc, v16, v12, vcc
	v_lshlrev_b64 v[15:16], 2, v[17:18]
	v_mov_b32_e32 v18, s5
	v_add_co_u32_e32 v15, vcc, s4, v15
	v_add_u32_e32 v17, s13, v17
	v_addc_co_u32_e32 v16, vcc, v18, v16, vcc
	v_ashrrev_i32_e32 v18, 31, v17
	v_lshlrev_b64 v[19:20], 2, v[17:18]
	v_mov_b32_e32 v21, s5
	v_add_co_u32_e32 v19, vcc, s4, v19
	v_addc_co_u32_e32 v20, vcc, v21, v20, vcc
	v_add_u32_e32 v21, s13, v17
	v_ashrrev_i32_e32 v22, 31, v21
	v_lshlrev_b64 v[17:18], 2, v[21:22]
	v_mov_b32_e32 v23, s5
	v_add_co_u32_e32 v17, vcc, s4, v17
	v_addc_co_u32_e32 v18, vcc, v23, v18, vcc
	v_add_u32_e32 v23, s13, v21
	v_ashrrev_i32_e32 v24, 31, v23
	v_lshlrev_b64 v[21:22], 2, v[23:24]
	v_add_u32_e32 v23, s13, v23
	v_mov_b32_e32 v25, s5
	v_add_co_u32_e32 v21, vcc, s4, v21
	v_ashrrev_i32_e32 v24, 31, v23
	v_addc_co_u32_e32 v22, vcc, v25, v22, vcc
	v_lshlrev_b64 v[25:26], 2, v[23:24]
	v_mov_b32_e32 v27, s5
	v_add_co_u32_e32 v25, vcc, s4, v25
	v_addc_co_u32_e32 v26, vcc, v27, v26, vcc
	v_add_u32_e32 v27, s13, v23
	v_ashrrev_i32_e32 v28, 31, v27
	v_lshlrev_b64 v[23:24], 2, v[27:28]
	v_add_u32_e32 v27, s13, v27
	v_mov_b32_e32 v29, s5
	v_add_co_u32_e32 v23, vcc, s4, v23
	v_ashrrev_i32_e32 v28, 31, v27
	v_addc_co_u32_e32 v24, vcc, v29, v24, vcc
	v_lshlrev_b64 v[29:30], 2, v[27:28]
	v_mov_b32_e32 v31, s5
	v_add_co_u32_e32 v29, vcc, s4, v29
	v_addc_co_u32_e32 v30, vcc, v31, v30, vcc
	v_add_u32_e32 v31, s13, v27
	v_ashrrev_i32_e32 v32, 31, v31
	v_lshlrev_b64 v[27:28], 2, v[31:32]
	v_mov_b32_e32 v33, s5
	v_add_co_u32_e32 v27, vcc, s4, v27
	v_addc_co_u32_e32 v28, vcc, v33, v28, vcc
	v_add_u32_e32 v33, s13, v31
	v_ashrrev_i32_e32 v34, 31, v33
	;; [unrolled: 6-line block ×26, first 2 shown]
	v_lshlrev_b64 v[79:80], 2, v[81:82]
	v_mov_b32_e32 v83, s5
	v_add_co_u32_e32 v79, vcc, s4, v79
	v_addc_co_u32_e32 v80, vcc, v83, v80, vcc
	v_add_u32_e32 v83, s13, v81
	global_load_dword v113, v117, s[4:5]
	v_ashrrev_i32_e32 v84, 31, v83
	v_lshlrev_b64 v[81:82], 2, v[83:84]
	v_mov_b32_e32 v85, s5
	v_add_co_u32_e32 v81, vcc, s4, v81
	v_addc_co_u32_e32 v82, vcc, v85, v82, vcc
	v_add_u32_e32 v85, s13, v83
	v_ashrrev_i32_e32 v86, 31, v85
	v_lshlrev_b64 v[83:84], 2, v[85:86]
	v_mov_b32_e32 v87, s5
	v_add_co_u32_e32 v83, vcc, s4, v83
	v_addc_co_u32_e32 v84, vcc, v87, v84, vcc
	v_add_u32_e32 v87, s13, v85
	;; [unrolled: 6-line block ×14, first 2 shown]
	v_ashrrev_i32_e32 v112, 31, v111
	v_lshlrev_b64 v[109:110], 2, v[111:112]
	v_add_u32_e32 v111, s13, v111
	v_ashrrev_i32_e32 v112, 31, v111
	v_mov_b32_e32 v114, s5
	v_add_co_u32_e32 v109, vcc, s4, v109
	v_lshlrev_b64 v[111:112], 2, v[111:112]
	v_addc_co_u32_e32 v110, vcc, v114, v110, vcc
	v_add_co_u32_e32 v111, vcc, s4, v111
	v_addc_co_u32_e32 v112, vcc, v114, v112, vcc
	v_add_co_u32_e32 v115, vcc, s4, v117
	global_load_dword v118, v[111:112], off
	s_ashr_i32 s5, s13, 31
	s_mov_b32 s4, s13
	v_addc_co_u32_e32 v116, vcc, 0, v114, vcc
	s_lshl_b64 s[4:5], s[4:5], 2
	s_waitcnt vmcnt(1)
	buffer_store_dword v113, off, s[0:3], 0
	v_mov_b32_e32 v114, s5
	v_add_co_u32_e32 v113, vcc, s4, v115
	v_addc_co_u32_e32 v114, vcc, v116, v114, vcc
	global_load_dword v119, v[113:114], off
	global_load_dword v120, v[1:2], off
	global_load_dword v121, v[3:4], off
	global_load_dword v122, v[5:6], off
	global_load_dword v123, v[9:10], off
	global_load_dword v124, v[7:8], off
	global_load_dword v125, v[13:14], off
	global_load_dword v126, v[11:12], off
	s_waitcnt vmcnt(7)
	buffer_store_dword v119, off, s[0:3], 0 offset:4
	s_waitcnt vmcnt(7)
	buffer_store_dword v120, off, s[0:3], 0 offset:8
	s_waitcnt vmcnt(7)
	buffer_store_dword v121, off, s[0:3], 0 offset:12
	s_waitcnt vmcnt(7)
	buffer_store_dword v122, off, s[0:3], 0 offset:16
	s_waitcnt vmcnt(7)
	buffer_store_dword v123, off, s[0:3], 0 offset:20
	s_waitcnt vmcnt(7)
	buffer_store_dword v124, off, s[0:3], 0 offset:24
	s_waitcnt vmcnt(7)
	buffer_store_dword v125, off, s[0:3], 0 offset:28
	s_waitcnt vmcnt(7)
	buffer_store_dword v126, off, s[0:3], 0 offset:32
	global_load_dword v119, v[15:16], off
	global_load_dword v120, v[19:20], off
	global_load_dword v121, v[17:18], off
	global_load_dword v122, v[21:22], off
	global_load_dword v123, v[25:26], off
	global_load_dword v124, v[23:24], off
	global_load_dword v125, v[29:30], off
	global_load_dword v126, v[27:28], off
	s_waitcnt vmcnt(7)
	buffer_store_dword v119, off, s[0:3], 0 offset:36
	s_waitcnt vmcnt(7)
	buffer_store_dword v120, off, s[0:3], 0 offset:40
	s_waitcnt vmcnt(7)
	buffer_store_dword v121, off, s[0:3], 0 offset:44
	s_waitcnt vmcnt(7)
	buffer_store_dword v122, off, s[0:3], 0 offset:48
	s_waitcnt vmcnt(7)
	buffer_store_dword v123, off, s[0:3], 0 offset:52
	s_waitcnt vmcnt(7)
	buffer_store_dword v124, off, s[0:3], 0 offset:56
	s_waitcnt vmcnt(7)
	buffer_store_dword v125, off, s[0:3], 0 offset:60
	s_waitcnt vmcnt(7)
	buffer_store_dword v126, off, s[0:3], 0 offset:64
	global_load_dword v119, v[31:32], off
	global_load_dword v120, v[33:34], off
	global_load_dword v121, v[35:36], off
	global_load_dword v122, v[37:38], off
	global_load_dword v123, v[39:40], off
	global_load_dword v124, v[41:42], off
	global_load_dword v125, v[43:44], off
	global_load_dword v126, v[45:46], off
	s_waitcnt vmcnt(7)
	buffer_store_dword v119, off, s[0:3], 0 offset:68
	s_waitcnt vmcnt(7)
	buffer_store_dword v120, off, s[0:3], 0 offset:72
	s_waitcnt vmcnt(7)
	buffer_store_dword v121, off, s[0:3], 0 offset:76
	s_waitcnt vmcnt(7)
	buffer_store_dword v122, off, s[0:3], 0 offset:80
	s_waitcnt vmcnt(7)
	buffer_store_dword v123, off, s[0:3], 0 offset:84
	s_waitcnt vmcnt(7)
	buffer_store_dword v124, off, s[0:3], 0 offset:88
	s_waitcnt vmcnt(7)
	buffer_store_dword v125, off, s[0:3], 0 offset:92
	s_waitcnt vmcnt(7)
	buffer_store_dword v126, off, s[0:3], 0 offset:96
	global_load_dword v119, v[47:48], off
	global_load_dword v120, v[49:50], off
	global_load_dword v121, v[51:52], off
	global_load_dword v122, v[53:54], off
	global_load_dword v123, v[55:56], off
	global_load_dword v124, v[57:58], off
	global_load_dword v125, v[59:60], off
	global_load_dword v126, v[61:62], off
	s_waitcnt vmcnt(7)
	buffer_store_dword v119, off, s[0:3], 0 offset:100
	s_waitcnt vmcnt(7)
	buffer_store_dword v120, off, s[0:3], 0 offset:104
	s_waitcnt vmcnt(7)
	buffer_store_dword v121, off, s[0:3], 0 offset:108
	s_waitcnt vmcnt(7)
	buffer_store_dword v122, off, s[0:3], 0 offset:112
	s_waitcnt vmcnt(7)
	buffer_store_dword v123, off, s[0:3], 0 offset:116
	s_waitcnt vmcnt(7)
	buffer_store_dword v124, off, s[0:3], 0 offset:120
	s_waitcnt vmcnt(7)
	buffer_store_dword v125, off, s[0:3], 0 offset:124
	s_waitcnt vmcnt(7)
	buffer_store_dword v126, off, s[0:3], 0 offset:128
	global_load_dword v119, v[63:64], off
	global_load_dword v120, v[65:66], off
	global_load_dword v121, v[67:68], off
	global_load_dword v122, v[69:70], off
	global_load_dword v123, v[71:72], off
	global_load_dword v124, v[73:74], off
	global_load_dword v125, v[75:76], off
	global_load_dword v126, v[77:78], off
	s_waitcnt vmcnt(7)
	buffer_store_dword v119, off, s[0:3], 0 offset:132
	s_waitcnt vmcnt(7)
	buffer_store_dword v120, off, s[0:3], 0 offset:136
	s_waitcnt vmcnt(7)
	buffer_store_dword v121, off, s[0:3], 0 offset:140
	s_waitcnt vmcnt(7)
	buffer_store_dword v122, off, s[0:3], 0 offset:144
	s_waitcnt vmcnt(7)
	buffer_store_dword v123, off, s[0:3], 0 offset:148
	s_waitcnt vmcnt(7)
	buffer_store_dword v124, off, s[0:3], 0 offset:152
	s_waitcnt vmcnt(7)
	buffer_store_dword v125, off, s[0:3], 0 offset:156
	s_waitcnt vmcnt(7)
	buffer_store_dword v126, off, s[0:3], 0 offset:160
	global_load_dword v119, v[79:80], off
	global_load_dword v120, v[81:82], off
	global_load_dword v121, v[83:84], off
	global_load_dword v122, v[85:86], off
	global_load_dword v123, v[87:88], off
	global_load_dword v124, v[89:90], off
	global_load_dword v125, v[91:92], off
	global_load_dword v126, v[93:94], off
	s_waitcnt vmcnt(7)
	buffer_store_dword v119, off, s[0:3], 0 offset:164
	s_waitcnt vmcnt(7)
	buffer_store_dword v120, off, s[0:3], 0 offset:168
	s_waitcnt vmcnt(7)
	buffer_store_dword v121, off, s[0:3], 0 offset:172
	s_waitcnt vmcnt(7)
	buffer_store_dword v122, off, s[0:3], 0 offset:176
	s_waitcnt vmcnt(7)
	buffer_store_dword v123, off, s[0:3], 0 offset:180
	s_waitcnt vmcnt(7)
	buffer_store_dword v124, off, s[0:3], 0 offset:184
	s_waitcnt vmcnt(7)
	buffer_store_dword v125, off, s[0:3], 0 offset:188
	s_waitcnt vmcnt(7)
	buffer_store_dword v126, off, s[0:3], 0 offset:192
	global_load_dword v119, v[95:96], off
	global_load_dword v120, v[97:98], off
	;; [unrolled: 1-line block ×8, first 2 shown]
	s_cmpk_lg_i32 s9, 0x84
	s_waitcnt vmcnt(7)
	buffer_store_dword v119, off, s[0:3], 0 offset:196
	s_waitcnt vmcnt(7)
	buffer_store_dword v120, off, s[0:3], 0 offset:200
	;; [unrolled: 2-line block ×8, first 2 shown]
	buffer_store_dword v118, off, s[0:3], 0 offset:228
	s_movk_i32 s12, 0x84
	s_cselect_b64 s[10:11], -1, 0
	s_cmpk_eq_i32 s9, 0x84
	v_mov_b32_e32 v118, -1.0
	s_cbranch_scc1 .LBB57_3
; %bb.2:
	v_mov_b32_e32 v118, 0
	v_lshl_add_u32 v118, v0, 2, v118
	buffer_load_dword v119, v118, s[0:3], 0 offen
	s_waitcnt vmcnt(0)
	v_div_scale_f32 v120, s[4:5], v119, v119, 1.0
	v_div_scale_f32 v121, vcc, 1.0, v119, 1.0
	v_rcp_f32_e32 v122, v120
	v_fma_f32 v123, -v120, v122, 1.0
	v_fmac_f32_e32 v122, v123, v122
	v_mul_f32_e32 v123, v121, v122
	v_fma_f32 v124, -v120, v123, v121
	v_fmac_f32_e32 v123, v124, v122
	v_fma_f32 v120, -v120, v123, v121
	v_div_fmas_f32 v120, v120, v122, v123
	v_div_fixup_f32 v119, v120, v119, 1.0
	buffer_store_dword v119, v118, s[0:3], 0 offen
	v_xor_b32_e32 v118, 0x80000000, v119
.LBB57_3:
	ds_write_b32 v117, v118
	s_cmpk_eq_i32 s8, 0x79
	v_add_u32_e32 v118, 0xf0, v117
	v_mov_b32_e32 v119, v117
	s_mov_b64 s[4:5], -1
	s_cbranch_scc1 .LBB57_567
; %bb.4:
	buffer_load_dword v120, off, s[0:3], 0 offset:224
	s_movk_i32 s30, 0x44
	s_movk_i32 s31, 0x48
	;; [unrolled: 1-line block ×38, first 2 shown]
	v_cmp_eq_u32_e64 s[4:5], 57, v0
	s_waitcnt vmcnt(0)
	ds_write_b32 v118, v120
	s_waitcnt lgkmcnt(0)
	; wave barrier
	s_and_saveexec_b64 s[6:7], s[4:5]
	s_cbranch_execz .LBB57_10
; %bb.5:
	s_and_b64 vcc, exec, s[10:11]
	s_cbranch_vccz .LBB57_7
; %bb.6:
	buffer_load_dword v120, v119, s[0:3], 0 offen
	ds_read_b32 v121, v118
	s_waitcnt vmcnt(0) lgkmcnt(0)
	v_mul_f32_e32 v120, v120, v121
	s_cbranch_execz .LBB57_8
	s_branch .LBB57_9
.LBB57_7:
                                        ; implicit-def: $vgpr120
.LBB57_8:
	ds_read_b32 v120, v118
.LBB57_9:
	v_mov_b32_e32 v121, 0
	ds_read_b32 v121, v121 offset:224
	s_waitcnt lgkmcnt(0)
	v_mul_f32_e32 v120, v120, v121
	buffer_store_dword v120, off, s[0:3], 0 offset:224
.LBB57_10:
	s_or_b64 exec, exec, s[6:7]
	buffer_load_dword v120, off, s[0:3], 0 offset:220
	s_or_b32 s14, 0, 4
	s_or_b32 s15, 0, 8
	;; [unrolled: 1-line block ×3, first 2 shown]
	s_mov_b32 s17, 16
	s_mov_b32 s18, 20
	;; [unrolled: 1-line block ×15, first 2 shown]
	v_cmp_lt_u32_e64 s[6:7], 55, v0
	s_waitcnt vmcnt(0)
	ds_write_b32 v118, v120
	s_waitcnt lgkmcnt(0)
	; wave barrier
	s_and_saveexec_b64 s[8:9], s[6:7]
	s_cbranch_execz .LBB57_16
; %bb.11:
	s_andn2_b64 vcc, exec, s[10:11]
	s_cbranch_vccnz .LBB57_13
; %bb.12:
	buffer_load_dword v120, v119, s[0:3], 0 offen
	ds_read_b32 v121, v118
	s_waitcnt vmcnt(0) lgkmcnt(0)
	v_mul_f32_e32 v120, v120, v121
	s_cbranch_execz .LBB57_14
	s_branch .LBB57_15
.LBB57_13:
                                        ; implicit-def: $vgpr120
.LBB57_14:
	ds_read_b32 v120, v118
.LBB57_15:
	buffer_load_dword v123, off, s[0:3], 0 offset:224
	v_mov_b32_e32 v121, 0
	ds_read2_b32 v[121:122], v121 offset0:55 offset1:116
	s_waitcnt vmcnt(0) lgkmcnt(0)
	v_fma_f32 v122, v123, v122, v120
	v_cndmask_b32_e64 v120, v120, v122, s[4:5]
	v_mul_f32_e32 v120, v120, v121
	buffer_store_dword v120, off, s[0:3], 0 offset:220
.LBB57_16:
	s_or_b64 exec, exec, s[8:9]
	buffer_load_dword v120, off, s[0:3], 0 offset:216
	v_cmp_lt_u32_e64 s[4:5], 54, v0
	s_waitcnt vmcnt(0)
	ds_write_b32 v118, v120
	s_waitcnt lgkmcnt(0)
	; wave barrier
	s_and_saveexec_b64 s[8:9], s[4:5]
	s_cbranch_execz .LBB57_26
; %bb.17:
	s_andn2_b64 vcc, exec, s[10:11]
	s_cbranch_vccnz .LBB57_19
; %bb.18:
	buffer_load_dword v120, v119, s[0:3], 0 offen
	ds_read_b32 v121, v118
	s_waitcnt vmcnt(0) lgkmcnt(0)
	v_mul_f32_e32 v120, v120, v121
	s_cbranch_execz .LBB57_20
	s_branch .LBB57_21
.LBB57_19:
                                        ; implicit-def: $vgpr120
.LBB57_20:
	ds_read_b32 v120, v118
.LBB57_21:
	s_and_saveexec_b64 s[12:13], s[6:7]
	s_cbranch_execz .LBB57_25
; %bb.22:
	v_subrev_u32_e32 v121, 55, v0
	s_movk_i32 s70, 0x1cc
	s_mov_b64 s[6:7], 0
.LBB57_23:                              ; =>This Inner Loop Header: Depth=1
	v_mov_b32_e32 v122, s69
	buffer_load_dword v122, v122, s[0:3], 0 offen
	v_mov_b32_e32 v123, s70
	ds_read_b32 v123, v123
	v_add_u32_e32 v121, -1, v121
	s_add_i32 s70, s70, 4
	s_add_i32 s69, s69, 4
	v_cmp_eq_u32_e32 vcc, 0, v121
	s_or_b64 s[6:7], vcc, s[6:7]
	s_waitcnt vmcnt(0) lgkmcnt(0)
	v_fmac_f32_e32 v120, v122, v123
	s_andn2_b64 exec, exec, s[6:7]
	s_cbranch_execnz .LBB57_23
; %bb.24:
	s_or_b64 exec, exec, s[6:7]
.LBB57_25:
	s_or_b64 exec, exec, s[12:13]
	v_mov_b32_e32 v121, 0
	ds_read_b32 v121, v121 offset:216
	s_waitcnt lgkmcnt(0)
	v_mul_f32_e32 v120, v120, v121
	buffer_store_dword v120, off, s[0:3], 0 offset:216
.LBB57_26:
	s_or_b64 exec, exec, s[8:9]
	buffer_load_dword v120, off, s[0:3], 0 offset:212
	v_cmp_lt_u32_e64 s[6:7], 53, v0
	s_waitcnt vmcnt(0)
	ds_write_b32 v118, v120
	s_waitcnt lgkmcnt(0)
	; wave barrier
	s_and_saveexec_b64 s[8:9], s[6:7]
	s_cbranch_execz .LBB57_36
; %bb.27:
	s_andn2_b64 vcc, exec, s[10:11]
	s_cbranch_vccnz .LBB57_29
; %bb.28:
	buffer_load_dword v120, v119, s[0:3], 0 offen
	ds_read_b32 v121, v118
	s_waitcnt vmcnt(0) lgkmcnt(0)
	v_mul_f32_e32 v120, v120, v121
	s_cbranch_execz .LBB57_30
	s_branch .LBB57_31
.LBB57_29:
                                        ; implicit-def: $vgpr120
.LBB57_30:
	ds_read_b32 v120, v118
.LBB57_31:
	s_and_saveexec_b64 s[12:13], s[4:5]
	s_cbranch_execz .LBB57_35
; %bb.32:
	v_subrev_u32_e32 v121, 54, v0
	s_movk_i32 s69, 0x1c8
	s_mov_b64 s[4:5], 0
.LBB57_33:                              ; =>This Inner Loop Header: Depth=1
	v_mov_b32_e32 v122, s68
	buffer_load_dword v122, v122, s[0:3], 0 offen
	v_mov_b32_e32 v123, s69
	ds_read_b32 v123, v123
	v_add_u32_e32 v121, -1, v121
	s_add_i32 s69, s69, 4
	s_add_i32 s68, s68, 4
	v_cmp_eq_u32_e32 vcc, 0, v121
	s_or_b64 s[4:5], vcc, s[4:5]
	s_waitcnt vmcnt(0) lgkmcnt(0)
	v_fmac_f32_e32 v120, v122, v123
	s_andn2_b64 exec, exec, s[4:5]
	s_cbranch_execnz .LBB57_33
; %bb.34:
	s_or_b64 exec, exec, s[4:5]
.LBB57_35:
	s_or_b64 exec, exec, s[12:13]
	v_mov_b32_e32 v121, 0
	ds_read_b32 v121, v121 offset:212
	s_waitcnt lgkmcnt(0)
	v_mul_f32_e32 v120, v120, v121
	buffer_store_dword v120, off, s[0:3], 0 offset:212
.LBB57_36:
	;; [unrolled: 54-line block ×8, first 2 shown]
	s_or_b64 exec, exec, s[8:9]
	buffer_load_dword v120, off, s[0:3], 0 offset:184
	v_cmp_lt_u32_e64 s[4:5], 46, v0
	s_waitcnt vmcnt(0)
	ds_write_b32 v118, v120
	s_waitcnt lgkmcnt(0)
	; wave barrier
	s_and_saveexec_b64 s[8:9], s[4:5]
	s_cbranch_execz .LBB57_106
; %bb.97:
	s_andn2_b64 vcc, exec, s[10:11]
	s_cbranch_vccnz .LBB57_99
; %bb.98:
	buffer_load_dword v120, v119, s[0:3], 0 offen
	ds_read_b32 v121, v118
	s_waitcnt vmcnt(0) lgkmcnt(0)
	v_mul_f32_e32 v120, v120, v121
	s_cbranch_execz .LBB57_100
	s_branch .LBB57_101
.LBB57_99:
                                        ; implicit-def: $vgpr120
.LBB57_100:
	ds_read_b32 v120, v118
.LBB57_101:
	s_and_saveexec_b64 s[12:13], s[6:7]
	s_cbranch_execz .LBB57_105
; %bb.102:
	v_subrev_u32_e32 v121, 47, v0
	s_movk_i32 s62, 0x1ac
	s_mov_b64 s[6:7], 0
.LBB57_103:                             ; =>This Inner Loop Header: Depth=1
	v_mov_b32_e32 v122, s61
	buffer_load_dword v122, v122, s[0:3], 0 offen
	v_mov_b32_e32 v123, s62
	ds_read_b32 v123, v123
	v_add_u32_e32 v121, -1, v121
	s_add_i32 s62, s62, 4
	s_add_i32 s61, s61, 4
	v_cmp_eq_u32_e32 vcc, 0, v121
	s_or_b64 s[6:7], vcc, s[6:7]
	s_waitcnt vmcnt(0) lgkmcnt(0)
	v_fmac_f32_e32 v120, v122, v123
	s_andn2_b64 exec, exec, s[6:7]
	s_cbranch_execnz .LBB57_103
; %bb.104:
	s_or_b64 exec, exec, s[6:7]
.LBB57_105:
	s_or_b64 exec, exec, s[12:13]
	v_mov_b32_e32 v121, 0
	ds_read_b32 v121, v121 offset:184
	s_waitcnt lgkmcnt(0)
	v_mul_f32_e32 v120, v120, v121
	buffer_store_dword v120, off, s[0:3], 0 offset:184
.LBB57_106:
	s_or_b64 exec, exec, s[8:9]
	buffer_load_dword v120, off, s[0:3], 0 offset:180
	v_cmp_lt_u32_e64 s[6:7], 45, v0
	s_waitcnt vmcnt(0)
	ds_write_b32 v118, v120
	s_waitcnt lgkmcnt(0)
	; wave barrier
	s_and_saveexec_b64 s[8:9], s[6:7]
	s_cbranch_execz .LBB57_116
; %bb.107:
	s_andn2_b64 vcc, exec, s[10:11]
	s_cbranch_vccnz .LBB57_109
; %bb.108:
	buffer_load_dword v120, v119, s[0:3], 0 offen
	ds_read_b32 v121, v118
	s_waitcnt vmcnt(0) lgkmcnt(0)
	v_mul_f32_e32 v120, v120, v121
	s_cbranch_execz .LBB57_110
	s_branch .LBB57_111
.LBB57_109:
                                        ; implicit-def: $vgpr120
.LBB57_110:
	ds_read_b32 v120, v118
.LBB57_111:
	s_and_saveexec_b64 s[12:13], s[4:5]
	s_cbranch_execz .LBB57_115
; %bb.112:
	v_subrev_u32_e32 v121, 46, v0
	s_movk_i32 s61, 0x1a8
	s_mov_b64 s[4:5], 0
.LBB57_113:                             ; =>This Inner Loop Header: Depth=1
	v_mov_b32_e32 v122, s60
	buffer_load_dword v122, v122, s[0:3], 0 offen
	v_mov_b32_e32 v123, s61
	ds_read_b32 v123, v123
	v_add_u32_e32 v121, -1, v121
	s_add_i32 s61, s61, 4
	s_add_i32 s60, s60, 4
	v_cmp_eq_u32_e32 vcc, 0, v121
	s_or_b64 s[4:5], vcc, s[4:5]
	s_waitcnt vmcnt(0) lgkmcnt(0)
	v_fmac_f32_e32 v120, v122, v123
	s_andn2_b64 exec, exec, s[4:5]
	s_cbranch_execnz .LBB57_113
; %bb.114:
	s_or_b64 exec, exec, s[4:5]
.LBB57_115:
	s_or_b64 exec, exec, s[12:13]
	v_mov_b32_e32 v121, 0
	ds_read_b32 v121, v121 offset:180
	s_waitcnt lgkmcnt(0)
	v_mul_f32_e32 v120, v120, v121
	buffer_store_dword v120, off, s[0:3], 0 offset:180
.LBB57_116:
	;; [unrolled: 54-line block ×31, first 2 shown]
	s_or_b64 exec, exec, s[8:9]
	buffer_load_dword v120, off, s[0:3], 0 offset:60
	v_cmp_lt_u32_e64 s[6:7], 15, v0
	s_waitcnt vmcnt(0)
	ds_write_b32 v118, v120
	s_waitcnt lgkmcnt(0)
	; wave barrier
	s_and_saveexec_b64 s[8:9], s[6:7]
	s_cbranch_execz .LBB57_416
; %bb.407:
	s_andn2_b64 vcc, exec, s[10:11]
	s_cbranch_vccnz .LBB57_409
; %bb.408:
	buffer_load_dword v120, v119, s[0:3], 0 offen
	ds_read_b32 v121, v118
	s_waitcnt vmcnt(0) lgkmcnt(0)
	v_mul_f32_e32 v120, v120, v121
	s_cbranch_execz .LBB57_410
	s_branch .LBB57_411
.LBB57_409:
                                        ; implicit-def: $vgpr120
.LBB57_410:
	ds_read_b32 v120, v118
.LBB57_411:
	s_and_saveexec_b64 s[12:13], s[4:5]
	s_cbranch_execz .LBB57_415
; %bb.412:
	v_add_u32_e32 v121, -16, v0
	s_movk_i32 s30, 0x130
	s_mov_b64 s[4:5], 0
.LBB57_413:                             ; =>This Inner Loop Header: Depth=1
	v_mov_b32_e32 v122, s29
	buffer_load_dword v122, v122, s[0:3], 0 offen
	v_mov_b32_e32 v123, s30
	ds_read_b32 v123, v123
	v_add_u32_e32 v121, -1, v121
	s_add_i32 s30, s30, 4
	s_add_i32 s29, s29, 4
	v_cmp_eq_u32_e32 vcc, 0, v121
	s_or_b64 s[4:5], vcc, s[4:5]
	s_waitcnt vmcnt(0) lgkmcnt(0)
	v_fmac_f32_e32 v120, v122, v123
	s_andn2_b64 exec, exec, s[4:5]
	s_cbranch_execnz .LBB57_413
; %bb.414:
	s_or_b64 exec, exec, s[4:5]
.LBB57_415:
	s_or_b64 exec, exec, s[12:13]
	v_mov_b32_e32 v121, 0
	ds_read_b32 v121, v121 offset:60
	s_waitcnt lgkmcnt(0)
	v_mul_f32_e32 v120, v120, v121
	buffer_store_dword v120, off, s[0:3], 0 offset:60
.LBB57_416:
	s_or_b64 exec, exec, s[8:9]
	buffer_load_dword v120, off, s[0:3], 0 offset:56
	v_cmp_lt_u32_e64 s[4:5], 14, v0
	s_waitcnt vmcnt(0)
	ds_write_b32 v118, v120
	s_waitcnt lgkmcnt(0)
	; wave barrier
	s_and_saveexec_b64 s[8:9], s[4:5]
	s_cbranch_execz .LBB57_426
; %bb.417:
	s_andn2_b64 vcc, exec, s[10:11]
	s_cbranch_vccnz .LBB57_419
; %bb.418:
	buffer_load_dword v120, v119, s[0:3], 0 offen
	ds_read_b32 v121, v118
	s_waitcnt vmcnt(0) lgkmcnt(0)
	v_mul_f32_e32 v120, v120, v121
	s_cbranch_execz .LBB57_420
	s_branch .LBB57_421
.LBB57_419:
                                        ; implicit-def: $vgpr120
.LBB57_420:
	ds_read_b32 v120, v118
.LBB57_421:
	s_and_saveexec_b64 s[12:13], s[6:7]
	s_cbranch_execz .LBB57_425
; %bb.422:
	v_add_u32_e32 v121, -15, v0
	s_movk_i32 s29, 0x12c
	s_mov_b64 s[6:7], 0
.LBB57_423:                             ; =>This Inner Loop Header: Depth=1
	v_mov_b32_e32 v122, s28
	buffer_load_dword v122, v122, s[0:3], 0 offen
	v_mov_b32_e32 v123, s29
	ds_read_b32 v123, v123
	v_add_u32_e32 v121, -1, v121
	s_add_i32 s29, s29, 4
	s_add_i32 s28, s28, 4
	v_cmp_eq_u32_e32 vcc, 0, v121
	s_or_b64 s[6:7], vcc, s[6:7]
	s_waitcnt vmcnt(0) lgkmcnt(0)
	v_fmac_f32_e32 v120, v122, v123
	s_andn2_b64 exec, exec, s[6:7]
	s_cbranch_execnz .LBB57_423
; %bb.424:
	s_or_b64 exec, exec, s[6:7]
.LBB57_425:
	s_or_b64 exec, exec, s[12:13]
	v_mov_b32_e32 v121, 0
	ds_read_b32 v121, v121 offset:56
	s_waitcnt lgkmcnt(0)
	v_mul_f32_e32 v120, v120, v121
	buffer_store_dword v120, off, s[0:3], 0 offset:56
.LBB57_426:
	;; [unrolled: 54-line block ×15, first 2 shown]
	s_or_b64 exec, exec, s[8:9]
	buffer_load_dword v120, off, s[0:3], 0
	v_cmp_ne_u32_e32 vcc, 0, v0
	s_waitcnt vmcnt(0)
	ds_write_b32 v118, v120
	s_waitcnt lgkmcnt(0)
	; wave barrier
	s_and_saveexec_b64 s[4:5], vcc
	s_cbranch_execz .LBB57_566
; %bb.557:
	s_andn2_b64 vcc, exec, s[10:11]
	s_cbranch_vccnz .LBB57_559
; %bb.558:
	buffer_load_dword v120, v119, s[0:3], 0 offen
	ds_read_b32 v121, v118
	s_waitcnt vmcnt(0) lgkmcnt(0)
	v_mul_f32_e32 v120, v120, v121
	s_cbranch_execz .LBB57_560
	s_branch .LBB57_561
.LBB57_559:
                                        ; implicit-def: $vgpr120
.LBB57_560:
	ds_read_b32 v120, v118
.LBB57_561:
	s_and_saveexec_b64 s[8:9], s[6:7]
	s_cbranch_execz .LBB57_565
; %bb.562:
	v_add_u32_e32 v121, -1, v0
	s_movk_i32 s12, 0xf4
	s_mov_b64 s[6:7], 0
.LBB57_563:                             ; =>This Inner Loop Header: Depth=1
	v_mov_b32_e32 v122, s14
	buffer_load_dword v122, v122, s[0:3], 0 offen
	v_mov_b32_e32 v123, s12
	ds_read_b32 v123, v123
	v_add_u32_e32 v121, -1, v121
	s_add_i32 s12, s12, 4
	s_add_i32 s14, s14, 4
	v_cmp_eq_u32_e32 vcc, 0, v121
	s_or_b64 s[6:7], vcc, s[6:7]
	s_waitcnt vmcnt(0) lgkmcnt(0)
	v_fmac_f32_e32 v120, v122, v123
	s_andn2_b64 exec, exec, s[6:7]
	s_cbranch_execnz .LBB57_563
; %bb.564:
	s_or_b64 exec, exec, s[6:7]
.LBB57_565:
	s_or_b64 exec, exec, s[8:9]
	v_mov_b32_e32 v121, 0
	ds_read_b32 v121, v121
	s_waitcnt lgkmcnt(0)
	v_mul_f32_e32 v120, v120, v121
	buffer_store_dword v120, off, s[0:3], 0
.LBB57_566:
	s_or_b64 exec, exec, s[4:5]
	s_mov_b64 s[4:5], 0
.LBB57_567:
	s_and_b64 vcc, exec, s[4:5]
	s_cbranch_vccz .LBB57_1129
; %bb.568:
	buffer_load_dword v120, off, s[0:3], 0 offset:4
	v_cmp_eq_u32_e64 s[6:7], 0, v0
	s_waitcnt vmcnt(0)
	ds_write_b32 v118, v120
	s_waitcnt lgkmcnt(0)
	; wave barrier
	s_and_saveexec_b64 s[4:5], s[6:7]
	s_cbranch_execz .LBB57_574
; %bb.569:
	s_and_b64 vcc, exec, s[10:11]
	s_cbranch_vccz .LBB57_571
; %bb.570:
	buffer_load_dword v120, v119, s[0:3], 0 offen
	ds_read_b32 v121, v118
	s_waitcnt vmcnt(0) lgkmcnt(0)
	v_mul_f32_e32 v120, v120, v121
	s_cbranch_execz .LBB57_572
	s_branch .LBB57_573
.LBB57_571:
                                        ; implicit-def: $vgpr120
.LBB57_572:
	ds_read_b32 v120, v118
.LBB57_573:
	v_mov_b32_e32 v121, 0
	ds_read_b32 v121, v121 offset:4
	s_waitcnt lgkmcnt(0)
	v_mul_f32_e32 v120, v120, v121
	buffer_store_dword v120, off, s[0:3], 0 offset:4
.LBB57_574:
	s_or_b64 exec, exec, s[4:5]
	buffer_load_dword v120, off, s[0:3], 0 offset:8
	v_cndmask_b32_e64 v121, 0, 1, s[10:11]
	v_cmp_gt_u32_e32 vcc, 2, v0
	v_cmp_ne_u32_e64 s[4:5], 1, v121
	s_waitcnt vmcnt(0)
	ds_write_b32 v118, v120
	s_waitcnt lgkmcnt(0)
	; wave barrier
	s_and_saveexec_b64 s[8:9], vcc
	s_cbranch_execz .LBB57_580
; %bb.575:
	s_and_b64 vcc, exec, s[4:5]
	s_cbranch_vccnz .LBB57_577
; %bb.576:
	buffer_load_dword v120, v119, s[0:3], 0 offen
	ds_read_b32 v121, v118
	s_waitcnt vmcnt(0) lgkmcnt(0)
	v_mul_f32_e32 v120, v120, v121
	s_cbranch_execz .LBB57_578
	s_branch .LBB57_579
.LBB57_577:
                                        ; implicit-def: $vgpr120
.LBB57_578:
	ds_read_b32 v120, v118
.LBB57_579:
	buffer_load_dword v123, off, s[0:3], 0 offset:4
	v_mov_b32_e32 v121, 0
	ds_read2_b32 v[121:122], v121 offset0:2 offset1:61
	s_waitcnt vmcnt(0) lgkmcnt(0)
	v_fma_f32 v122, v123, v122, v120
	v_cndmask_b32_e64 v120, v120, v122, s[6:7]
	v_mul_f32_e32 v120, v120, v121
	buffer_store_dword v120, off, s[0:3], 0 offset:8
.LBB57_580:
	s_or_b64 exec, exec, s[8:9]
	buffer_load_dword v120, off, s[0:3], 0 offset:12
	v_cmp_gt_u32_e32 vcc, 3, v0
	s_waitcnt vmcnt(0)
	ds_write_b32 v118, v120
	s_waitcnt lgkmcnt(0)
	; wave barrier
	s_and_saveexec_b64 s[8:9], vcc
	s_cbranch_execz .LBB57_588
; %bb.581:
	s_and_b64 vcc, exec, s[4:5]
	s_cbranch_vccnz .LBB57_583
; %bb.582:
	buffer_load_dword v120, v119, s[0:3], 0 offen
	ds_read_b32 v121, v118
	s_waitcnt vmcnt(0) lgkmcnt(0)
	v_mul_f32_e32 v120, v120, v121
	s_cbranch_execz .LBB57_584
	s_branch .LBB57_585
.LBB57_583:
                                        ; implicit-def: $vgpr120
.LBB57_584:
	ds_read_b32 v120, v118
.LBB57_585:
	v_cmp_ne_u32_e32 vcc, 2, v0
	s_and_saveexec_b64 s[10:11], vcc
	s_cbranch_execz .LBB57_587
; %bb.586:
	buffer_load_dword v121, v119, s[0:3], 0 offen offset:4
	buffer_load_dword v122, off, s[0:3], 0 offset:8
	v_mov_b32_e32 v123, 0
	ds_read_b32 v124, v118 offset:4
	ds_read_b32 v123, v123 offset:248
	s_waitcnt vmcnt(1) lgkmcnt(1)
	v_fmac_f32_e32 v120, v121, v124
	s_waitcnt vmcnt(0) lgkmcnt(0)
	v_fma_f32 v121, v122, v123, v120
	v_cndmask_b32_e64 v120, v120, v121, s[6:7]
.LBB57_587:
	s_or_b64 exec, exec, s[10:11]
	v_mov_b32_e32 v121, 0
	ds_read_b32 v121, v121 offset:12
	s_waitcnt lgkmcnt(0)
	v_mul_f32_e32 v120, v120, v121
	buffer_store_dword v120, off, s[0:3], 0 offset:12
.LBB57_588:
	s_or_b64 exec, exec, s[8:9]
	buffer_load_dword v120, off, s[0:3], 0 offset:16
	v_cmp_gt_u32_e32 vcc, 4, v0
	s_waitcnt vmcnt(0)
	ds_write_b32 v118, v120
	s_waitcnt lgkmcnt(0)
	; wave barrier
	s_and_saveexec_b64 s[6:7], vcc
	s_cbranch_execz .LBB57_598
; %bb.589:
	s_and_b64 vcc, exec, s[4:5]
	s_cbranch_vccnz .LBB57_591
; %bb.590:
	buffer_load_dword v120, v119, s[0:3], 0 offen
	ds_read_b32 v121, v118
	s_waitcnt vmcnt(0) lgkmcnt(0)
	v_mul_f32_e32 v120, v120, v121
	s_cbranch_execz .LBB57_592
	s_branch .LBB57_593
.LBB57_591:
                                        ; implicit-def: $vgpr120
.LBB57_592:
	ds_read_b32 v120, v118
.LBB57_593:
	v_cmp_ne_u32_e32 vcc, 3, v0
	s_and_saveexec_b64 s[8:9], vcc
	s_cbranch_execz .LBB57_597
; %bb.594:
	s_mov_b32 s10, 0
	v_add_u32_e32 v121, 0xf4, v117
	v_add3_u32 v122, v117, s10, 4
	s_mov_b64 s[10:11], 0
	v_mov_b32_e32 v123, v0
.LBB57_595:                             ; =>This Inner Loop Header: Depth=1
	buffer_load_dword v124, v122, s[0:3], 0 offen
	ds_read_b32 v125, v121
	v_add_u32_e32 v123, 1, v123
	v_cmp_lt_u32_e32 vcc, 2, v123
	v_add_u32_e32 v121, 4, v121
	v_add_u32_e32 v122, 4, v122
	s_or_b64 s[10:11], vcc, s[10:11]
	s_waitcnt vmcnt(0) lgkmcnt(0)
	v_fmac_f32_e32 v120, v124, v125
	s_andn2_b64 exec, exec, s[10:11]
	s_cbranch_execnz .LBB57_595
; %bb.596:
	s_or_b64 exec, exec, s[10:11]
.LBB57_597:
	s_or_b64 exec, exec, s[8:9]
	v_mov_b32_e32 v121, 0
	ds_read_b32 v121, v121 offset:16
	s_waitcnt lgkmcnt(0)
	v_mul_f32_e32 v120, v120, v121
	buffer_store_dword v120, off, s[0:3], 0 offset:16
.LBB57_598:
	s_or_b64 exec, exec, s[6:7]
	buffer_load_dword v120, off, s[0:3], 0 offset:20
	v_cmp_gt_u32_e32 vcc, 5, v0
	s_waitcnt vmcnt(0)
	ds_write_b32 v118, v120
	s_waitcnt lgkmcnt(0)
	; wave barrier
	s_and_saveexec_b64 s[6:7], vcc
	s_cbranch_execz .LBB57_608
; %bb.599:
	s_and_b64 vcc, exec, s[4:5]
	s_cbranch_vccnz .LBB57_601
; %bb.600:
	buffer_load_dword v120, v119, s[0:3], 0 offen
	ds_read_b32 v121, v118
	s_waitcnt vmcnt(0) lgkmcnt(0)
	v_mul_f32_e32 v120, v120, v121
	s_cbranch_execz .LBB57_602
	s_branch .LBB57_603
.LBB57_601:
                                        ; implicit-def: $vgpr120
.LBB57_602:
	ds_read_b32 v120, v118
.LBB57_603:
	v_cmp_ne_u32_e32 vcc, 4, v0
	s_and_saveexec_b64 s[8:9], vcc
	s_cbranch_execz .LBB57_607
; %bb.604:
	s_mov_b32 s10, 0
	v_add_u32_e32 v121, 0xf4, v117
	v_add3_u32 v122, v117, s10, 4
	s_mov_b64 s[10:11], 0
	v_mov_b32_e32 v123, v0
.LBB57_605:                             ; =>This Inner Loop Header: Depth=1
	buffer_load_dword v124, v122, s[0:3], 0 offen
	ds_read_b32 v125, v121
	v_add_u32_e32 v123, 1, v123
	v_cmp_lt_u32_e32 vcc, 3, v123
	v_add_u32_e32 v121, 4, v121
	v_add_u32_e32 v122, 4, v122
	s_or_b64 s[10:11], vcc, s[10:11]
	s_waitcnt vmcnt(0) lgkmcnt(0)
	v_fmac_f32_e32 v120, v124, v125
	s_andn2_b64 exec, exec, s[10:11]
	s_cbranch_execnz .LBB57_605
; %bb.606:
	s_or_b64 exec, exec, s[10:11]
.LBB57_607:
	s_or_b64 exec, exec, s[8:9]
	v_mov_b32_e32 v121, 0
	ds_read_b32 v121, v121 offset:20
	s_waitcnt lgkmcnt(0)
	v_mul_f32_e32 v120, v120, v121
	buffer_store_dword v120, off, s[0:3], 0 offset:20
.LBB57_608:
	;; [unrolled: 55-line block ×41, first 2 shown]
	s_or_b64 exec, exec, s[6:7]
	buffer_load_dword v120, off, s[0:3], 0 offset:180
	v_cmp_gt_u32_e32 vcc, 45, v0
	s_waitcnt vmcnt(0)
	ds_write_b32 v118, v120
	s_waitcnt lgkmcnt(0)
	; wave barrier
	s_and_saveexec_b64 s[6:7], vcc
	s_cbranch_execz .LBB57_1008
; %bb.999:
	s_and_b64 vcc, exec, s[4:5]
	s_cbranch_vccnz .LBB57_1001
; %bb.1000:
	buffer_load_dword v120, v119, s[0:3], 0 offen
	ds_read_b32 v121, v118
	s_waitcnt vmcnt(0) lgkmcnt(0)
	v_mul_f32_e32 v120, v120, v121
	s_cbranch_execz .LBB57_1002
	s_branch .LBB57_1003
.LBB57_1001:
                                        ; implicit-def: $vgpr120
.LBB57_1002:
	ds_read_b32 v120, v118
.LBB57_1003:
	v_cmp_ne_u32_e32 vcc, 44, v0
	s_and_saveexec_b64 s[8:9], vcc
	s_cbranch_execz .LBB57_1007
; %bb.1004:
	s_mov_b32 s10, 0
	v_add_u32_e32 v121, 0xf4, v117
	v_add3_u32 v122, v117, s10, 4
	s_mov_b64 s[10:11], 0
	v_mov_b32_e32 v123, v0
.LBB57_1005:                            ; =>This Inner Loop Header: Depth=1
	buffer_load_dword v124, v122, s[0:3], 0 offen
	ds_read_b32 v125, v121
	v_add_u32_e32 v123, 1, v123
	v_cmp_lt_u32_e32 vcc, 43, v123
	v_add_u32_e32 v121, 4, v121
	v_add_u32_e32 v122, 4, v122
	s_or_b64 s[10:11], vcc, s[10:11]
	s_waitcnt vmcnt(0) lgkmcnt(0)
	v_fmac_f32_e32 v120, v124, v125
	s_andn2_b64 exec, exec, s[10:11]
	s_cbranch_execnz .LBB57_1005
; %bb.1006:
	s_or_b64 exec, exec, s[10:11]
.LBB57_1007:
	s_or_b64 exec, exec, s[8:9]
	v_mov_b32_e32 v121, 0
	ds_read_b32 v121, v121 offset:180
	s_waitcnt lgkmcnt(0)
	v_mul_f32_e32 v120, v120, v121
	buffer_store_dword v120, off, s[0:3], 0 offset:180
.LBB57_1008:
	s_or_b64 exec, exec, s[6:7]
	buffer_load_dword v120, off, s[0:3], 0 offset:184
	v_cmp_gt_u32_e32 vcc, 46, v0
	s_waitcnt vmcnt(0)
	ds_write_b32 v118, v120
	s_waitcnt lgkmcnt(0)
	; wave barrier
	s_and_saveexec_b64 s[6:7], vcc
	s_cbranch_execz .LBB57_1018
; %bb.1009:
	s_and_b64 vcc, exec, s[4:5]
	s_cbranch_vccnz .LBB57_1011
; %bb.1010:
	buffer_load_dword v120, v119, s[0:3], 0 offen
	ds_read_b32 v121, v118
	s_waitcnt vmcnt(0) lgkmcnt(0)
	v_mul_f32_e32 v120, v120, v121
	s_cbranch_execz .LBB57_1012
	s_branch .LBB57_1013
.LBB57_1011:
                                        ; implicit-def: $vgpr120
.LBB57_1012:
	ds_read_b32 v120, v118
.LBB57_1013:
	v_cmp_ne_u32_e32 vcc, 45, v0
	s_and_saveexec_b64 s[8:9], vcc
	s_cbranch_execz .LBB57_1017
; %bb.1014:
	s_mov_b32 s10, 0
	v_add_u32_e32 v121, 0xf4, v117
	v_add3_u32 v122, v117, s10, 4
	s_mov_b64 s[10:11], 0
	v_mov_b32_e32 v123, v0
.LBB57_1015:                            ; =>This Inner Loop Header: Depth=1
	buffer_load_dword v124, v122, s[0:3], 0 offen
	ds_read_b32 v125, v121
	v_add_u32_e32 v123, 1, v123
	v_cmp_lt_u32_e32 vcc, 44, v123
	v_add_u32_e32 v121, 4, v121
	v_add_u32_e32 v122, 4, v122
	s_or_b64 s[10:11], vcc, s[10:11]
	s_waitcnt vmcnt(0) lgkmcnt(0)
	v_fmac_f32_e32 v120, v124, v125
	s_andn2_b64 exec, exec, s[10:11]
	s_cbranch_execnz .LBB57_1015
; %bb.1016:
	s_or_b64 exec, exec, s[10:11]
.LBB57_1017:
	s_or_b64 exec, exec, s[8:9]
	v_mov_b32_e32 v121, 0
	ds_read_b32 v121, v121 offset:184
	s_waitcnt lgkmcnt(0)
	v_mul_f32_e32 v120, v120, v121
	buffer_store_dword v120, off, s[0:3], 0 offset:184
.LBB57_1018:
	;; [unrolled: 55-line block ×11, first 2 shown]
	s_or_b64 exec, exec, s[6:7]
	buffer_load_dword v120, off, s[0:3], 0 offset:224
	v_cmp_gt_u32_e64 s[6:7], 56, v0
	s_waitcnt vmcnt(0)
	ds_write_b32 v118, v120
	s_waitcnt lgkmcnt(0)
	; wave barrier
	s_and_saveexec_b64 s[8:9], s[6:7]
	s_cbranch_execz .LBB57_1118
; %bb.1109:
	s_and_b64 vcc, exec, s[4:5]
	s_cbranch_vccnz .LBB57_1111
; %bb.1110:
	buffer_load_dword v120, v119, s[0:3], 0 offen
	ds_read_b32 v121, v118
	s_waitcnt vmcnt(0) lgkmcnt(0)
	v_mul_f32_e32 v120, v120, v121
	s_cbranch_execz .LBB57_1112
	s_branch .LBB57_1113
.LBB57_1111:
                                        ; implicit-def: $vgpr120
.LBB57_1112:
	ds_read_b32 v120, v118
.LBB57_1113:
	v_cmp_ne_u32_e32 vcc, 55, v0
	s_and_saveexec_b64 s[10:11], vcc
	s_cbranch_execz .LBB57_1117
; %bb.1114:
	s_mov_b32 s12, 0
	v_add_u32_e32 v121, 0xf4, v117
	v_add3_u32 v122, v117, s12, 4
	s_mov_b64 s[12:13], 0
	v_mov_b32_e32 v123, v0
.LBB57_1115:                            ; =>This Inner Loop Header: Depth=1
	buffer_load_dword v124, v122, s[0:3], 0 offen
	ds_read_b32 v125, v121
	v_add_u32_e32 v123, 1, v123
	v_cmp_lt_u32_e32 vcc, 54, v123
	v_add_u32_e32 v121, 4, v121
	v_add_u32_e32 v122, 4, v122
	s_or_b64 s[12:13], vcc, s[12:13]
	s_waitcnt vmcnt(0) lgkmcnt(0)
	v_fmac_f32_e32 v120, v124, v125
	s_andn2_b64 exec, exec, s[12:13]
	s_cbranch_execnz .LBB57_1115
; %bb.1116:
	s_or_b64 exec, exec, s[12:13]
.LBB57_1117:
	s_or_b64 exec, exec, s[10:11]
	v_mov_b32_e32 v121, 0
	ds_read_b32 v121, v121 offset:224
	s_waitcnt lgkmcnt(0)
	v_mul_f32_e32 v120, v120, v121
	buffer_store_dword v120, off, s[0:3], 0 offset:224
.LBB57_1118:
	s_or_b64 exec, exec, s[8:9]
	buffer_load_dword v120, off, s[0:3], 0 offset:228
	v_cmp_ne_u32_e32 vcc, 57, v0
	s_waitcnt vmcnt(0)
	ds_write_b32 v118, v120
	s_waitcnt lgkmcnt(0)
	; wave barrier
	s_and_saveexec_b64 s[8:9], vcc
	s_cbranch_execz .LBB57_1128
; %bb.1119:
	s_and_b64 vcc, exec, s[4:5]
	s_cbranch_vccnz .LBB57_1121
; %bb.1120:
	buffer_load_dword v119, v119, s[0:3], 0 offen
	ds_read_b32 v120, v118
	s_waitcnt vmcnt(0) lgkmcnt(0)
	v_mul_f32_e32 v119, v119, v120
	s_cbranch_execz .LBB57_1122
	s_branch .LBB57_1123
.LBB57_1121:
                                        ; implicit-def: $vgpr119
.LBB57_1122:
	ds_read_b32 v119, v118
.LBB57_1123:
	s_and_saveexec_b64 s[4:5], s[6:7]
	s_cbranch_execz .LBB57_1127
; %bb.1124:
	s_mov_b32 s6, 0
	v_add_u32_e32 v118, 0xf4, v117
	v_add3_u32 v117, v117, s6, 4
	s_mov_b64 s[6:7], 0
.LBB57_1125:                            ; =>This Inner Loop Header: Depth=1
	buffer_load_dword v120, v117, s[0:3], 0 offen
	ds_read_b32 v121, v118
	v_add_u32_e32 v0, 1, v0
	v_cmp_lt_u32_e32 vcc, 55, v0
	v_add_u32_e32 v118, 4, v118
	v_add_u32_e32 v117, 4, v117
	s_or_b64 s[6:7], vcc, s[6:7]
	s_waitcnt vmcnt(0) lgkmcnt(0)
	v_fmac_f32_e32 v119, v120, v121
	s_andn2_b64 exec, exec, s[6:7]
	s_cbranch_execnz .LBB57_1125
; %bb.1126:
	s_or_b64 exec, exec, s[6:7]
.LBB57_1127:
	s_or_b64 exec, exec, s[4:5]
	v_mov_b32_e32 v0, 0
	ds_read_b32 v0, v0 offset:228
	s_waitcnt lgkmcnt(0)
	v_mul_f32_e32 v0, v119, v0
	buffer_store_dword v0, off, s[0:3], 0 offset:228
.LBB57_1128:
	s_or_b64 exec, exec, s[8:9]
.LBB57_1129:
	buffer_load_dword v0, off, s[0:3], 0
	buffer_load_dword v117, off, s[0:3], 0 offset:4
	buffer_load_dword v118, off, s[0:3], 0 offset:8
	;; [unrolled: 1-line block ×7, first 2 shown]
	s_waitcnt vmcnt(7)
	global_store_dword v[115:116], v0, off
	buffer_load_dword v0, off, s[0:3], 0 offset:32
	s_nop 0
	buffer_load_dword v115, off, s[0:3], 0 offset:36
	buffer_load_dword v116, off, s[0:3], 0 offset:40
	s_waitcnt vmcnt(10)
	global_store_dword v[113:114], v117, off
	buffer_load_dword v113, off, s[0:3], 0 offset:44
	s_nop 0
	buffer_load_dword v114, off, s[0:3], 0 offset:48
	buffer_load_dword v117, off, s[0:3], 0 offset:52
	s_waitcnt vmcnt(13)
	global_store_dword v[1:2], v118, off
	buffer_load_dword v1, off, s[0:3], 0 offset:56
	s_nop 0
	buffer_load_dword v2, off, s[0:3], 0 offset:60
	buffer_load_dword v118, off, s[0:3], 0 offset:64
	s_waitcnt vmcnt(16)
	global_store_dword v[3:4], v119, off
	s_waitcnt vmcnt(16)
	global_store_dword v[5:6], v120, off
	;; [unrolled: 2-line block ×3, first 2 shown]
	buffer_load_dword v3, off, s[0:3], 0 offset:68
	buffer_load_dword v4, off, s[0:3], 0 offset:72
	;; [unrolled: 1-line block ×4, first 2 shown]
	s_nop 0
	buffer_load_dword v9, off, s[0:3], 0 offset:84
	buffer_load_dword v10, off, s[0:3], 0 offset:88
	buffer_load_dword v119, off, s[0:3], 0 offset:92
	s_waitcnt vmcnt(23)
	global_store_dword v[7:8], v122, off
	s_waitcnt vmcnt(23)
	global_store_dword v[13:14], v123, off
	buffer_load_dword v7, off, s[0:3], 0 offset:96
	buffer_load_dword v8, off, s[0:3], 0 offset:100
	s_nop 0
	buffer_load_dword v13, off, s[0:3], 0 offset:104
	buffer_load_dword v14, off, s[0:3], 0 offset:108
	;; [unrolled: 1-line block ×6, first 2 shown]
	s_waitcnt vmcnt(30)
	global_store_dword v[11:12], v0, off
	s_waitcnt vmcnt(30)
	global_store_dword v[15:16], v115, off
	;; [unrolled: 2-line block ×3, first 2 shown]
	buffer_load_dword v0, off, s[0:3], 0 offset:128
	buffer_load_dword v11, off, s[0:3], 0 offset:132
	buffer_load_dword v12, off, s[0:3], 0 offset:136
	buffer_load_dword v15, off, s[0:3], 0 offset:140
	buffer_load_dword v16, off, s[0:3], 0 offset:144
	buffer_load_dword v19, off, s[0:3], 0 offset:148
	buffer_load_dword v20, off, s[0:3], 0 offset:152
	buffer_load_dword v115, off, s[0:3], 0 offset:156
	s_waitcnt vmcnt(37)
	global_store_dword v[17:18], v113, off
	s_waitcnt vmcnt(37)
	global_store_dword v[21:22], v114, off
	;; [unrolled: 2-line block ×3, first 2 shown]
	buffer_load_dword v17, off, s[0:3], 0 offset:160
	buffer_load_dword v18, off, s[0:3], 0 offset:164
	;; [unrolled: 1-line block ×4, first 2 shown]
	s_nop 0
	buffer_load_dword v25, off, s[0:3], 0 offset:176
	buffer_load_dword v26, off, s[0:3], 0 offset:180
	;; [unrolled: 1-line block ×4, first 2 shown]
	s_waitcnt vmcnt(44)
	global_store_dword v[23:24], v1, off
	s_waitcnt vmcnt(44)
	global_store_dword v[29:30], v2, off
	buffer_load_dword v1, off, s[0:3], 0 offset:192
	s_nop 0
	buffer_load_dword v2, off, s[0:3], 0 offset:196
	buffer_load_dword v23, off, s[0:3], 0 offset:200
	;; [unrolled: 1-line block ×7, first 2 shown]
	s_waitcnt vmcnt(52)
	global_store_dword v[27:28], v118, off
	buffer_load_dword v27, off, s[0:3], 0 offset:224
	s_nop 0
	buffer_load_dword v28, off, s[0:3], 0 offset:228
	s_waitcnt vmcnt(51)
	global_store_dword v[31:32], v3, off
	s_waitcnt vmcnt(51)
	global_store_dword v[33:34], v4, off
	;; [unrolled: 2-line block ×41, first 2 shown]
.LBB57_1130:
	s_endpgm
	.section	.rodata,"a",@progbits
	.p2align	6, 0x0
	.amdhsa_kernel _ZN9rocsolver6v33100L18trti2_kernel_smallILi58EfPfEEv13rocblas_fill_17rocblas_diagonal_T1_iil
		.amdhsa_group_segment_fixed_size 472
		.amdhsa_private_segment_fixed_size 240
		.amdhsa_kernarg_size 32
		.amdhsa_user_sgpr_count 6
		.amdhsa_user_sgpr_private_segment_buffer 1
		.amdhsa_user_sgpr_dispatch_ptr 0
		.amdhsa_user_sgpr_queue_ptr 0
		.amdhsa_user_sgpr_kernarg_segment_ptr 1
		.amdhsa_user_sgpr_dispatch_id 0
		.amdhsa_user_sgpr_flat_scratch_init 0
		.amdhsa_user_sgpr_private_segment_size 0
		.amdhsa_uses_dynamic_stack 0
		.amdhsa_system_sgpr_private_segment_wavefront_offset 1
		.amdhsa_system_sgpr_workgroup_id_x 1
		.amdhsa_system_sgpr_workgroup_id_y 0
		.amdhsa_system_sgpr_workgroup_id_z 0
		.amdhsa_system_sgpr_workgroup_info 0
		.amdhsa_system_vgpr_workitem_id 0
		.amdhsa_next_free_vgpr 127
		.amdhsa_next_free_sgpr 71
		.amdhsa_reserve_vcc 1
		.amdhsa_reserve_flat_scratch 0
		.amdhsa_float_round_mode_32 0
		.amdhsa_float_round_mode_16_64 0
		.amdhsa_float_denorm_mode_32 3
		.amdhsa_float_denorm_mode_16_64 3
		.amdhsa_dx10_clamp 1
		.amdhsa_ieee_mode 1
		.amdhsa_fp16_overflow 0
		.amdhsa_exception_fp_ieee_invalid_op 0
		.amdhsa_exception_fp_denorm_src 0
		.amdhsa_exception_fp_ieee_div_zero 0
		.amdhsa_exception_fp_ieee_overflow 0
		.amdhsa_exception_fp_ieee_underflow 0
		.amdhsa_exception_fp_ieee_inexact 0
		.amdhsa_exception_int_div_zero 0
	.end_amdhsa_kernel
	.section	.text._ZN9rocsolver6v33100L18trti2_kernel_smallILi58EfPfEEv13rocblas_fill_17rocblas_diagonal_T1_iil,"axG",@progbits,_ZN9rocsolver6v33100L18trti2_kernel_smallILi58EfPfEEv13rocblas_fill_17rocblas_diagonal_T1_iil,comdat
.Lfunc_end57:
	.size	_ZN9rocsolver6v33100L18trti2_kernel_smallILi58EfPfEEv13rocblas_fill_17rocblas_diagonal_T1_iil, .Lfunc_end57-_ZN9rocsolver6v33100L18trti2_kernel_smallILi58EfPfEEv13rocblas_fill_17rocblas_diagonal_T1_iil
                                        ; -- End function
	.set _ZN9rocsolver6v33100L18trti2_kernel_smallILi58EfPfEEv13rocblas_fill_17rocblas_diagonal_T1_iil.num_vgpr, 127
	.set _ZN9rocsolver6v33100L18trti2_kernel_smallILi58EfPfEEv13rocblas_fill_17rocblas_diagonal_T1_iil.num_agpr, 0
	.set _ZN9rocsolver6v33100L18trti2_kernel_smallILi58EfPfEEv13rocblas_fill_17rocblas_diagonal_T1_iil.numbered_sgpr, 71
	.set _ZN9rocsolver6v33100L18trti2_kernel_smallILi58EfPfEEv13rocblas_fill_17rocblas_diagonal_T1_iil.num_named_barrier, 0
	.set _ZN9rocsolver6v33100L18trti2_kernel_smallILi58EfPfEEv13rocblas_fill_17rocblas_diagonal_T1_iil.private_seg_size, 240
	.set _ZN9rocsolver6v33100L18trti2_kernel_smallILi58EfPfEEv13rocblas_fill_17rocblas_diagonal_T1_iil.uses_vcc, 1
	.set _ZN9rocsolver6v33100L18trti2_kernel_smallILi58EfPfEEv13rocblas_fill_17rocblas_diagonal_T1_iil.uses_flat_scratch, 0
	.set _ZN9rocsolver6v33100L18trti2_kernel_smallILi58EfPfEEv13rocblas_fill_17rocblas_diagonal_T1_iil.has_dyn_sized_stack, 0
	.set _ZN9rocsolver6v33100L18trti2_kernel_smallILi58EfPfEEv13rocblas_fill_17rocblas_diagonal_T1_iil.has_recursion, 0
	.set _ZN9rocsolver6v33100L18trti2_kernel_smallILi58EfPfEEv13rocblas_fill_17rocblas_diagonal_T1_iil.has_indirect_call, 0
	.section	.AMDGPU.csdata,"",@progbits
; Kernel info:
; codeLenInByte = 28284
; TotalNumSgprs: 75
; NumVgprs: 127
; ScratchSize: 240
; MemoryBound: 0
; FloatMode: 240
; IeeeMode: 1
; LDSByteSize: 472 bytes/workgroup (compile time only)
; SGPRBlocks: 9
; VGPRBlocks: 31
; NumSGPRsForWavesPerEU: 75
; NumVGPRsForWavesPerEU: 127
; Occupancy: 2
; WaveLimiterHint : 0
; COMPUTE_PGM_RSRC2:SCRATCH_EN: 1
; COMPUTE_PGM_RSRC2:USER_SGPR: 6
; COMPUTE_PGM_RSRC2:TRAP_HANDLER: 0
; COMPUTE_PGM_RSRC2:TGID_X_EN: 1
; COMPUTE_PGM_RSRC2:TGID_Y_EN: 0
; COMPUTE_PGM_RSRC2:TGID_Z_EN: 0
; COMPUTE_PGM_RSRC2:TIDIG_COMP_CNT: 0
	.section	.text._ZN9rocsolver6v33100L18trti2_kernel_smallILi59EfPfEEv13rocblas_fill_17rocblas_diagonal_T1_iil,"axG",@progbits,_ZN9rocsolver6v33100L18trti2_kernel_smallILi59EfPfEEv13rocblas_fill_17rocblas_diagonal_T1_iil,comdat
	.globl	_ZN9rocsolver6v33100L18trti2_kernel_smallILi59EfPfEEv13rocblas_fill_17rocblas_diagonal_T1_iil ; -- Begin function _ZN9rocsolver6v33100L18trti2_kernel_smallILi59EfPfEEv13rocblas_fill_17rocblas_diagonal_T1_iil
	.p2align	8
	.type	_ZN9rocsolver6v33100L18trti2_kernel_smallILi59EfPfEEv13rocblas_fill_17rocblas_diagonal_T1_iil,@function
_ZN9rocsolver6v33100L18trti2_kernel_smallILi59EfPfEEv13rocblas_fill_17rocblas_diagonal_T1_iil: ; @_ZN9rocsolver6v33100L18trti2_kernel_smallILi59EfPfEEv13rocblas_fill_17rocblas_diagonal_T1_iil
; %bb.0:
	s_add_u32 s0, s0, s7
	s_addc_u32 s1, s1, 0
	v_cmp_gt_u32_e32 vcc, 59, v0
	s_and_saveexec_b64 s[8:9], vcc
	s_cbranch_execz .LBB58_1150
; %bb.1:
	s_load_dwordx8 s[8:15], s[4:5], 0x0
	s_ashr_i32 s7, s6, 31
	v_lshlrev_b32_e32 v119, 2, v0
	s_waitcnt lgkmcnt(0)
	s_ashr_i32 s5, s12, 31
	s_mov_b32 s4, s12
	s_mul_hi_u32 s12, s14, s6
	s_mul_i32 s7, s14, s7
	s_add_i32 s7, s12, s7
	s_mul_i32 s12, s15, s6
	s_add_i32 s7, s7, s12
	s_mul_i32 s6, s14, s6
	s_lshl_b64 s[6:7], s[6:7], 2
	s_add_u32 s6, s10, s6
	s_addc_u32 s7, s11, s7
	s_lshl_b64 s[4:5], s[4:5], 2
	s_add_u32 s4, s6, s4
	s_addc_u32 s5, s7, s5
	s_add_i32 s6, s13, s13
	v_add_u32_e32 v3, s6, v0
	v_ashrrev_i32_e32 v4, 31, v3
	v_lshlrev_b64 v[1:2], 2, v[3:4]
	v_add_u32_e32 v5, s13, v3
	v_add_co_u32_e32 v1, vcc, s4, v1
	v_mov_b32_e32 v4, s5
	v_ashrrev_i32_e32 v6, 31, v5
	v_addc_co_u32_e32 v2, vcc, v4, v2, vcc
	v_lshlrev_b64 v[3:4], 2, v[5:6]
	v_add_u32_e32 v7, s13, v5
	v_add_co_u32_e32 v3, vcc, s4, v3
	v_mov_b32_e32 v6, s5
	v_ashrrev_i32_e32 v8, 31, v7
	v_addc_co_u32_e32 v4, vcc, v6, v4, vcc
	;; [unrolled: 6-line block ×34, first 2 shown]
	v_lshlrev_b64 v[69:70], 2, v[71:72]
	v_add_u32_e32 v73, s13, v71
	v_mov_b32_e32 v72, s5
	v_add_co_u32_e32 v69, vcc, s4, v69
	v_ashrrev_i32_e32 v74, 31, v73
	v_addc_co_u32_e32 v70, vcc, v72, v70, vcc
	v_lshlrev_b64 v[71:72], 2, v[73:74]
	v_mov_b32_e32 v75, s5
	v_add_co_u32_e32 v71, vcc, s4, v71
	v_addc_co_u32_e32 v72, vcc, v75, v72, vcc
	v_add_u32_e32 v75, s13, v73
	v_ashrrev_i32_e32 v76, 31, v75
	v_lshlrev_b64 v[73:74], 2, v[75:76]
	v_mov_b32_e32 v77, s5
	v_add_co_u32_e32 v73, vcc, s4, v73
	v_addc_co_u32_e32 v74, vcc, v77, v74, vcc
	v_add_u32_e32 v77, s13, v75
	v_ashrrev_i32_e32 v78, 31, v77
	;; [unrolled: 6-line block ×5, first 2 shown]
	v_lshlrev_b64 v[81:82], 2, v[83:84]
	v_mov_b32_e32 v85, s5
	v_add_co_u32_e32 v81, vcc, s4, v81
	v_addc_co_u32_e32 v82, vcc, v85, v82, vcc
	v_add_u32_e32 v85, s13, v83
	global_load_dword v117, v119, s[4:5]
	v_ashrrev_i32_e32 v86, 31, v85
	v_lshlrev_b64 v[83:84], 2, v[85:86]
	v_mov_b32_e32 v87, s5
	v_add_co_u32_e32 v83, vcc, s4, v83
	v_addc_co_u32_e32 v84, vcc, v87, v84, vcc
	v_add_u32_e32 v87, s13, v85
	v_ashrrev_i32_e32 v88, 31, v87
	v_lshlrev_b64 v[85:86], 2, v[87:88]
	v_mov_b32_e32 v89, s5
	v_add_co_u32_e32 v85, vcc, s4, v85
	v_addc_co_u32_e32 v86, vcc, v89, v86, vcc
	v_add_u32_e32 v89, s13, v87
	;; [unrolled: 6-line block ×14, first 2 shown]
	v_ashrrev_i32_e32 v114, 31, v113
	v_lshlrev_b64 v[111:112], 2, v[113:114]
	v_add_u32_e32 v113, s13, v113
	v_ashrrev_i32_e32 v114, 31, v113
	v_mov_b32_e32 v115, s5
	v_add_co_u32_e32 v111, vcc, s4, v111
	v_lshlrev_b64 v[113:114], 2, v[113:114]
	v_addc_co_u32_e32 v112, vcc, v115, v112, vcc
	v_add_co_u32_e32 v113, vcc, s4, v113
	v_addc_co_u32_e32 v114, vcc, v115, v114, vcc
	v_mov_b32_e32 v116, s5
	v_add_co_u32_e32 v115, vcc, s4, v119
	s_ashr_i32 s5, s13, 31
	s_mov_b32 s4, s13
	v_addc_co_u32_e32 v116, vcc, 0, v116, vcc
	s_lshl_b64 s[4:5], s[4:5], 2
	s_waitcnt vmcnt(0)
	buffer_store_dword v117, off, s[0:3], 0
	v_mov_b32_e32 v118, s5
	v_add_co_u32_e32 v117, vcc, s4, v115
	v_addc_co_u32_e32 v118, vcc, v116, v118, vcc
	global_load_dword v120, v[117:118], off
	s_cmpk_lg_i32 s9, 0x84
	s_movk_i32 s12, 0x84
	s_cselect_b64 s[10:11], -1, 0
	s_cmpk_eq_i32 s9, 0x84
	s_waitcnt vmcnt(0)
	buffer_store_dword v120, off, s[0:3], 0 offset:4
	global_load_dword v120, v[1:2], off
	s_waitcnt vmcnt(0)
	buffer_store_dword v120, off, s[0:3], 0 offset:8
	global_load_dword v120, v[3:4], off
	;; [unrolled: 3-line block ×57, first 2 shown]
	s_waitcnt vmcnt(0)
	buffer_store_dword v120, off, s[0:3], 0 offset:232
	v_mov_b32_e32 v120, -1.0
	s_cbranch_scc1 .LBB58_3
; %bb.2:
	v_mov_b32_e32 v120, 0
	v_lshl_add_u32 v120, v0, 2, v120
	buffer_load_dword v121, v120, s[0:3], 0 offen
	s_waitcnt vmcnt(0)
	v_div_scale_f32 v122, s[4:5], v121, v121, 1.0
	v_div_scale_f32 v123, vcc, 1.0, v121, 1.0
	v_rcp_f32_e32 v124, v122
	v_fma_f32 v125, -v122, v124, 1.0
	v_fmac_f32_e32 v124, v125, v124
	v_mul_f32_e32 v125, v123, v124
	v_fma_f32 v126, -v122, v125, v123
	v_fmac_f32_e32 v125, v126, v124
	v_fma_f32 v122, -v122, v125, v123
	v_div_fmas_f32 v122, v122, v124, v125
	v_div_fixup_f32 v121, v122, v121, 1.0
	buffer_store_dword v121, v120, s[0:3], 0 offen
	v_xor_b32_e32 v120, 0x80000000, v121
.LBB58_3:
	ds_write_b32 v119, v120
	s_cmpk_eq_i32 s8, 0x79
	v_add_u32_e32 v120, 0xf0, v119
	v_mov_b32_e32 v121, v119
	s_mov_b64 s[4:5], -1
	s_cbranch_scc1 .LBB58_577
; %bb.4:
	buffer_load_dword v122, off, s[0:3], 0 offset:228
	s_movk_i32 s30, 0x44
	s_movk_i32 s31, 0x48
	;; [unrolled: 1-line block ×39, first 2 shown]
	v_cmp_eq_u32_e64 s[4:5], 58, v0
	s_waitcnt vmcnt(0)
	ds_write_b32 v120, v122
	s_waitcnt lgkmcnt(0)
	; wave barrier
	s_and_saveexec_b64 s[6:7], s[4:5]
	s_cbranch_execz .LBB58_10
; %bb.5:
	s_and_b64 vcc, exec, s[10:11]
	s_cbranch_vccz .LBB58_7
; %bb.6:
	buffer_load_dword v122, v121, s[0:3], 0 offen
	ds_read_b32 v123, v120
	s_waitcnt vmcnt(0) lgkmcnt(0)
	v_mul_f32_e32 v122, v122, v123
	s_cbranch_execz .LBB58_8
	s_branch .LBB58_9
.LBB58_7:
                                        ; implicit-def: $vgpr122
.LBB58_8:
	ds_read_b32 v122, v120
.LBB58_9:
	v_mov_b32_e32 v123, 0
	ds_read_b32 v123, v123 offset:228
	s_waitcnt lgkmcnt(0)
	v_mul_f32_e32 v122, v122, v123
	buffer_store_dword v122, off, s[0:3], 0 offset:228
.LBB58_10:
	s_or_b64 exec, exec, s[6:7]
	buffer_load_dword v122, off, s[0:3], 0 offset:224
	s_or_b32 s14, 0, 4
	s_or_b32 s15, 0, 8
	;; [unrolled: 1-line block ×3, first 2 shown]
	s_mov_b32 s17, 16
	s_mov_b32 s18, 20
	;; [unrolled: 1-line block ×15, first 2 shown]
	v_cmp_lt_u32_e64 s[6:7], 56, v0
	s_waitcnt vmcnt(0)
	ds_write_b32 v120, v122
	s_waitcnt lgkmcnt(0)
	; wave barrier
	s_and_saveexec_b64 s[8:9], s[6:7]
	s_cbranch_execz .LBB58_16
; %bb.11:
	s_andn2_b64 vcc, exec, s[10:11]
	s_cbranch_vccnz .LBB58_13
; %bb.12:
	buffer_load_dword v122, v121, s[0:3], 0 offen
	ds_read_b32 v123, v120
	s_waitcnt vmcnt(0) lgkmcnt(0)
	v_mul_f32_e32 v122, v122, v123
	s_cbranch_execz .LBB58_14
	s_branch .LBB58_15
.LBB58_13:
                                        ; implicit-def: $vgpr122
.LBB58_14:
	ds_read_b32 v122, v120
.LBB58_15:
	buffer_load_dword v125, off, s[0:3], 0 offset:228
	v_mov_b32_e32 v123, 0
	ds_read2_b32 v[123:124], v123 offset0:56 offset1:117
	s_waitcnt vmcnt(0) lgkmcnt(0)
	v_fma_f32 v124, v125, v124, v122
	v_cndmask_b32_e64 v122, v122, v124, s[4:5]
	v_mul_f32_e32 v122, v122, v123
	buffer_store_dword v122, off, s[0:3], 0 offset:224
.LBB58_16:
	s_or_b64 exec, exec, s[8:9]
	buffer_load_dword v122, off, s[0:3], 0 offset:220
	v_cmp_lt_u32_e64 s[4:5], 55, v0
	s_waitcnt vmcnt(0)
	ds_write_b32 v120, v122
	s_waitcnt lgkmcnt(0)
	; wave barrier
	s_and_saveexec_b64 s[8:9], s[4:5]
	s_cbranch_execz .LBB58_26
; %bb.17:
	s_andn2_b64 vcc, exec, s[10:11]
	s_cbranch_vccnz .LBB58_19
; %bb.18:
	buffer_load_dword v122, v121, s[0:3], 0 offen
	ds_read_b32 v123, v120
	s_waitcnt vmcnt(0) lgkmcnt(0)
	v_mul_f32_e32 v122, v122, v123
	s_cbranch_execz .LBB58_20
	s_branch .LBB58_21
.LBB58_19:
                                        ; implicit-def: $vgpr122
.LBB58_20:
	ds_read_b32 v122, v120
.LBB58_21:
	s_and_saveexec_b64 s[12:13], s[6:7]
	s_cbranch_execz .LBB58_25
; %bb.22:
	v_subrev_u32_e32 v123, 56, v0
	s_movk_i32 s71, 0x1d0
	s_mov_b64 s[6:7], 0
.LBB58_23:                              ; =>This Inner Loop Header: Depth=1
	v_mov_b32_e32 v124, s70
	buffer_load_dword v124, v124, s[0:3], 0 offen
	v_mov_b32_e32 v125, s71
	ds_read_b32 v125, v125
	v_add_u32_e32 v123, -1, v123
	s_add_i32 s71, s71, 4
	s_add_i32 s70, s70, 4
	v_cmp_eq_u32_e32 vcc, 0, v123
	s_or_b64 s[6:7], vcc, s[6:7]
	s_waitcnt vmcnt(0) lgkmcnt(0)
	v_fmac_f32_e32 v122, v124, v125
	s_andn2_b64 exec, exec, s[6:7]
	s_cbranch_execnz .LBB58_23
; %bb.24:
	s_or_b64 exec, exec, s[6:7]
.LBB58_25:
	s_or_b64 exec, exec, s[12:13]
	v_mov_b32_e32 v123, 0
	ds_read_b32 v123, v123 offset:220
	s_waitcnt lgkmcnt(0)
	v_mul_f32_e32 v122, v122, v123
	buffer_store_dword v122, off, s[0:3], 0 offset:220
.LBB58_26:
	s_or_b64 exec, exec, s[8:9]
	buffer_load_dword v122, off, s[0:3], 0 offset:216
	v_cmp_lt_u32_e64 s[6:7], 54, v0
	s_waitcnt vmcnt(0)
	ds_write_b32 v120, v122
	s_waitcnt lgkmcnt(0)
	; wave barrier
	s_and_saveexec_b64 s[8:9], s[6:7]
	s_cbranch_execz .LBB58_36
; %bb.27:
	s_andn2_b64 vcc, exec, s[10:11]
	s_cbranch_vccnz .LBB58_29
; %bb.28:
	buffer_load_dword v122, v121, s[0:3], 0 offen
	ds_read_b32 v123, v120
	s_waitcnt vmcnt(0) lgkmcnt(0)
	v_mul_f32_e32 v122, v122, v123
	s_cbranch_execz .LBB58_30
	s_branch .LBB58_31
.LBB58_29:
                                        ; implicit-def: $vgpr122
.LBB58_30:
	ds_read_b32 v122, v120
.LBB58_31:
	s_and_saveexec_b64 s[12:13], s[4:5]
	s_cbranch_execz .LBB58_35
; %bb.32:
	v_subrev_u32_e32 v123, 55, v0
	s_movk_i32 s70, 0x1cc
	s_mov_b64 s[4:5], 0
.LBB58_33:                              ; =>This Inner Loop Header: Depth=1
	v_mov_b32_e32 v124, s69
	buffer_load_dword v124, v124, s[0:3], 0 offen
	v_mov_b32_e32 v125, s70
	ds_read_b32 v125, v125
	v_add_u32_e32 v123, -1, v123
	s_add_i32 s70, s70, 4
	s_add_i32 s69, s69, 4
	v_cmp_eq_u32_e32 vcc, 0, v123
	s_or_b64 s[4:5], vcc, s[4:5]
	s_waitcnt vmcnt(0) lgkmcnt(0)
	v_fmac_f32_e32 v122, v124, v125
	s_andn2_b64 exec, exec, s[4:5]
	s_cbranch_execnz .LBB58_33
; %bb.34:
	s_or_b64 exec, exec, s[4:5]
.LBB58_35:
	s_or_b64 exec, exec, s[12:13]
	v_mov_b32_e32 v123, 0
	ds_read_b32 v123, v123 offset:216
	s_waitcnt lgkmcnt(0)
	v_mul_f32_e32 v122, v122, v123
	buffer_store_dword v122, off, s[0:3], 0 offset:216
.LBB58_36:
	;; [unrolled: 54-line block ×8, first 2 shown]
	s_or_b64 exec, exec, s[8:9]
	buffer_load_dword v122, off, s[0:3], 0 offset:188
	v_cmp_lt_u32_e64 s[4:5], 47, v0
	s_waitcnt vmcnt(0)
	ds_write_b32 v120, v122
	s_waitcnt lgkmcnt(0)
	; wave barrier
	s_and_saveexec_b64 s[8:9], s[4:5]
	s_cbranch_execz .LBB58_106
; %bb.97:
	s_andn2_b64 vcc, exec, s[10:11]
	s_cbranch_vccnz .LBB58_99
; %bb.98:
	buffer_load_dword v122, v121, s[0:3], 0 offen
	ds_read_b32 v123, v120
	s_waitcnt vmcnt(0) lgkmcnt(0)
	v_mul_f32_e32 v122, v122, v123
	s_cbranch_execz .LBB58_100
	s_branch .LBB58_101
.LBB58_99:
                                        ; implicit-def: $vgpr122
.LBB58_100:
	ds_read_b32 v122, v120
.LBB58_101:
	s_and_saveexec_b64 s[12:13], s[6:7]
	s_cbranch_execz .LBB58_105
; %bb.102:
	v_subrev_u32_e32 v123, 48, v0
	s_movk_i32 s63, 0x1b0
	s_mov_b64 s[6:7], 0
.LBB58_103:                             ; =>This Inner Loop Header: Depth=1
	v_mov_b32_e32 v124, s62
	buffer_load_dword v124, v124, s[0:3], 0 offen
	v_mov_b32_e32 v125, s63
	ds_read_b32 v125, v125
	v_add_u32_e32 v123, -1, v123
	s_add_i32 s63, s63, 4
	s_add_i32 s62, s62, 4
	v_cmp_eq_u32_e32 vcc, 0, v123
	s_or_b64 s[6:7], vcc, s[6:7]
	s_waitcnt vmcnt(0) lgkmcnt(0)
	v_fmac_f32_e32 v122, v124, v125
	s_andn2_b64 exec, exec, s[6:7]
	s_cbranch_execnz .LBB58_103
; %bb.104:
	s_or_b64 exec, exec, s[6:7]
.LBB58_105:
	s_or_b64 exec, exec, s[12:13]
	v_mov_b32_e32 v123, 0
	ds_read_b32 v123, v123 offset:188
	s_waitcnt lgkmcnt(0)
	v_mul_f32_e32 v122, v122, v123
	buffer_store_dword v122, off, s[0:3], 0 offset:188
.LBB58_106:
	s_or_b64 exec, exec, s[8:9]
	buffer_load_dword v122, off, s[0:3], 0 offset:184
	v_cmp_lt_u32_e64 s[6:7], 46, v0
	s_waitcnt vmcnt(0)
	ds_write_b32 v120, v122
	s_waitcnt lgkmcnt(0)
	; wave barrier
	s_and_saveexec_b64 s[8:9], s[6:7]
	s_cbranch_execz .LBB58_116
; %bb.107:
	s_andn2_b64 vcc, exec, s[10:11]
	s_cbranch_vccnz .LBB58_109
; %bb.108:
	buffer_load_dword v122, v121, s[0:3], 0 offen
	ds_read_b32 v123, v120
	s_waitcnt vmcnt(0) lgkmcnt(0)
	v_mul_f32_e32 v122, v122, v123
	s_cbranch_execz .LBB58_110
	s_branch .LBB58_111
.LBB58_109:
                                        ; implicit-def: $vgpr122
.LBB58_110:
	ds_read_b32 v122, v120
.LBB58_111:
	s_and_saveexec_b64 s[12:13], s[4:5]
	s_cbranch_execz .LBB58_115
; %bb.112:
	v_subrev_u32_e32 v123, 47, v0
	s_movk_i32 s62, 0x1ac
	s_mov_b64 s[4:5], 0
.LBB58_113:                             ; =>This Inner Loop Header: Depth=1
	v_mov_b32_e32 v124, s61
	buffer_load_dword v124, v124, s[0:3], 0 offen
	v_mov_b32_e32 v125, s62
	ds_read_b32 v125, v125
	v_add_u32_e32 v123, -1, v123
	s_add_i32 s62, s62, 4
	s_add_i32 s61, s61, 4
	v_cmp_eq_u32_e32 vcc, 0, v123
	s_or_b64 s[4:5], vcc, s[4:5]
	s_waitcnt vmcnt(0) lgkmcnt(0)
	v_fmac_f32_e32 v122, v124, v125
	s_andn2_b64 exec, exec, s[4:5]
	s_cbranch_execnz .LBB58_113
; %bb.114:
	s_or_b64 exec, exec, s[4:5]
.LBB58_115:
	s_or_b64 exec, exec, s[12:13]
	v_mov_b32_e32 v123, 0
	ds_read_b32 v123, v123 offset:184
	s_waitcnt lgkmcnt(0)
	v_mul_f32_e32 v122, v122, v123
	buffer_store_dword v122, off, s[0:3], 0 offset:184
.LBB58_116:
	;; [unrolled: 54-line block ×32, first 2 shown]
	s_or_b64 exec, exec, s[8:9]
	buffer_load_dword v122, off, s[0:3], 0 offset:60
	v_cmp_lt_u32_e64 s[4:5], 15, v0
	s_waitcnt vmcnt(0)
	ds_write_b32 v120, v122
	s_waitcnt lgkmcnt(0)
	; wave barrier
	s_and_saveexec_b64 s[8:9], s[4:5]
	s_cbranch_execz .LBB58_426
; %bb.417:
	s_andn2_b64 vcc, exec, s[10:11]
	s_cbranch_vccnz .LBB58_419
; %bb.418:
	buffer_load_dword v122, v121, s[0:3], 0 offen
	ds_read_b32 v123, v120
	s_waitcnt vmcnt(0) lgkmcnt(0)
	v_mul_f32_e32 v122, v122, v123
	s_cbranch_execz .LBB58_420
	s_branch .LBB58_421
.LBB58_419:
                                        ; implicit-def: $vgpr122
.LBB58_420:
	ds_read_b32 v122, v120
.LBB58_421:
	s_and_saveexec_b64 s[12:13], s[6:7]
	s_cbranch_execz .LBB58_425
; %bb.422:
	v_add_u32_e32 v123, -16, v0
	s_movk_i32 s30, 0x130
	s_mov_b64 s[6:7], 0
.LBB58_423:                             ; =>This Inner Loop Header: Depth=1
	v_mov_b32_e32 v124, s29
	buffer_load_dword v124, v124, s[0:3], 0 offen
	v_mov_b32_e32 v125, s30
	ds_read_b32 v125, v125
	v_add_u32_e32 v123, -1, v123
	s_add_i32 s30, s30, 4
	s_add_i32 s29, s29, 4
	v_cmp_eq_u32_e32 vcc, 0, v123
	s_or_b64 s[6:7], vcc, s[6:7]
	s_waitcnt vmcnt(0) lgkmcnt(0)
	v_fmac_f32_e32 v122, v124, v125
	s_andn2_b64 exec, exec, s[6:7]
	s_cbranch_execnz .LBB58_423
; %bb.424:
	s_or_b64 exec, exec, s[6:7]
.LBB58_425:
	s_or_b64 exec, exec, s[12:13]
	v_mov_b32_e32 v123, 0
	ds_read_b32 v123, v123 offset:60
	s_waitcnt lgkmcnt(0)
	v_mul_f32_e32 v122, v122, v123
	buffer_store_dword v122, off, s[0:3], 0 offset:60
.LBB58_426:
	s_or_b64 exec, exec, s[8:9]
	buffer_load_dword v122, off, s[0:3], 0 offset:56
	v_cmp_lt_u32_e64 s[6:7], 14, v0
	s_waitcnt vmcnt(0)
	ds_write_b32 v120, v122
	s_waitcnt lgkmcnt(0)
	; wave barrier
	s_and_saveexec_b64 s[8:9], s[6:7]
	s_cbranch_execz .LBB58_436
; %bb.427:
	s_andn2_b64 vcc, exec, s[10:11]
	s_cbranch_vccnz .LBB58_429
; %bb.428:
	buffer_load_dword v122, v121, s[0:3], 0 offen
	ds_read_b32 v123, v120
	s_waitcnt vmcnt(0) lgkmcnt(0)
	v_mul_f32_e32 v122, v122, v123
	s_cbranch_execz .LBB58_430
	s_branch .LBB58_431
.LBB58_429:
                                        ; implicit-def: $vgpr122
.LBB58_430:
	ds_read_b32 v122, v120
.LBB58_431:
	s_and_saveexec_b64 s[12:13], s[4:5]
	s_cbranch_execz .LBB58_435
; %bb.432:
	v_add_u32_e32 v123, -15, v0
	s_movk_i32 s29, 0x12c
	s_mov_b64 s[4:5], 0
.LBB58_433:                             ; =>This Inner Loop Header: Depth=1
	v_mov_b32_e32 v124, s28
	buffer_load_dword v124, v124, s[0:3], 0 offen
	v_mov_b32_e32 v125, s29
	ds_read_b32 v125, v125
	v_add_u32_e32 v123, -1, v123
	s_add_i32 s29, s29, 4
	s_add_i32 s28, s28, 4
	v_cmp_eq_u32_e32 vcc, 0, v123
	s_or_b64 s[4:5], vcc, s[4:5]
	s_waitcnt vmcnt(0) lgkmcnt(0)
	v_fmac_f32_e32 v122, v124, v125
	s_andn2_b64 exec, exec, s[4:5]
	s_cbranch_execnz .LBB58_433
; %bb.434:
	s_or_b64 exec, exec, s[4:5]
.LBB58_435:
	s_or_b64 exec, exec, s[12:13]
	v_mov_b32_e32 v123, 0
	ds_read_b32 v123, v123 offset:56
	s_waitcnt lgkmcnt(0)
	v_mul_f32_e32 v122, v122, v123
	buffer_store_dword v122, off, s[0:3], 0 offset:56
.LBB58_436:
	;; [unrolled: 54-line block ×15, first 2 shown]
	s_or_b64 exec, exec, s[8:9]
	buffer_load_dword v122, off, s[0:3], 0
	v_cmp_ne_u32_e32 vcc, 0, v0
	s_waitcnt vmcnt(0)
	ds_write_b32 v120, v122
	s_waitcnt lgkmcnt(0)
	; wave barrier
	s_and_saveexec_b64 s[6:7], vcc
	s_cbranch_execz .LBB58_576
; %bb.567:
	s_andn2_b64 vcc, exec, s[10:11]
	s_cbranch_vccnz .LBB58_569
; %bb.568:
	buffer_load_dword v122, v121, s[0:3], 0 offen
	ds_read_b32 v123, v120
	s_waitcnt vmcnt(0) lgkmcnt(0)
	v_mul_f32_e32 v122, v122, v123
	s_cbranch_execz .LBB58_570
	s_branch .LBB58_571
.LBB58_569:
                                        ; implicit-def: $vgpr122
.LBB58_570:
	ds_read_b32 v122, v120
.LBB58_571:
	s_and_saveexec_b64 s[8:9], s[4:5]
	s_cbranch_execz .LBB58_575
; %bb.572:
	v_add_u32_e32 v123, -1, v0
	s_movk_i32 s12, 0xf4
	s_mov_b64 s[4:5], 0
.LBB58_573:                             ; =>This Inner Loop Header: Depth=1
	v_mov_b32_e32 v124, s14
	buffer_load_dword v124, v124, s[0:3], 0 offen
	v_mov_b32_e32 v125, s12
	ds_read_b32 v125, v125
	v_add_u32_e32 v123, -1, v123
	s_add_i32 s12, s12, 4
	s_add_i32 s14, s14, 4
	v_cmp_eq_u32_e32 vcc, 0, v123
	s_or_b64 s[4:5], vcc, s[4:5]
	s_waitcnt vmcnt(0) lgkmcnt(0)
	v_fmac_f32_e32 v122, v124, v125
	s_andn2_b64 exec, exec, s[4:5]
	s_cbranch_execnz .LBB58_573
; %bb.574:
	s_or_b64 exec, exec, s[4:5]
.LBB58_575:
	s_or_b64 exec, exec, s[8:9]
	v_mov_b32_e32 v123, 0
	ds_read_b32 v123, v123
	s_waitcnt lgkmcnt(0)
	v_mul_f32_e32 v122, v122, v123
	buffer_store_dword v122, off, s[0:3], 0
.LBB58_576:
	s_or_b64 exec, exec, s[6:7]
	s_mov_b64 s[4:5], 0
.LBB58_577:
	s_and_b64 vcc, exec, s[4:5]
	s_cbranch_vccz .LBB58_1149
; %bb.578:
	buffer_load_dword v122, off, s[0:3], 0 offset:4
	v_cmp_eq_u32_e64 s[6:7], 0, v0
	s_waitcnt vmcnt(0)
	ds_write_b32 v120, v122
	s_waitcnt lgkmcnt(0)
	; wave barrier
	s_and_saveexec_b64 s[4:5], s[6:7]
	s_cbranch_execz .LBB58_584
; %bb.579:
	s_and_b64 vcc, exec, s[10:11]
	s_cbranch_vccz .LBB58_581
; %bb.580:
	buffer_load_dword v122, v121, s[0:3], 0 offen
	ds_read_b32 v123, v120
	s_waitcnt vmcnt(0) lgkmcnt(0)
	v_mul_f32_e32 v122, v122, v123
	s_cbranch_execz .LBB58_582
	s_branch .LBB58_583
.LBB58_581:
                                        ; implicit-def: $vgpr122
.LBB58_582:
	ds_read_b32 v122, v120
.LBB58_583:
	v_mov_b32_e32 v123, 0
	ds_read_b32 v123, v123 offset:4
	s_waitcnt lgkmcnt(0)
	v_mul_f32_e32 v122, v122, v123
	buffer_store_dword v122, off, s[0:3], 0 offset:4
.LBB58_584:
	s_or_b64 exec, exec, s[4:5]
	buffer_load_dword v122, off, s[0:3], 0 offset:8
	v_cndmask_b32_e64 v123, 0, 1, s[10:11]
	v_cmp_gt_u32_e32 vcc, 2, v0
	v_cmp_ne_u32_e64 s[4:5], 1, v123
	s_waitcnt vmcnt(0)
	ds_write_b32 v120, v122
	s_waitcnt lgkmcnt(0)
	; wave barrier
	s_and_saveexec_b64 s[8:9], vcc
	s_cbranch_execz .LBB58_590
; %bb.585:
	s_and_b64 vcc, exec, s[4:5]
	s_cbranch_vccnz .LBB58_587
; %bb.586:
	buffer_load_dword v122, v121, s[0:3], 0 offen
	ds_read_b32 v123, v120
	s_waitcnt vmcnt(0) lgkmcnt(0)
	v_mul_f32_e32 v122, v122, v123
	s_cbranch_execz .LBB58_588
	s_branch .LBB58_589
.LBB58_587:
                                        ; implicit-def: $vgpr122
.LBB58_588:
	ds_read_b32 v122, v120
.LBB58_589:
	buffer_load_dword v125, off, s[0:3], 0 offset:4
	v_mov_b32_e32 v123, 0
	ds_read2_b32 v[123:124], v123 offset0:2 offset1:61
	s_waitcnt vmcnt(0) lgkmcnt(0)
	v_fma_f32 v124, v125, v124, v122
	v_cndmask_b32_e64 v122, v122, v124, s[6:7]
	v_mul_f32_e32 v122, v122, v123
	buffer_store_dword v122, off, s[0:3], 0 offset:8
.LBB58_590:
	s_or_b64 exec, exec, s[8:9]
	buffer_load_dword v122, off, s[0:3], 0 offset:12
	v_cmp_gt_u32_e32 vcc, 3, v0
	s_waitcnt vmcnt(0)
	ds_write_b32 v120, v122
	s_waitcnt lgkmcnt(0)
	; wave barrier
	s_and_saveexec_b64 s[8:9], vcc
	s_cbranch_execz .LBB58_598
; %bb.591:
	s_and_b64 vcc, exec, s[4:5]
	s_cbranch_vccnz .LBB58_593
; %bb.592:
	buffer_load_dword v122, v121, s[0:3], 0 offen
	ds_read_b32 v123, v120
	s_waitcnt vmcnt(0) lgkmcnt(0)
	v_mul_f32_e32 v122, v122, v123
	s_cbranch_execz .LBB58_594
	s_branch .LBB58_595
.LBB58_593:
                                        ; implicit-def: $vgpr122
.LBB58_594:
	ds_read_b32 v122, v120
.LBB58_595:
	v_cmp_ne_u32_e32 vcc, 2, v0
	s_and_saveexec_b64 s[10:11], vcc
	s_cbranch_execz .LBB58_597
; %bb.596:
	buffer_load_dword v123, v121, s[0:3], 0 offen offset:4
	buffer_load_dword v124, off, s[0:3], 0 offset:8
	v_mov_b32_e32 v125, 0
	ds_read_b32 v126, v120 offset:4
	ds_read_b32 v125, v125 offset:248
	s_waitcnt vmcnt(1) lgkmcnt(1)
	v_fmac_f32_e32 v122, v123, v126
	s_waitcnt vmcnt(0) lgkmcnt(0)
	v_fma_f32 v123, v124, v125, v122
	v_cndmask_b32_e64 v122, v122, v123, s[6:7]
.LBB58_597:
	s_or_b64 exec, exec, s[10:11]
	v_mov_b32_e32 v123, 0
	ds_read_b32 v123, v123 offset:12
	s_waitcnt lgkmcnt(0)
	v_mul_f32_e32 v122, v122, v123
	buffer_store_dword v122, off, s[0:3], 0 offset:12
.LBB58_598:
	s_or_b64 exec, exec, s[8:9]
	buffer_load_dword v122, off, s[0:3], 0 offset:16
	v_cmp_gt_u32_e32 vcc, 4, v0
	s_waitcnt vmcnt(0)
	ds_write_b32 v120, v122
	s_waitcnt lgkmcnt(0)
	; wave barrier
	s_and_saveexec_b64 s[6:7], vcc
	s_cbranch_execz .LBB58_608
; %bb.599:
	s_and_b64 vcc, exec, s[4:5]
	s_cbranch_vccnz .LBB58_601
; %bb.600:
	buffer_load_dword v122, v121, s[0:3], 0 offen
	ds_read_b32 v123, v120
	s_waitcnt vmcnt(0) lgkmcnt(0)
	v_mul_f32_e32 v122, v122, v123
	s_cbranch_execz .LBB58_602
	s_branch .LBB58_603
.LBB58_601:
                                        ; implicit-def: $vgpr122
.LBB58_602:
	ds_read_b32 v122, v120
.LBB58_603:
	v_cmp_ne_u32_e32 vcc, 3, v0
	s_and_saveexec_b64 s[8:9], vcc
	s_cbranch_execz .LBB58_607
; %bb.604:
	s_mov_b32 s10, 0
	v_add_u32_e32 v123, 0xf4, v119
	v_add3_u32 v124, v119, s10, 4
	s_mov_b64 s[10:11], 0
	v_mov_b32_e32 v125, v0
.LBB58_605:                             ; =>This Inner Loop Header: Depth=1
	buffer_load_dword v126, v124, s[0:3], 0 offen
	ds_read_b32 v127, v123
	v_add_u32_e32 v125, 1, v125
	v_cmp_lt_u32_e32 vcc, 2, v125
	v_add_u32_e32 v123, 4, v123
	v_add_u32_e32 v124, 4, v124
	s_or_b64 s[10:11], vcc, s[10:11]
	s_waitcnt vmcnt(0) lgkmcnt(0)
	v_fmac_f32_e32 v122, v126, v127
	s_andn2_b64 exec, exec, s[10:11]
	s_cbranch_execnz .LBB58_605
; %bb.606:
	s_or_b64 exec, exec, s[10:11]
.LBB58_607:
	s_or_b64 exec, exec, s[8:9]
	v_mov_b32_e32 v123, 0
	ds_read_b32 v123, v123 offset:16
	s_waitcnt lgkmcnt(0)
	v_mul_f32_e32 v122, v122, v123
	buffer_store_dword v122, off, s[0:3], 0 offset:16
.LBB58_608:
	s_or_b64 exec, exec, s[6:7]
	buffer_load_dword v122, off, s[0:3], 0 offset:20
	v_cmp_gt_u32_e32 vcc, 5, v0
	s_waitcnt vmcnt(0)
	ds_write_b32 v120, v122
	s_waitcnt lgkmcnt(0)
	; wave barrier
	s_and_saveexec_b64 s[6:7], vcc
	s_cbranch_execz .LBB58_618
; %bb.609:
	s_and_b64 vcc, exec, s[4:5]
	s_cbranch_vccnz .LBB58_611
; %bb.610:
	buffer_load_dword v122, v121, s[0:3], 0 offen
	ds_read_b32 v123, v120
	s_waitcnt vmcnt(0) lgkmcnt(0)
	v_mul_f32_e32 v122, v122, v123
	s_cbranch_execz .LBB58_612
	s_branch .LBB58_613
.LBB58_611:
                                        ; implicit-def: $vgpr122
.LBB58_612:
	ds_read_b32 v122, v120
.LBB58_613:
	v_cmp_ne_u32_e32 vcc, 4, v0
	s_and_saveexec_b64 s[8:9], vcc
	s_cbranch_execz .LBB58_617
; %bb.614:
	s_mov_b32 s10, 0
	v_add_u32_e32 v123, 0xf4, v119
	v_add3_u32 v124, v119, s10, 4
	s_mov_b64 s[10:11], 0
	v_mov_b32_e32 v125, v0
.LBB58_615:                             ; =>This Inner Loop Header: Depth=1
	buffer_load_dword v126, v124, s[0:3], 0 offen
	ds_read_b32 v127, v123
	v_add_u32_e32 v125, 1, v125
	v_cmp_lt_u32_e32 vcc, 3, v125
	v_add_u32_e32 v123, 4, v123
	v_add_u32_e32 v124, 4, v124
	s_or_b64 s[10:11], vcc, s[10:11]
	s_waitcnt vmcnt(0) lgkmcnt(0)
	v_fmac_f32_e32 v122, v126, v127
	s_andn2_b64 exec, exec, s[10:11]
	s_cbranch_execnz .LBB58_615
; %bb.616:
	s_or_b64 exec, exec, s[10:11]
.LBB58_617:
	s_or_b64 exec, exec, s[8:9]
	v_mov_b32_e32 v123, 0
	ds_read_b32 v123, v123 offset:20
	s_waitcnt lgkmcnt(0)
	v_mul_f32_e32 v122, v122, v123
	buffer_store_dword v122, off, s[0:3], 0 offset:20
.LBB58_618:
	;; [unrolled: 55-line block ×40, first 2 shown]
	s_or_b64 exec, exec, s[6:7]
	buffer_load_dword v122, off, s[0:3], 0 offset:176
	v_cmp_gt_u32_e32 vcc, 44, v0
	s_waitcnt vmcnt(0)
	ds_write_b32 v120, v122
	s_waitcnt lgkmcnt(0)
	; wave barrier
	s_and_saveexec_b64 s[6:7], vcc
	s_cbranch_execz .LBB58_1008
; %bb.999:
	s_and_b64 vcc, exec, s[4:5]
	s_cbranch_vccnz .LBB58_1001
; %bb.1000:
	buffer_load_dword v122, v121, s[0:3], 0 offen
	ds_read_b32 v123, v120
	s_waitcnt vmcnt(0) lgkmcnt(0)
	v_mul_f32_e32 v122, v122, v123
	s_cbranch_execz .LBB58_1002
	s_branch .LBB58_1003
.LBB58_1001:
                                        ; implicit-def: $vgpr122
.LBB58_1002:
	ds_read_b32 v122, v120
.LBB58_1003:
	v_cmp_ne_u32_e32 vcc, 43, v0
	s_and_saveexec_b64 s[8:9], vcc
	s_cbranch_execz .LBB58_1007
; %bb.1004:
	s_mov_b32 s10, 0
	v_add_u32_e32 v123, 0xf4, v119
	v_add3_u32 v124, v119, s10, 4
	s_mov_b64 s[10:11], 0
	v_mov_b32_e32 v125, v0
.LBB58_1005:                            ; =>This Inner Loop Header: Depth=1
	buffer_load_dword v126, v124, s[0:3], 0 offen
	ds_read_b32 v127, v123
	v_add_u32_e32 v125, 1, v125
	v_cmp_lt_u32_e32 vcc, 42, v125
	v_add_u32_e32 v123, 4, v123
	v_add_u32_e32 v124, 4, v124
	s_or_b64 s[10:11], vcc, s[10:11]
	s_waitcnt vmcnt(0) lgkmcnt(0)
	v_fmac_f32_e32 v122, v126, v127
	s_andn2_b64 exec, exec, s[10:11]
	s_cbranch_execnz .LBB58_1005
; %bb.1006:
	s_or_b64 exec, exec, s[10:11]
.LBB58_1007:
	s_or_b64 exec, exec, s[8:9]
	v_mov_b32_e32 v123, 0
	ds_read_b32 v123, v123 offset:176
	s_waitcnt lgkmcnt(0)
	v_mul_f32_e32 v122, v122, v123
	buffer_store_dword v122, off, s[0:3], 0 offset:176
.LBB58_1008:
	s_or_b64 exec, exec, s[6:7]
	buffer_load_dword v122, off, s[0:3], 0 offset:180
	v_cmp_gt_u32_e32 vcc, 45, v0
	s_waitcnt vmcnt(0)
	ds_write_b32 v120, v122
	s_waitcnt lgkmcnt(0)
	; wave barrier
	s_and_saveexec_b64 s[6:7], vcc
	s_cbranch_execz .LBB58_1018
; %bb.1009:
	s_and_b64 vcc, exec, s[4:5]
	s_cbranch_vccnz .LBB58_1011
; %bb.1010:
	buffer_load_dword v122, v121, s[0:3], 0 offen
	ds_read_b32 v123, v120
	s_waitcnt vmcnt(0) lgkmcnt(0)
	v_mul_f32_e32 v122, v122, v123
	s_cbranch_execz .LBB58_1012
	s_branch .LBB58_1013
.LBB58_1011:
                                        ; implicit-def: $vgpr122
.LBB58_1012:
	ds_read_b32 v122, v120
.LBB58_1013:
	v_cmp_ne_u32_e32 vcc, 44, v0
	s_and_saveexec_b64 s[8:9], vcc
	s_cbranch_execz .LBB58_1017
; %bb.1014:
	s_mov_b32 s10, 0
	v_add_u32_e32 v123, 0xf4, v119
	v_add3_u32 v124, v119, s10, 4
	s_mov_b64 s[10:11], 0
	v_mov_b32_e32 v125, v0
.LBB58_1015:                            ; =>This Inner Loop Header: Depth=1
	buffer_load_dword v126, v124, s[0:3], 0 offen
	ds_read_b32 v127, v123
	v_add_u32_e32 v125, 1, v125
	v_cmp_lt_u32_e32 vcc, 43, v125
	v_add_u32_e32 v123, 4, v123
	v_add_u32_e32 v124, 4, v124
	s_or_b64 s[10:11], vcc, s[10:11]
	s_waitcnt vmcnt(0) lgkmcnt(0)
	v_fmac_f32_e32 v122, v126, v127
	s_andn2_b64 exec, exec, s[10:11]
	s_cbranch_execnz .LBB58_1015
; %bb.1016:
	s_or_b64 exec, exec, s[10:11]
.LBB58_1017:
	s_or_b64 exec, exec, s[8:9]
	v_mov_b32_e32 v123, 0
	ds_read_b32 v123, v123 offset:180
	s_waitcnt lgkmcnt(0)
	v_mul_f32_e32 v122, v122, v123
	buffer_store_dword v122, off, s[0:3], 0 offset:180
.LBB58_1018:
	;; [unrolled: 55-line block ×13, first 2 shown]
	s_or_b64 exec, exec, s[6:7]
	buffer_load_dword v122, off, s[0:3], 0 offset:228
	v_cmp_gt_u32_e64 s[6:7], 57, v0
	s_waitcnt vmcnt(0)
	ds_write_b32 v120, v122
	s_waitcnt lgkmcnt(0)
	; wave barrier
	s_and_saveexec_b64 s[8:9], s[6:7]
	s_cbranch_execz .LBB58_1138
; %bb.1129:
	s_and_b64 vcc, exec, s[4:5]
	s_cbranch_vccnz .LBB58_1131
; %bb.1130:
	buffer_load_dword v122, v121, s[0:3], 0 offen
	ds_read_b32 v123, v120
	s_waitcnt vmcnt(0) lgkmcnt(0)
	v_mul_f32_e32 v122, v122, v123
	s_cbranch_execz .LBB58_1132
	s_branch .LBB58_1133
.LBB58_1131:
                                        ; implicit-def: $vgpr122
.LBB58_1132:
	ds_read_b32 v122, v120
.LBB58_1133:
	v_cmp_ne_u32_e32 vcc, 56, v0
	s_and_saveexec_b64 s[10:11], vcc
	s_cbranch_execz .LBB58_1137
; %bb.1134:
	s_mov_b32 s12, 0
	v_add_u32_e32 v123, 0xf4, v119
	v_add3_u32 v124, v119, s12, 4
	s_mov_b64 s[12:13], 0
	v_mov_b32_e32 v125, v0
.LBB58_1135:                            ; =>This Inner Loop Header: Depth=1
	buffer_load_dword v126, v124, s[0:3], 0 offen
	ds_read_b32 v127, v123
	v_add_u32_e32 v125, 1, v125
	v_cmp_lt_u32_e32 vcc, 55, v125
	v_add_u32_e32 v123, 4, v123
	v_add_u32_e32 v124, 4, v124
	s_or_b64 s[12:13], vcc, s[12:13]
	s_waitcnt vmcnt(0) lgkmcnt(0)
	v_fmac_f32_e32 v122, v126, v127
	s_andn2_b64 exec, exec, s[12:13]
	s_cbranch_execnz .LBB58_1135
; %bb.1136:
	s_or_b64 exec, exec, s[12:13]
.LBB58_1137:
	s_or_b64 exec, exec, s[10:11]
	v_mov_b32_e32 v123, 0
	ds_read_b32 v123, v123 offset:228
	s_waitcnt lgkmcnt(0)
	v_mul_f32_e32 v122, v122, v123
	buffer_store_dword v122, off, s[0:3], 0 offset:228
.LBB58_1138:
	s_or_b64 exec, exec, s[8:9]
	buffer_load_dword v122, off, s[0:3], 0 offset:232
	v_cmp_ne_u32_e32 vcc, 58, v0
	s_waitcnt vmcnt(0)
	ds_write_b32 v120, v122
	s_waitcnt lgkmcnt(0)
	; wave barrier
	s_and_saveexec_b64 s[8:9], vcc
	s_cbranch_execz .LBB58_1148
; %bb.1139:
	s_and_b64 vcc, exec, s[4:5]
	s_cbranch_vccnz .LBB58_1141
; %bb.1140:
	buffer_load_dword v121, v121, s[0:3], 0 offen
	ds_read_b32 v122, v120
	s_waitcnt vmcnt(0) lgkmcnt(0)
	v_mul_f32_e32 v121, v121, v122
	s_cbranch_execz .LBB58_1142
	s_branch .LBB58_1143
.LBB58_1141:
                                        ; implicit-def: $vgpr121
.LBB58_1142:
	ds_read_b32 v121, v120
.LBB58_1143:
	s_and_saveexec_b64 s[4:5], s[6:7]
	s_cbranch_execz .LBB58_1147
; %bb.1144:
	s_mov_b32 s6, 0
	v_add_u32_e32 v120, 0xf4, v119
	v_add3_u32 v119, v119, s6, 4
	s_mov_b64 s[6:7], 0
.LBB58_1145:                            ; =>This Inner Loop Header: Depth=1
	buffer_load_dword v122, v119, s[0:3], 0 offen
	ds_read_b32 v123, v120
	v_add_u32_e32 v0, 1, v0
	v_cmp_lt_u32_e32 vcc, 56, v0
	v_add_u32_e32 v120, 4, v120
	v_add_u32_e32 v119, 4, v119
	s_or_b64 s[6:7], vcc, s[6:7]
	s_waitcnt vmcnt(0) lgkmcnt(0)
	v_fmac_f32_e32 v121, v122, v123
	s_andn2_b64 exec, exec, s[6:7]
	s_cbranch_execnz .LBB58_1145
; %bb.1146:
	s_or_b64 exec, exec, s[6:7]
.LBB58_1147:
	s_or_b64 exec, exec, s[4:5]
	v_mov_b32_e32 v0, 0
	ds_read_b32 v0, v0 offset:232
	s_waitcnt lgkmcnt(0)
	v_mul_f32_e32 v0, v121, v0
	buffer_store_dword v0, off, s[0:3], 0 offset:232
.LBB58_1148:
	s_or_b64 exec, exec, s[8:9]
.LBB58_1149:
	buffer_load_dword v0, off, s[0:3], 0
	buffer_load_dword v119, off, s[0:3], 0 offset:4
	buffer_load_dword v120, off, s[0:3], 0 offset:8
	;; [unrolled: 1-line block ×7, first 2 shown]
	s_waitcnt vmcnt(7)
	global_store_dword v[115:116], v0, off
	s_waitcnt vmcnt(7)
	global_store_dword v[117:118], v119, off
	buffer_load_dword v0, off, s[0:3], 0 offset:32
	buffer_load_dword v115, off, s[0:3], 0 offset:36
	;; [unrolled: 1-line block ×3, first 2 shown]
	s_nop 0
	buffer_load_dword v117, off, s[0:3], 0 offset:44
	s_waitcnt vmcnt(11)
	global_store_dword v[1:2], v120, off
	buffer_load_dword v1, off, s[0:3], 0 offset:48
	s_nop 0
	buffer_load_dword v2, off, s[0:3], 0 offset:52
	s_waitcnt vmcnt(13)
	global_store_dword v[3:4], v121, off
	buffer_load_dword v3, off, s[0:3], 0 offset:56
	s_nop 0
	buffer_load_dword v4, off, s[0:3], 0 offset:60
	buffer_load_dword v118, off, s[0:3], 0 offset:64
	;; [unrolled: 1-line block ×3, first 2 shown]
	s_waitcnt vmcnt(17)
	global_store_dword v[5:6], v122, off
	s_waitcnt vmcnt(17)
	global_store_dword v[7:8], v123, off
	buffer_load_dword v5, off, s[0:3], 0 offset:72
	buffer_load_dword v6, off, s[0:3], 0 offset:76
	s_nop 0
	buffer_load_dword v7, off, s[0:3], 0 offset:80
	buffer_load_dword v8, off, s[0:3], 0 offset:84
	;; [unrolled: 1-line block ×4, first 2 shown]
	s_waitcnt vmcnt(23)
	global_store_dword v[9:10], v124, off
	s_waitcnt vmcnt(23)
	global_store_dword v[11:12], v125, off
	;; [unrolled: 2-line block ×3, first 2 shown]
	buffer_load_dword v0, off, s[0:3], 0 offset:96
	s_nop 0
	buffer_load_dword v9, off, s[0:3], 0 offset:100
	buffer_load_dword v10, off, s[0:3], 0 offset:104
	;; [unrolled: 1-line block ×7, first 2 shown]
	s_waitcnt vmcnt(29)
	global_store_dword v[15:16], v115, off
	s_waitcnt vmcnt(29)
	global_store_dword v[17:18], v116, off
	;; [unrolled: 2-line block ×3, first 2 shown]
	buffer_load_dword v15, off, s[0:3], 0 offset:128
	buffer_load_dword v16, off, s[0:3], 0 offset:132
	;; [unrolled: 1-line block ×4, first 2 shown]
	s_nop 0
	buffer_load_dword v19, off, s[0:3], 0 offset:144
	buffer_load_dword v20, off, s[0:3], 0 offset:148
	;; [unrolled: 1-line block ×4, first 2 shown]
	s_waitcnt vmcnt(36)
	global_store_dword v[21:22], v1, off
	s_waitcnt vmcnt(36)
	global_store_dword v[23:24], v2, off
	buffer_load_dword v1, off, s[0:3], 0 offset:160
	s_nop 0
	buffer_load_dword v2, off, s[0:3], 0 offset:164
	buffer_load_dword v21, off, s[0:3], 0 offset:168
	;; [unrolled: 1-line block ×7, first 2 shown]
	s_waitcnt vmcnt(43)
	global_store_dword v[25:26], v3, off
	s_waitcnt vmcnt(43)
	global_store_dword v[27:28], v4, off
	;; [unrolled: 2-line block ×3, first 2 shown]
	buffer_load_dword v3, off, s[0:3], 0 offset:192
	buffer_load_dword v4, off, s[0:3], 0 offset:196
	;; [unrolled: 1-line block ×8, first 2 shown]
	s_waitcnt vmcnt(51)
	global_store_dword v[31:32], v119, off
	buffer_load_dword v31, off, s[0:3], 0 offset:224
	s_nop 0
	buffer_load_dword v32, off, s[0:3], 0 offset:228
	buffer_load_dword v118, off, s[0:3], 0 offset:232
	s_waitcnt vmcnt(52)
	global_store_dword v[33:34], v5, off
	s_waitcnt vmcnt(52)
	global_store_dword v[35:36], v6, off
	;; [unrolled: 2-line block ×41, first 2 shown]
.LBB58_1150:
	s_endpgm
	.section	.rodata,"a",@progbits
	.p2align	6, 0x0
	.amdhsa_kernel _ZN9rocsolver6v33100L18trti2_kernel_smallILi59EfPfEEv13rocblas_fill_17rocblas_diagonal_T1_iil
		.amdhsa_group_segment_fixed_size 476
		.amdhsa_private_segment_fixed_size 240
		.amdhsa_kernarg_size 32
		.amdhsa_user_sgpr_count 6
		.amdhsa_user_sgpr_private_segment_buffer 1
		.amdhsa_user_sgpr_dispatch_ptr 0
		.amdhsa_user_sgpr_queue_ptr 0
		.amdhsa_user_sgpr_kernarg_segment_ptr 1
		.amdhsa_user_sgpr_dispatch_id 0
		.amdhsa_user_sgpr_flat_scratch_init 0
		.amdhsa_user_sgpr_private_segment_size 0
		.amdhsa_uses_dynamic_stack 0
		.amdhsa_system_sgpr_private_segment_wavefront_offset 1
		.amdhsa_system_sgpr_workgroup_id_x 1
		.amdhsa_system_sgpr_workgroup_id_y 0
		.amdhsa_system_sgpr_workgroup_id_z 0
		.amdhsa_system_sgpr_workgroup_info 0
		.amdhsa_system_vgpr_workitem_id 0
		.amdhsa_next_free_vgpr 128
		.amdhsa_next_free_sgpr 72
		.amdhsa_reserve_vcc 1
		.amdhsa_reserve_flat_scratch 0
		.amdhsa_float_round_mode_32 0
		.amdhsa_float_round_mode_16_64 0
		.amdhsa_float_denorm_mode_32 3
		.amdhsa_float_denorm_mode_16_64 3
		.amdhsa_dx10_clamp 1
		.amdhsa_ieee_mode 1
		.amdhsa_fp16_overflow 0
		.amdhsa_exception_fp_ieee_invalid_op 0
		.amdhsa_exception_fp_denorm_src 0
		.amdhsa_exception_fp_ieee_div_zero 0
		.amdhsa_exception_fp_ieee_overflow 0
		.amdhsa_exception_fp_ieee_underflow 0
		.amdhsa_exception_fp_ieee_inexact 0
		.amdhsa_exception_int_div_zero 0
	.end_amdhsa_kernel
	.section	.text._ZN9rocsolver6v33100L18trti2_kernel_smallILi59EfPfEEv13rocblas_fill_17rocblas_diagonal_T1_iil,"axG",@progbits,_ZN9rocsolver6v33100L18trti2_kernel_smallILi59EfPfEEv13rocblas_fill_17rocblas_diagonal_T1_iil,comdat
.Lfunc_end58:
	.size	_ZN9rocsolver6v33100L18trti2_kernel_smallILi59EfPfEEv13rocblas_fill_17rocblas_diagonal_T1_iil, .Lfunc_end58-_ZN9rocsolver6v33100L18trti2_kernel_smallILi59EfPfEEv13rocblas_fill_17rocblas_diagonal_T1_iil
                                        ; -- End function
	.set _ZN9rocsolver6v33100L18trti2_kernel_smallILi59EfPfEEv13rocblas_fill_17rocblas_diagonal_T1_iil.num_vgpr, 128
	.set _ZN9rocsolver6v33100L18trti2_kernel_smallILi59EfPfEEv13rocblas_fill_17rocblas_diagonal_T1_iil.num_agpr, 0
	.set _ZN9rocsolver6v33100L18trti2_kernel_smallILi59EfPfEEv13rocblas_fill_17rocblas_diagonal_T1_iil.numbered_sgpr, 72
	.set _ZN9rocsolver6v33100L18trti2_kernel_smallILi59EfPfEEv13rocblas_fill_17rocblas_diagonal_T1_iil.num_named_barrier, 0
	.set _ZN9rocsolver6v33100L18trti2_kernel_smallILi59EfPfEEv13rocblas_fill_17rocblas_diagonal_T1_iil.private_seg_size, 240
	.set _ZN9rocsolver6v33100L18trti2_kernel_smallILi59EfPfEEv13rocblas_fill_17rocblas_diagonal_T1_iil.uses_vcc, 1
	.set _ZN9rocsolver6v33100L18trti2_kernel_smallILi59EfPfEEv13rocblas_fill_17rocblas_diagonal_T1_iil.uses_flat_scratch, 0
	.set _ZN9rocsolver6v33100L18trti2_kernel_smallILi59EfPfEEv13rocblas_fill_17rocblas_diagonal_T1_iil.has_dyn_sized_stack, 0
	.set _ZN9rocsolver6v33100L18trti2_kernel_smallILi59EfPfEEv13rocblas_fill_17rocblas_diagonal_T1_iil.has_recursion, 0
	.set _ZN9rocsolver6v33100L18trti2_kernel_smallILi59EfPfEEv13rocblas_fill_17rocblas_diagonal_T1_iil.has_indirect_call, 0
	.section	.AMDGPU.csdata,"",@progbits
; Kernel info:
; codeLenInByte = 28788
; TotalNumSgprs: 76
; NumVgprs: 128
; ScratchSize: 240
; MemoryBound: 0
; FloatMode: 240
; IeeeMode: 1
; LDSByteSize: 476 bytes/workgroup (compile time only)
; SGPRBlocks: 9
; VGPRBlocks: 31
; NumSGPRsForWavesPerEU: 76
; NumVGPRsForWavesPerEU: 128
; Occupancy: 2
; WaveLimiterHint : 0
; COMPUTE_PGM_RSRC2:SCRATCH_EN: 1
; COMPUTE_PGM_RSRC2:USER_SGPR: 6
; COMPUTE_PGM_RSRC2:TRAP_HANDLER: 0
; COMPUTE_PGM_RSRC2:TGID_X_EN: 1
; COMPUTE_PGM_RSRC2:TGID_Y_EN: 0
; COMPUTE_PGM_RSRC2:TGID_Z_EN: 0
; COMPUTE_PGM_RSRC2:TIDIG_COMP_CNT: 0
	.section	.text._ZN9rocsolver6v33100L18trti2_kernel_smallILi60EfPfEEv13rocblas_fill_17rocblas_diagonal_T1_iil,"axG",@progbits,_ZN9rocsolver6v33100L18trti2_kernel_smallILi60EfPfEEv13rocblas_fill_17rocblas_diagonal_T1_iil,comdat
	.globl	_ZN9rocsolver6v33100L18trti2_kernel_smallILi60EfPfEEv13rocblas_fill_17rocblas_diagonal_T1_iil ; -- Begin function _ZN9rocsolver6v33100L18trti2_kernel_smallILi60EfPfEEv13rocblas_fill_17rocblas_diagonal_T1_iil
	.p2align	8
	.type	_ZN9rocsolver6v33100L18trti2_kernel_smallILi60EfPfEEv13rocblas_fill_17rocblas_diagonal_T1_iil,@function
_ZN9rocsolver6v33100L18trti2_kernel_smallILi60EfPfEEv13rocblas_fill_17rocblas_diagonal_T1_iil: ; @_ZN9rocsolver6v33100L18trti2_kernel_smallILi60EfPfEEv13rocblas_fill_17rocblas_diagonal_T1_iil
; %bb.0:
	s_add_u32 s0, s0, s7
	s_addc_u32 s1, s1, 0
	v_cmp_gt_u32_e32 vcc, 60, v0
	s_and_saveexec_b64 s[8:9], vcc
	s_cbranch_execz .LBB59_1170
; %bb.1:
	s_load_dwordx8 s[8:15], s[4:5], 0x0
	s_ashr_i32 s7, s6, 31
	v_lshlrev_b32_e32 v121, 2, v0
	s_waitcnt lgkmcnt(0)
	s_ashr_i32 s5, s12, 31
	s_mov_b32 s4, s12
	s_mul_hi_u32 s12, s14, s6
	s_mul_i32 s7, s14, s7
	s_add_i32 s7, s12, s7
	s_mul_i32 s12, s15, s6
	s_add_i32 s7, s7, s12
	s_mul_i32 s6, s14, s6
	s_lshl_b64 s[6:7], s[6:7], 2
	s_add_u32 s6, s10, s6
	s_addc_u32 s7, s11, s7
	s_lshl_b64 s[4:5], s[4:5], 2
	s_add_u32 s4, s6, s4
	s_addc_u32 s5, s7, s5
	v_mov_b32_e32 v2, s5
	v_add_co_u32_e32 v1, vcc, s4, v121
	s_ashr_i32 s7, s13, 31
	s_mov_b32 s6, s13
	v_addc_co_u32_e32 v2, vcc, 0, v2, vcc
	s_lshl_b64 s[6:7], s[6:7], 2
	v_add_co_u32_e32 v3, vcc, s6, v1
	s_add_i32 s6, s13, s13
	v_add_u32_e32 v7, s6, v0
	v_ashrrev_i32_e32 v8, 31, v7
	v_mov_b32_e32 v4, s7
	v_lshlrev_b64 v[5:6], 2, v[7:8]
	v_addc_co_u32_e32 v4, vcc, v2, v4, vcc
	v_add_u32_e32 v9, s13, v7
	v_mov_b32_e32 v8, s5
	v_add_co_u32_e32 v5, vcc, s4, v5
	v_ashrrev_i32_e32 v10, 31, v9
	v_addc_co_u32_e32 v6, vcc, v8, v6, vcc
	v_lshlrev_b64 v[7:8], 2, v[9:10]
	v_add_u32_e32 v11, s13, v9
	v_mov_b32_e32 v10, s5
	v_add_co_u32_e32 v7, vcc, s4, v7
	v_ashrrev_i32_e32 v12, 31, v11
	v_addc_co_u32_e32 v8, vcc, v10, v8, vcc
	v_lshlrev_b64 v[9:10], 2, v[11:12]
	;; [unrolled: 6-line block ×56, first 2 shown]
	v_mov_b32_e32 v120, s5
	v_add_co_u32_e32 v117, vcc, s4, v117
	v_add_u32_e32 v119, s13, v119
	v_addc_co_u32_e32 v118, vcc, v120, v118, vcc
	v_ashrrev_i32_e32 v120, 31, v119
	v_lshlrev_b64 v[119:120], 2, v[119:120]
	global_load_dword v122, v121, s[4:5]
	global_load_dword v123, v[3:4], off
	global_load_dword v124, v[5:6], off
	;; [unrolled: 1-line block ×32, first 2 shown]
	v_mov_b32_e32 v179, s5
	v_add_co_u32_e32 v119, vcc, s4, v119
	global_load_dword v155, v[67:68], off
	global_load_dword v156, v[69:70], off
	;; [unrolled: 1-line block ×24, first 2 shown]
	v_addc_co_u32_e32 v120, vcc, v179, v120, vcc
	global_load_dword v179, v[115:116], off
	global_load_dword v180, v[117:118], off
	;; [unrolled: 1-line block ×3, first 2 shown]
	s_cmpk_lg_i32 s9, 0x84
	s_waitcnt vmcnt(59)
	buffer_store_dword v122, off, s[0:3], 0
	s_waitcnt vmcnt(59)
	buffer_store_dword v123, off, s[0:3], 0 offset:4
	s_waitcnt vmcnt(59)
	buffer_store_dword v124, off, s[0:3], 0 offset:8
	;; [unrolled: 2-line block ×32, first 2 shown]
	s_movk_i32 s12, 0x84
	s_cselect_b64 s[10:11], -1, 0
	s_cmpk_eq_i32 s9, 0x84
	v_mov_b32_e32 v122, -1.0
	s_waitcnt vmcnt(59)
	buffer_store_dword v155, off, s[0:3], 0 offset:132
	s_waitcnt vmcnt(59)
	buffer_store_dword v156, off, s[0:3], 0 offset:136
	;; [unrolled: 2-line block ×27, first 2 shown]
	s_cbranch_scc1 .LBB59_3
; %bb.2:
	v_mov_b32_e32 v122, 0
	v_lshl_add_u32 v122, v0, 2, v122
	buffer_load_dword v123, v122, s[0:3], 0 offen
	s_waitcnt vmcnt(0)
	v_div_scale_f32 v124, s[4:5], v123, v123, 1.0
	v_div_scale_f32 v125, vcc, 1.0, v123, 1.0
	v_rcp_f32_e32 v126, v124
	v_fma_f32 v127, -v124, v126, 1.0
	v_fmac_f32_e32 v126, v127, v126
	v_mul_f32_e32 v127, v125, v126
	v_fma_f32 v128, -v124, v127, v125
	v_fmac_f32_e32 v127, v128, v126
	v_fma_f32 v124, -v124, v127, v125
	v_div_fmas_f32 v124, v124, v126, v127
	v_div_fixup_f32 v123, v124, v123, 1.0
	buffer_store_dword v123, v122, s[0:3], 0 offen
	v_xor_b32_e32 v122, 0x80000000, v123
.LBB59_3:
	ds_write_b32 v121, v122
	s_cmpk_eq_i32 s8, 0x79
	v_add_u32_e32 v122, 0xf0, v121
	v_mov_b32_e32 v123, v121
	s_mov_b64 s[4:5], -1
	s_cbranch_scc1 .LBB59_587
; %bb.4:
	buffer_load_dword v124, off, s[0:3], 0 offset:232
	s_movk_i32 s30, 0x44
	s_movk_i32 s31, 0x48
	s_movk_i32 s33, 0x4c
	s_movk_i32 s34, 0x50
	s_movk_i32 s35, 0x54
	s_movk_i32 s36, 0x58
	s_movk_i32 s37, 0x5c
	s_movk_i32 s38, 0x60
	s_movk_i32 s39, 0x64
	s_movk_i32 s40, 0x68
	s_movk_i32 s41, 0x6c
	s_movk_i32 s42, 0x70
	s_movk_i32 s43, 0x74
	s_movk_i32 s44, 0x78
	s_movk_i32 s45, 0x7c
	s_movk_i32 s46, 0x80
	s_movk_i32 s13, 0x88
	s_movk_i32 s49, 0x8c
	s_movk_i32 s50, 0x90
	s_movk_i32 s51, 0x94
	s_movk_i32 s52, 0x98
	s_movk_i32 s53, 0x9c
	s_movk_i32 s54, 0xa0
	s_movk_i32 s55, 0xa4
	s_movk_i32 s56, 0xa8
	s_movk_i32 s57, 0xac
	s_movk_i32 s58, 0xb0
	s_movk_i32 s59, 0xb4
	s_movk_i32 s60, 0xb8
	s_movk_i32 s61, 0xbc
	s_movk_i32 s62, 0xc0
	s_movk_i32 s63, 0xc4
	s_movk_i32 s64, 0xc8
	s_movk_i32 s65, 0xcc
	s_movk_i32 s66, 0xd0
	s_movk_i32 s67, 0xd4
	s_movk_i32 s68, 0xd8
	s_movk_i32 s69, 0xdc
	s_movk_i32 s70, 0xe0
	s_movk_i32 s71, 0xe4
	v_cmp_eq_u32_e64 s[4:5], 59, v0
	s_waitcnt vmcnt(0)
	ds_write_b32 v122, v124
	s_waitcnt lgkmcnt(0)
	; wave barrier
	s_and_saveexec_b64 s[6:7], s[4:5]
	s_cbranch_execz .LBB59_10
; %bb.5:
	s_and_b64 vcc, exec, s[10:11]
	s_cbranch_vccz .LBB59_7
; %bb.6:
	buffer_load_dword v124, v123, s[0:3], 0 offen
	ds_read_b32 v125, v122
	s_waitcnt vmcnt(0) lgkmcnt(0)
	v_mul_f32_e32 v124, v124, v125
	s_cbranch_execz .LBB59_8
	s_branch .LBB59_9
.LBB59_7:
                                        ; implicit-def: $vgpr124
.LBB59_8:
	ds_read_b32 v124, v122
.LBB59_9:
	v_mov_b32_e32 v125, 0
	ds_read_b32 v125, v125 offset:232
	s_waitcnt lgkmcnt(0)
	v_mul_f32_e32 v124, v124, v125
	buffer_store_dword v124, off, s[0:3], 0 offset:232
.LBB59_10:
	s_or_b64 exec, exec, s[6:7]
	buffer_load_dword v124, off, s[0:3], 0 offset:228
	s_or_b32 s14, 0, 4
	s_or_b32 s15, 0, 8
	;; [unrolled: 1-line block ×3, first 2 shown]
	s_mov_b32 s17, 16
	s_mov_b32 s18, 20
	;; [unrolled: 1-line block ×15, first 2 shown]
	v_cmp_lt_u32_e64 s[6:7], 57, v0
	s_waitcnt vmcnt(0)
	ds_write_b32 v122, v124
	s_waitcnt lgkmcnt(0)
	; wave barrier
	s_and_saveexec_b64 s[8:9], s[6:7]
	s_cbranch_execz .LBB59_16
; %bb.11:
	s_andn2_b64 vcc, exec, s[10:11]
	s_cbranch_vccnz .LBB59_13
; %bb.12:
	buffer_load_dword v124, v123, s[0:3], 0 offen
	ds_read_b32 v125, v122
	s_waitcnt vmcnt(0) lgkmcnt(0)
	v_mul_f32_e32 v124, v124, v125
	s_cbranch_execz .LBB59_14
	s_branch .LBB59_15
.LBB59_13:
                                        ; implicit-def: $vgpr124
.LBB59_14:
	ds_read_b32 v124, v122
.LBB59_15:
	buffer_load_dword v127, off, s[0:3], 0 offset:232
	v_mov_b32_e32 v125, 0
	ds_read2_b32 v[125:126], v125 offset0:57 offset1:118
	s_waitcnt vmcnt(0) lgkmcnt(0)
	v_fma_f32 v126, v127, v126, v124
	v_cndmask_b32_e64 v124, v124, v126, s[4:5]
	v_mul_f32_e32 v124, v124, v125
	buffer_store_dword v124, off, s[0:3], 0 offset:228
.LBB59_16:
	s_or_b64 exec, exec, s[8:9]
	buffer_load_dword v124, off, s[0:3], 0 offset:224
	v_cmp_lt_u32_e64 s[4:5], 56, v0
	s_waitcnt vmcnt(0)
	ds_write_b32 v122, v124
	s_waitcnt lgkmcnt(0)
	; wave barrier
	s_and_saveexec_b64 s[8:9], s[4:5]
	s_cbranch_execz .LBB59_26
; %bb.17:
	s_andn2_b64 vcc, exec, s[10:11]
	s_cbranch_vccnz .LBB59_19
; %bb.18:
	buffer_load_dword v124, v123, s[0:3], 0 offen
	ds_read_b32 v125, v122
	s_waitcnt vmcnt(0) lgkmcnt(0)
	v_mul_f32_e32 v124, v124, v125
	s_cbranch_execz .LBB59_20
	s_branch .LBB59_21
.LBB59_19:
                                        ; implicit-def: $vgpr124
.LBB59_20:
	ds_read_b32 v124, v122
.LBB59_21:
	s_and_saveexec_b64 s[12:13], s[6:7]
	s_cbranch_execz .LBB59_25
; %bb.22:
	v_subrev_u32_e32 v125, 57, v0
	s_movk_i32 s72, 0x1d4
	s_mov_b64 s[6:7], 0
.LBB59_23:                              ; =>This Inner Loop Header: Depth=1
	v_mov_b32_e32 v126, s71
	buffer_load_dword v126, v126, s[0:3], 0 offen
	v_mov_b32_e32 v127, s72
	ds_read_b32 v127, v127
	v_add_u32_e32 v125, -1, v125
	s_add_i32 s72, s72, 4
	s_add_i32 s71, s71, 4
	v_cmp_eq_u32_e32 vcc, 0, v125
	s_or_b64 s[6:7], vcc, s[6:7]
	s_waitcnt vmcnt(0) lgkmcnt(0)
	v_fmac_f32_e32 v124, v126, v127
	s_andn2_b64 exec, exec, s[6:7]
	s_cbranch_execnz .LBB59_23
; %bb.24:
	s_or_b64 exec, exec, s[6:7]
.LBB59_25:
	s_or_b64 exec, exec, s[12:13]
	v_mov_b32_e32 v125, 0
	ds_read_b32 v125, v125 offset:224
	s_waitcnt lgkmcnt(0)
	v_mul_f32_e32 v124, v124, v125
	buffer_store_dword v124, off, s[0:3], 0 offset:224
.LBB59_26:
	s_or_b64 exec, exec, s[8:9]
	buffer_load_dword v124, off, s[0:3], 0 offset:220
	v_cmp_lt_u32_e64 s[6:7], 55, v0
	s_waitcnt vmcnt(0)
	ds_write_b32 v122, v124
	s_waitcnt lgkmcnt(0)
	; wave barrier
	s_and_saveexec_b64 s[8:9], s[6:7]
	s_cbranch_execz .LBB59_36
; %bb.27:
	s_andn2_b64 vcc, exec, s[10:11]
	s_cbranch_vccnz .LBB59_29
; %bb.28:
	buffer_load_dword v124, v123, s[0:3], 0 offen
	ds_read_b32 v125, v122
	s_waitcnt vmcnt(0) lgkmcnt(0)
	v_mul_f32_e32 v124, v124, v125
	s_cbranch_execz .LBB59_30
	s_branch .LBB59_31
.LBB59_29:
                                        ; implicit-def: $vgpr124
.LBB59_30:
	ds_read_b32 v124, v122
.LBB59_31:
	s_and_saveexec_b64 s[12:13], s[4:5]
	s_cbranch_execz .LBB59_35
; %bb.32:
	v_subrev_u32_e32 v125, 56, v0
	s_movk_i32 s71, 0x1d0
	s_mov_b64 s[4:5], 0
.LBB59_33:                              ; =>This Inner Loop Header: Depth=1
	v_mov_b32_e32 v126, s70
	buffer_load_dword v126, v126, s[0:3], 0 offen
	v_mov_b32_e32 v127, s71
	ds_read_b32 v127, v127
	v_add_u32_e32 v125, -1, v125
	s_add_i32 s71, s71, 4
	s_add_i32 s70, s70, 4
	v_cmp_eq_u32_e32 vcc, 0, v125
	s_or_b64 s[4:5], vcc, s[4:5]
	s_waitcnt vmcnt(0) lgkmcnt(0)
	v_fmac_f32_e32 v124, v126, v127
	s_andn2_b64 exec, exec, s[4:5]
	s_cbranch_execnz .LBB59_33
; %bb.34:
	s_or_b64 exec, exec, s[4:5]
.LBB59_35:
	s_or_b64 exec, exec, s[12:13]
	v_mov_b32_e32 v125, 0
	ds_read_b32 v125, v125 offset:220
	s_waitcnt lgkmcnt(0)
	v_mul_f32_e32 v124, v124, v125
	buffer_store_dword v124, off, s[0:3], 0 offset:220
.LBB59_36:
	;; [unrolled: 54-line block ×8, first 2 shown]
	s_or_b64 exec, exec, s[8:9]
	buffer_load_dword v124, off, s[0:3], 0 offset:192
	v_cmp_lt_u32_e64 s[4:5], 48, v0
	s_waitcnt vmcnt(0)
	ds_write_b32 v122, v124
	s_waitcnt lgkmcnt(0)
	; wave barrier
	s_and_saveexec_b64 s[8:9], s[4:5]
	s_cbranch_execz .LBB59_106
; %bb.97:
	s_andn2_b64 vcc, exec, s[10:11]
	s_cbranch_vccnz .LBB59_99
; %bb.98:
	buffer_load_dword v124, v123, s[0:3], 0 offen
	ds_read_b32 v125, v122
	s_waitcnt vmcnt(0) lgkmcnt(0)
	v_mul_f32_e32 v124, v124, v125
	s_cbranch_execz .LBB59_100
	s_branch .LBB59_101
.LBB59_99:
                                        ; implicit-def: $vgpr124
.LBB59_100:
	ds_read_b32 v124, v122
.LBB59_101:
	s_and_saveexec_b64 s[12:13], s[6:7]
	s_cbranch_execz .LBB59_105
; %bb.102:
	v_subrev_u32_e32 v125, 49, v0
	s_movk_i32 s64, 0x1b4
	s_mov_b64 s[6:7], 0
.LBB59_103:                             ; =>This Inner Loop Header: Depth=1
	v_mov_b32_e32 v126, s63
	buffer_load_dword v126, v126, s[0:3], 0 offen
	v_mov_b32_e32 v127, s64
	ds_read_b32 v127, v127
	v_add_u32_e32 v125, -1, v125
	s_add_i32 s64, s64, 4
	s_add_i32 s63, s63, 4
	v_cmp_eq_u32_e32 vcc, 0, v125
	s_or_b64 s[6:7], vcc, s[6:7]
	s_waitcnt vmcnt(0) lgkmcnt(0)
	v_fmac_f32_e32 v124, v126, v127
	s_andn2_b64 exec, exec, s[6:7]
	s_cbranch_execnz .LBB59_103
; %bb.104:
	s_or_b64 exec, exec, s[6:7]
.LBB59_105:
	s_or_b64 exec, exec, s[12:13]
	v_mov_b32_e32 v125, 0
	ds_read_b32 v125, v125 offset:192
	s_waitcnt lgkmcnt(0)
	v_mul_f32_e32 v124, v124, v125
	buffer_store_dword v124, off, s[0:3], 0 offset:192
.LBB59_106:
	s_or_b64 exec, exec, s[8:9]
	buffer_load_dword v124, off, s[0:3], 0 offset:188
	v_cmp_lt_u32_e64 s[6:7], 47, v0
	s_waitcnt vmcnt(0)
	ds_write_b32 v122, v124
	s_waitcnt lgkmcnt(0)
	; wave barrier
	s_and_saveexec_b64 s[8:9], s[6:7]
	s_cbranch_execz .LBB59_116
; %bb.107:
	s_andn2_b64 vcc, exec, s[10:11]
	s_cbranch_vccnz .LBB59_109
; %bb.108:
	buffer_load_dword v124, v123, s[0:3], 0 offen
	ds_read_b32 v125, v122
	s_waitcnt vmcnt(0) lgkmcnt(0)
	v_mul_f32_e32 v124, v124, v125
	s_cbranch_execz .LBB59_110
	s_branch .LBB59_111
.LBB59_109:
                                        ; implicit-def: $vgpr124
.LBB59_110:
	ds_read_b32 v124, v122
.LBB59_111:
	s_and_saveexec_b64 s[12:13], s[4:5]
	s_cbranch_execz .LBB59_115
; %bb.112:
	v_subrev_u32_e32 v125, 48, v0
	s_movk_i32 s63, 0x1b0
	s_mov_b64 s[4:5], 0
.LBB59_113:                             ; =>This Inner Loop Header: Depth=1
	v_mov_b32_e32 v126, s62
	buffer_load_dword v126, v126, s[0:3], 0 offen
	v_mov_b32_e32 v127, s63
	ds_read_b32 v127, v127
	v_add_u32_e32 v125, -1, v125
	s_add_i32 s63, s63, 4
	s_add_i32 s62, s62, 4
	v_cmp_eq_u32_e32 vcc, 0, v125
	s_or_b64 s[4:5], vcc, s[4:5]
	s_waitcnt vmcnt(0) lgkmcnt(0)
	v_fmac_f32_e32 v124, v126, v127
	s_andn2_b64 exec, exec, s[4:5]
	s_cbranch_execnz .LBB59_113
; %bb.114:
	s_or_b64 exec, exec, s[4:5]
.LBB59_115:
	s_or_b64 exec, exec, s[12:13]
	v_mov_b32_e32 v125, 0
	ds_read_b32 v125, v125 offset:188
	s_waitcnt lgkmcnt(0)
	v_mul_f32_e32 v124, v124, v125
	buffer_store_dword v124, off, s[0:3], 0 offset:188
.LBB59_116:
	;; [unrolled: 54-line block ×33, first 2 shown]
	s_or_b64 exec, exec, s[8:9]
	buffer_load_dword v124, off, s[0:3], 0 offset:60
	v_cmp_lt_u32_e64 s[6:7], 15, v0
	s_waitcnt vmcnt(0)
	ds_write_b32 v122, v124
	s_waitcnt lgkmcnt(0)
	; wave barrier
	s_and_saveexec_b64 s[8:9], s[6:7]
	s_cbranch_execz .LBB59_436
; %bb.427:
	s_andn2_b64 vcc, exec, s[10:11]
	s_cbranch_vccnz .LBB59_429
; %bb.428:
	buffer_load_dword v124, v123, s[0:3], 0 offen
	ds_read_b32 v125, v122
	s_waitcnt vmcnt(0) lgkmcnt(0)
	v_mul_f32_e32 v124, v124, v125
	s_cbranch_execz .LBB59_430
	s_branch .LBB59_431
.LBB59_429:
                                        ; implicit-def: $vgpr124
.LBB59_430:
	ds_read_b32 v124, v122
.LBB59_431:
	s_and_saveexec_b64 s[12:13], s[4:5]
	s_cbranch_execz .LBB59_435
; %bb.432:
	v_add_u32_e32 v125, -16, v0
	s_movk_i32 s30, 0x130
	s_mov_b64 s[4:5], 0
.LBB59_433:                             ; =>This Inner Loop Header: Depth=1
	v_mov_b32_e32 v126, s29
	buffer_load_dword v126, v126, s[0:3], 0 offen
	v_mov_b32_e32 v127, s30
	ds_read_b32 v127, v127
	v_add_u32_e32 v125, -1, v125
	s_add_i32 s30, s30, 4
	s_add_i32 s29, s29, 4
	v_cmp_eq_u32_e32 vcc, 0, v125
	s_or_b64 s[4:5], vcc, s[4:5]
	s_waitcnt vmcnt(0) lgkmcnt(0)
	v_fmac_f32_e32 v124, v126, v127
	s_andn2_b64 exec, exec, s[4:5]
	s_cbranch_execnz .LBB59_433
; %bb.434:
	s_or_b64 exec, exec, s[4:5]
.LBB59_435:
	s_or_b64 exec, exec, s[12:13]
	v_mov_b32_e32 v125, 0
	ds_read_b32 v125, v125 offset:60
	s_waitcnt lgkmcnt(0)
	v_mul_f32_e32 v124, v124, v125
	buffer_store_dword v124, off, s[0:3], 0 offset:60
.LBB59_436:
	s_or_b64 exec, exec, s[8:9]
	buffer_load_dword v124, off, s[0:3], 0 offset:56
	v_cmp_lt_u32_e64 s[4:5], 14, v0
	s_waitcnt vmcnt(0)
	ds_write_b32 v122, v124
	s_waitcnt lgkmcnt(0)
	; wave barrier
	s_and_saveexec_b64 s[8:9], s[4:5]
	s_cbranch_execz .LBB59_446
; %bb.437:
	s_andn2_b64 vcc, exec, s[10:11]
	s_cbranch_vccnz .LBB59_439
; %bb.438:
	buffer_load_dword v124, v123, s[0:3], 0 offen
	ds_read_b32 v125, v122
	s_waitcnt vmcnt(0) lgkmcnt(0)
	v_mul_f32_e32 v124, v124, v125
	s_cbranch_execz .LBB59_440
	s_branch .LBB59_441
.LBB59_439:
                                        ; implicit-def: $vgpr124
.LBB59_440:
	ds_read_b32 v124, v122
.LBB59_441:
	s_and_saveexec_b64 s[12:13], s[6:7]
	s_cbranch_execz .LBB59_445
; %bb.442:
	v_add_u32_e32 v125, -15, v0
	s_movk_i32 s29, 0x12c
	s_mov_b64 s[6:7], 0
.LBB59_443:                             ; =>This Inner Loop Header: Depth=1
	v_mov_b32_e32 v126, s28
	buffer_load_dword v126, v126, s[0:3], 0 offen
	v_mov_b32_e32 v127, s29
	ds_read_b32 v127, v127
	v_add_u32_e32 v125, -1, v125
	s_add_i32 s29, s29, 4
	s_add_i32 s28, s28, 4
	v_cmp_eq_u32_e32 vcc, 0, v125
	s_or_b64 s[6:7], vcc, s[6:7]
	s_waitcnt vmcnt(0) lgkmcnt(0)
	v_fmac_f32_e32 v124, v126, v127
	s_andn2_b64 exec, exec, s[6:7]
	s_cbranch_execnz .LBB59_443
; %bb.444:
	s_or_b64 exec, exec, s[6:7]
.LBB59_445:
	s_or_b64 exec, exec, s[12:13]
	v_mov_b32_e32 v125, 0
	ds_read_b32 v125, v125 offset:56
	s_waitcnt lgkmcnt(0)
	v_mul_f32_e32 v124, v124, v125
	buffer_store_dword v124, off, s[0:3], 0 offset:56
.LBB59_446:
	;; [unrolled: 54-line block ×15, first 2 shown]
	s_or_b64 exec, exec, s[8:9]
	buffer_load_dword v124, off, s[0:3], 0
	v_cmp_ne_u32_e32 vcc, 0, v0
	s_waitcnt vmcnt(0)
	ds_write_b32 v122, v124
	s_waitcnt lgkmcnt(0)
	; wave barrier
	s_and_saveexec_b64 s[4:5], vcc
	s_cbranch_execz .LBB59_586
; %bb.577:
	s_andn2_b64 vcc, exec, s[10:11]
	s_cbranch_vccnz .LBB59_579
; %bb.578:
	buffer_load_dword v124, v123, s[0:3], 0 offen
	ds_read_b32 v125, v122
	s_waitcnt vmcnt(0) lgkmcnt(0)
	v_mul_f32_e32 v124, v124, v125
	s_cbranch_execz .LBB59_580
	s_branch .LBB59_581
.LBB59_579:
                                        ; implicit-def: $vgpr124
.LBB59_580:
	ds_read_b32 v124, v122
.LBB59_581:
	s_and_saveexec_b64 s[8:9], s[6:7]
	s_cbranch_execz .LBB59_585
; %bb.582:
	v_add_u32_e32 v125, -1, v0
	s_movk_i32 s12, 0xf4
	s_mov_b64 s[6:7], 0
.LBB59_583:                             ; =>This Inner Loop Header: Depth=1
	v_mov_b32_e32 v126, s14
	buffer_load_dword v126, v126, s[0:3], 0 offen
	v_mov_b32_e32 v127, s12
	ds_read_b32 v127, v127
	v_add_u32_e32 v125, -1, v125
	s_add_i32 s12, s12, 4
	s_add_i32 s14, s14, 4
	v_cmp_eq_u32_e32 vcc, 0, v125
	s_or_b64 s[6:7], vcc, s[6:7]
	s_waitcnt vmcnt(0) lgkmcnt(0)
	v_fmac_f32_e32 v124, v126, v127
	s_andn2_b64 exec, exec, s[6:7]
	s_cbranch_execnz .LBB59_583
; %bb.584:
	s_or_b64 exec, exec, s[6:7]
.LBB59_585:
	s_or_b64 exec, exec, s[8:9]
	v_mov_b32_e32 v125, 0
	ds_read_b32 v125, v125
	s_waitcnt lgkmcnt(0)
	v_mul_f32_e32 v124, v124, v125
	buffer_store_dword v124, off, s[0:3], 0
.LBB59_586:
	s_or_b64 exec, exec, s[4:5]
	s_mov_b64 s[4:5], 0
.LBB59_587:
	s_and_b64 vcc, exec, s[4:5]
	s_cbranch_vccz .LBB59_1169
; %bb.588:
	buffer_load_dword v124, off, s[0:3], 0 offset:4
	v_cmp_eq_u32_e64 s[6:7], 0, v0
	s_waitcnt vmcnt(0)
	ds_write_b32 v122, v124
	s_waitcnt lgkmcnt(0)
	; wave barrier
	s_and_saveexec_b64 s[4:5], s[6:7]
	s_cbranch_execz .LBB59_594
; %bb.589:
	s_and_b64 vcc, exec, s[10:11]
	s_cbranch_vccz .LBB59_591
; %bb.590:
	buffer_load_dword v124, v123, s[0:3], 0 offen
	ds_read_b32 v125, v122
	s_waitcnt vmcnt(0) lgkmcnt(0)
	v_mul_f32_e32 v124, v124, v125
	s_cbranch_execz .LBB59_592
	s_branch .LBB59_593
.LBB59_591:
                                        ; implicit-def: $vgpr124
.LBB59_592:
	ds_read_b32 v124, v122
.LBB59_593:
	v_mov_b32_e32 v125, 0
	ds_read_b32 v125, v125 offset:4
	s_waitcnt lgkmcnt(0)
	v_mul_f32_e32 v124, v124, v125
	buffer_store_dword v124, off, s[0:3], 0 offset:4
.LBB59_594:
	s_or_b64 exec, exec, s[4:5]
	buffer_load_dword v124, off, s[0:3], 0 offset:8
	v_cndmask_b32_e64 v125, 0, 1, s[10:11]
	v_cmp_gt_u32_e32 vcc, 2, v0
	v_cmp_ne_u32_e64 s[4:5], 1, v125
	s_waitcnt vmcnt(0)
	ds_write_b32 v122, v124
	s_waitcnt lgkmcnt(0)
	; wave barrier
	s_and_saveexec_b64 s[8:9], vcc
	s_cbranch_execz .LBB59_600
; %bb.595:
	s_and_b64 vcc, exec, s[4:5]
	s_cbranch_vccnz .LBB59_597
; %bb.596:
	buffer_load_dword v124, v123, s[0:3], 0 offen
	ds_read_b32 v125, v122
	s_waitcnt vmcnt(0) lgkmcnt(0)
	v_mul_f32_e32 v124, v124, v125
	s_cbranch_execz .LBB59_598
	s_branch .LBB59_599
.LBB59_597:
                                        ; implicit-def: $vgpr124
.LBB59_598:
	ds_read_b32 v124, v122
.LBB59_599:
	buffer_load_dword v127, off, s[0:3], 0 offset:4
	v_mov_b32_e32 v125, 0
	ds_read2_b32 v[125:126], v125 offset0:2 offset1:61
	s_waitcnt vmcnt(0) lgkmcnt(0)
	v_fma_f32 v126, v127, v126, v124
	v_cndmask_b32_e64 v124, v124, v126, s[6:7]
	v_mul_f32_e32 v124, v124, v125
	buffer_store_dword v124, off, s[0:3], 0 offset:8
.LBB59_600:
	s_or_b64 exec, exec, s[8:9]
	buffer_load_dword v124, off, s[0:3], 0 offset:12
	v_cmp_gt_u32_e32 vcc, 3, v0
	s_waitcnt vmcnt(0)
	ds_write_b32 v122, v124
	s_waitcnt lgkmcnt(0)
	; wave barrier
	s_and_saveexec_b64 s[8:9], vcc
	s_cbranch_execz .LBB59_608
; %bb.601:
	s_and_b64 vcc, exec, s[4:5]
	s_cbranch_vccnz .LBB59_603
; %bb.602:
	buffer_load_dword v124, v123, s[0:3], 0 offen
	ds_read_b32 v125, v122
	s_waitcnt vmcnt(0) lgkmcnt(0)
	v_mul_f32_e32 v124, v124, v125
	s_cbranch_execz .LBB59_604
	s_branch .LBB59_605
.LBB59_603:
                                        ; implicit-def: $vgpr124
.LBB59_604:
	ds_read_b32 v124, v122
.LBB59_605:
	v_cmp_ne_u32_e32 vcc, 2, v0
	s_and_saveexec_b64 s[10:11], vcc
	s_cbranch_execz .LBB59_607
; %bb.606:
	buffer_load_dword v125, v123, s[0:3], 0 offen offset:4
	buffer_load_dword v126, off, s[0:3], 0 offset:8
	v_mov_b32_e32 v127, 0
	ds_read_b32 v128, v122 offset:4
	ds_read_b32 v127, v127 offset:248
	s_waitcnt vmcnt(1) lgkmcnt(1)
	v_fmac_f32_e32 v124, v125, v128
	s_waitcnt vmcnt(0) lgkmcnt(0)
	v_fma_f32 v125, v126, v127, v124
	v_cndmask_b32_e64 v124, v124, v125, s[6:7]
.LBB59_607:
	s_or_b64 exec, exec, s[10:11]
	v_mov_b32_e32 v125, 0
	ds_read_b32 v125, v125 offset:12
	s_waitcnt lgkmcnt(0)
	v_mul_f32_e32 v124, v124, v125
	buffer_store_dword v124, off, s[0:3], 0 offset:12
.LBB59_608:
	s_or_b64 exec, exec, s[8:9]
	buffer_load_dword v124, off, s[0:3], 0 offset:16
	v_cmp_gt_u32_e32 vcc, 4, v0
	s_waitcnt vmcnt(0)
	ds_write_b32 v122, v124
	s_waitcnt lgkmcnt(0)
	; wave barrier
	s_and_saveexec_b64 s[6:7], vcc
	s_cbranch_execz .LBB59_618
; %bb.609:
	s_and_b64 vcc, exec, s[4:5]
	s_cbranch_vccnz .LBB59_611
; %bb.610:
	buffer_load_dword v124, v123, s[0:3], 0 offen
	ds_read_b32 v125, v122
	s_waitcnt vmcnt(0) lgkmcnt(0)
	v_mul_f32_e32 v124, v124, v125
	s_cbranch_execz .LBB59_612
	s_branch .LBB59_613
.LBB59_611:
                                        ; implicit-def: $vgpr124
.LBB59_612:
	ds_read_b32 v124, v122
.LBB59_613:
	v_cmp_ne_u32_e32 vcc, 3, v0
	s_and_saveexec_b64 s[8:9], vcc
	s_cbranch_execz .LBB59_617
; %bb.614:
	s_mov_b32 s10, 0
	v_add_u32_e32 v125, 0xf4, v121
	v_add3_u32 v126, v121, s10, 4
	s_mov_b64 s[10:11], 0
	v_mov_b32_e32 v127, v0
.LBB59_615:                             ; =>This Inner Loop Header: Depth=1
	buffer_load_dword v128, v126, s[0:3], 0 offen
	ds_read_b32 v129, v125
	v_add_u32_e32 v127, 1, v127
	v_cmp_lt_u32_e32 vcc, 2, v127
	v_add_u32_e32 v125, 4, v125
	v_add_u32_e32 v126, 4, v126
	s_or_b64 s[10:11], vcc, s[10:11]
	s_waitcnt vmcnt(0) lgkmcnt(0)
	v_fmac_f32_e32 v124, v128, v129
	s_andn2_b64 exec, exec, s[10:11]
	s_cbranch_execnz .LBB59_615
; %bb.616:
	s_or_b64 exec, exec, s[10:11]
.LBB59_617:
	s_or_b64 exec, exec, s[8:9]
	v_mov_b32_e32 v125, 0
	ds_read_b32 v125, v125 offset:16
	s_waitcnt lgkmcnt(0)
	v_mul_f32_e32 v124, v124, v125
	buffer_store_dword v124, off, s[0:3], 0 offset:16
.LBB59_618:
	s_or_b64 exec, exec, s[6:7]
	buffer_load_dword v124, off, s[0:3], 0 offset:20
	v_cmp_gt_u32_e32 vcc, 5, v0
	s_waitcnt vmcnt(0)
	ds_write_b32 v122, v124
	s_waitcnt lgkmcnt(0)
	; wave barrier
	s_and_saveexec_b64 s[6:7], vcc
	s_cbranch_execz .LBB59_628
; %bb.619:
	s_and_b64 vcc, exec, s[4:5]
	s_cbranch_vccnz .LBB59_621
; %bb.620:
	buffer_load_dword v124, v123, s[0:3], 0 offen
	ds_read_b32 v125, v122
	s_waitcnt vmcnt(0) lgkmcnt(0)
	v_mul_f32_e32 v124, v124, v125
	s_cbranch_execz .LBB59_622
	s_branch .LBB59_623
.LBB59_621:
                                        ; implicit-def: $vgpr124
.LBB59_622:
	ds_read_b32 v124, v122
.LBB59_623:
	v_cmp_ne_u32_e32 vcc, 4, v0
	s_and_saveexec_b64 s[8:9], vcc
	s_cbranch_execz .LBB59_627
; %bb.624:
	s_mov_b32 s10, 0
	v_add_u32_e32 v125, 0xf4, v121
	v_add3_u32 v126, v121, s10, 4
	s_mov_b64 s[10:11], 0
	v_mov_b32_e32 v127, v0
.LBB59_625:                             ; =>This Inner Loop Header: Depth=1
	buffer_load_dword v128, v126, s[0:3], 0 offen
	ds_read_b32 v129, v125
	v_add_u32_e32 v127, 1, v127
	v_cmp_lt_u32_e32 vcc, 3, v127
	v_add_u32_e32 v125, 4, v125
	v_add_u32_e32 v126, 4, v126
	s_or_b64 s[10:11], vcc, s[10:11]
	s_waitcnt vmcnt(0) lgkmcnt(0)
	v_fmac_f32_e32 v124, v128, v129
	s_andn2_b64 exec, exec, s[10:11]
	s_cbranch_execnz .LBB59_625
; %bb.626:
	s_or_b64 exec, exec, s[10:11]
.LBB59_627:
	s_or_b64 exec, exec, s[8:9]
	v_mov_b32_e32 v125, 0
	ds_read_b32 v125, v125 offset:20
	s_waitcnt lgkmcnt(0)
	v_mul_f32_e32 v124, v124, v125
	buffer_store_dword v124, off, s[0:3], 0 offset:20
.LBB59_628:
	;; [unrolled: 55-line block ×39, first 2 shown]
	s_or_b64 exec, exec, s[6:7]
	buffer_load_dword v124, off, s[0:3], 0 offset:172
	v_cmp_gt_u32_e32 vcc, 43, v0
	s_waitcnt vmcnt(0)
	ds_write_b32 v122, v124
	s_waitcnt lgkmcnt(0)
	; wave barrier
	s_and_saveexec_b64 s[6:7], vcc
	s_cbranch_execz .LBB59_1008
; %bb.999:
	s_and_b64 vcc, exec, s[4:5]
	s_cbranch_vccnz .LBB59_1001
; %bb.1000:
	buffer_load_dword v124, v123, s[0:3], 0 offen
	ds_read_b32 v125, v122
	s_waitcnt vmcnt(0) lgkmcnt(0)
	v_mul_f32_e32 v124, v124, v125
	s_cbranch_execz .LBB59_1002
	s_branch .LBB59_1003
.LBB59_1001:
                                        ; implicit-def: $vgpr124
.LBB59_1002:
	ds_read_b32 v124, v122
.LBB59_1003:
	v_cmp_ne_u32_e32 vcc, 42, v0
	s_and_saveexec_b64 s[8:9], vcc
	s_cbranch_execz .LBB59_1007
; %bb.1004:
	s_mov_b32 s10, 0
	v_add_u32_e32 v125, 0xf4, v121
	v_add3_u32 v126, v121, s10, 4
	s_mov_b64 s[10:11], 0
	v_mov_b32_e32 v127, v0
.LBB59_1005:                            ; =>This Inner Loop Header: Depth=1
	buffer_load_dword v128, v126, s[0:3], 0 offen
	ds_read_b32 v129, v125
	v_add_u32_e32 v127, 1, v127
	v_cmp_lt_u32_e32 vcc, 41, v127
	v_add_u32_e32 v125, 4, v125
	v_add_u32_e32 v126, 4, v126
	s_or_b64 s[10:11], vcc, s[10:11]
	s_waitcnt vmcnt(0) lgkmcnt(0)
	v_fmac_f32_e32 v124, v128, v129
	s_andn2_b64 exec, exec, s[10:11]
	s_cbranch_execnz .LBB59_1005
; %bb.1006:
	s_or_b64 exec, exec, s[10:11]
.LBB59_1007:
	s_or_b64 exec, exec, s[8:9]
	v_mov_b32_e32 v125, 0
	ds_read_b32 v125, v125 offset:172
	s_waitcnt lgkmcnt(0)
	v_mul_f32_e32 v124, v124, v125
	buffer_store_dword v124, off, s[0:3], 0 offset:172
.LBB59_1008:
	s_or_b64 exec, exec, s[6:7]
	buffer_load_dword v124, off, s[0:3], 0 offset:176
	v_cmp_gt_u32_e32 vcc, 44, v0
	s_waitcnt vmcnt(0)
	ds_write_b32 v122, v124
	s_waitcnt lgkmcnt(0)
	; wave barrier
	s_and_saveexec_b64 s[6:7], vcc
	s_cbranch_execz .LBB59_1018
; %bb.1009:
	s_and_b64 vcc, exec, s[4:5]
	s_cbranch_vccnz .LBB59_1011
; %bb.1010:
	buffer_load_dword v124, v123, s[0:3], 0 offen
	ds_read_b32 v125, v122
	s_waitcnt vmcnt(0) lgkmcnt(0)
	v_mul_f32_e32 v124, v124, v125
	s_cbranch_execz .LBB59_1012
	s_branch .LBB59_1013
.LBB59_1011:
                                        ; implicit-def: $vgpr124
.LBB59_1012:
	ds_read_b32 v124, v122
.LBB59_1013:
	v_cmp_ne_u32_e32 vcc, 43, v0
	s_and_saveexec_b64 s[8:9], vcc
	s_cbranch_execz .LBB59_1017
; %bb.1014:
	s_mov_b32 s10, 0
	v_add_u32_e32 v125, 0xf4, v121
	v_add3_u32 v126, v121, s10, 4
	s_mov_b64 s[10:11], 0
	v_mov_b32_e32 v127, v0
.LBB59_1015:                            ; =>This Inner Loop Header: Depth=1
	buffer_load_dword v128, v126, s[0:3], 0 offen
	ds_read_b32 v129, v125
	v_add_u32_e32 v127, 1, v127
	v_cmp_lt_u32_e32 vcc, 42, v127
	v_add_u32_e32 v125, 4, v125
	v_add_u32_e32 v126, 4, v126
	s_or_b64 s[10:11], vcc, s[10:11]
	s_waitcnt vmcnt(0) lgkmcnt(0)
	v_fmac_f32_e32 v124, v128, v129
	s_andn2_b64 exec, exec, s[10:11]
	s_cbranch_execnz .LBB59_1015
; %bb.1016:
	s_or_b64 exec, exec, s[10:11]
.LBB59_1017:
	s_or_b64 exec, exec, s[8:9]
	v_mov_b32_e32 v125, 0
	ds_read_b32 v125, v125 offset:176
	s_waitcnt lgkmcnt(0)
	v_mul_f32_e32 v124, v124, v125
	buffer_store_dword v124, off, s[0:3], 0 offset:176
.LBB59_1018:
	;; [unrolled: 55-line block ×15, first 2 shown]
	s_or_b64 exec, exec, s[6:7]
	buffer_load_dword v124, off, s[0:3], 0 offset:232
	v_cmp_gt_u32_e64 s[6:7], 58, v0
	s_waitcnt vmcnt(0)
	ds_write_b32 v122, v124
	s_waitcnt lgkmcnt(0)
	; wave barrier
	s_and_saveexec_b64 s[8:9], s[6:7]
	s_cbranch_execz .LBB59_1158
; %bb.1149:
	s_and_b64 vcc, exec, s[4:5]
	s_cbranch_vccnz .LBB59_1151
; %bb.1150:
	buffer_load_dword v124, v123, s[0:3], 0 offen
	ds_read_b32 v125, v122
	s_waitcnt vmcnt(0) lgkmcnt(0)
	v_mul_f32_e32 v124, v124, v125
	s_cbranch_execz .LBB59_1152
	s_branch .LBB59_1153
.LBB59_1151:
                                        ; implicit-def: $vgpr124
.LBB59_1152:
	ds_read_b32 v124, v122
.LBB59_1153:
	v_cmp_ne_u32_e32 vcc, 57, v0
	s_and_saveexec_b64 s[10:11], vcc
	s_cbranch_execz .LBB59_1157
; %bb.1154:
	s_mov_b32 s12, 0
	v_add_u32_e32 v125, 0xf4, v121
	v_add3_u32 v126, v121, s12, 4
	s_mov_b64 s[12:13], 0
	v_mov_b32_e32 v127, v0
.LBB59_1155:                            ; =>This Inner Loop Header: Depth=1
	buffer_load_dword v128, v126, s[0:3], 0 offen
	ds_read_b32 v129, v125
	v_add_u32_e32 v127, 1, v127
	v_cmp_lt_u32_e32 vcc, 56, v127
	v_add_u32_e32 v125, 4, v125
	v_add_u32_e32 v126, 4, v126
	s_or_b64 s[12:13], vcc, s[12:13]
	s_waitcnt vmcnt(0) lgkmcnt(0)
	v_fmac_f32_e32 v124, v128, v129
	s_andn2_b64 exec, exec, s[12:13]
	s_cbranch_execnz .LBB59_1155
; %bb.1156:
	s_or_b64 exec, exec, s[12:13]
.LBB59_1157:
	s_or_b64 exec, exec, s[10:11]
	v_mov_b32_e32 v125, 0
	ds_read_b32 v125, v125 offset:232
	s_waitcnt lgkmcnt(0)
	v_mul_f32_e32 v124, v124, v125
	buffer_store_dword v124, off, s[0:3], 0 offset:232
.LBB59_1158:
	s_or_b64 exec, exec, s[8:9]
	buffer_load_dword v124, off, s[0:3], 0 offset:236
	v_cmp_ne_u32_e32 vcc, 59, v0
	s_waitcnt vmcnt(0)
	ds_write_b32 v122, v124
	s_waitcnt lgkmcnt(0)
	; wave barrier
	s_and_saveexec_b64 s[8:9], vcc
	s_cbranch_execz .LBB59_1168
; %bb.1159:
	s_and_b64 vcc, exec, s[4:5]
	s_cbranch_vccnz .LBB59_1161
; %bb.1160:
	buffer_load_dword v123, v123, s[0:3], 0 offen
	ds_read_b32 v124, v122
	s_waitcnt vmcnt(0) lgkmcnt(0)
	v_mul_f32_e32 v123, v123, v124
	s_cbranch_execz .LBB59_1162
	s_branch .LBB59_1163
.LBB59_1161:
                                        ; implicit-def: $vgpr123
.LBB59_1162:
	ds_read_b32 v123, v122
.LBB59_1163:
	s_and_saveexec_b64 s[4:5], s[6:7]
	s_cbranch_execz .LBB59_1167
; %bb.1164:
	s_mov_b32 s6, 0
	v_add_u32_e32 v122, 0xf4, v121
	v_add3_u32 v121, v121, s6, 4
	s_mov_b64 s[6:7], 0
.LBB59_1165:                            ; =>This Inner Loop Header: Depth=1
	buffer_load_dword v124, v121, s[0:3], 0 offen
	ds_read_b32 v125, v122
	v_add_u32_e32 v0, 1, v0
	v_cmp_lt_u32_e32 vcc, 57, v0
	v_add_u32_e32 v122, 4, v122
	v_add_u32_e32 v121, 4, v121
	s_or_b64 s[6:7], vcc, s[6:7]
	s_waitcnt vmcnt(0) lgkmcnt(0)
	v_fmac_f32_e32 v123, v124, v125
	s_andn2_b64 exec, exec, s[6:7]
	s_cbranch_execnz .LBB59_1165
; %bb.1166:
	s_or_b64 exec, exec, s[6:7]
.LBB59_1167:
	s_or_b64 exec, exec, s[4:5]
	v_mov_b32_e32 v0, 0
	ds_read_b32 v0, v0 offset:236
	s_waitcnt lgkmcnt(0)
	v_mul_f32_e32 v0, v123, v0
	buffer_store_dword v0, off, s[0:3], 0 offset:236
.LBB59_1168:
	s_or_b64 exec, exec, s[8:9]
.LBB59_1169:
	buffer_load_dword v0, off, s[0:3], 0
	buffer_load_dword v121, off, s[0:3], 0 offset:4
	buffer_load_dword v122, off, s[0:3], 0 offset:8
	;; [unrolled: 1-line block ×59, first 2 shown]
	s_waitcnt vmcnt(59)
	global_store_dword v[1:2], v0, off
	s_waitcnt vmcnt(59)
	global_store_dword v[3:4], v121, off
	;; [unrolled: 2-line block ×60, first 2 shown]
.LBB59_1170:
	s_endpgm
	.section	.rodata,"a",@progbits
	.p2align	6, 0x0
	.amdhsa_kernel _ZN9rocsolver6v33100L18trti2_kernel_smallILi60EfPfEEv13rocblas_fill_17rocblas_diagonal_T1_iil
		.amdhsa_group_segment_fixed_size 480
		.amdhsa_private_segment_fixed_size 256
		.amdhsa_kernarg_size 32
		.amdhsa_user_sgpr_count 6
		.amdhsa_user_sgpr_private_segment_buffer 1
		.amdhsa_user_sgpr_dispatch_ptr 0
		.amdhsa_user_sgpr_queue_ptr 0
		.amdhsa_user_sgpr_kernarg_segment_ptr 1
		.amdhsa_user_sgpr_dispatch_id 0
		.amdhsa_user_sgpr_flat_scratch_init 0
		.amdhsa_user_sgpr_private_segment_size 0
		.amdhsa_uses_dynamic_stack 0
		.amdhsa_system_sgpr_private_segment_wavefront_offset 1
		.amdhsa_system_sgpr_workgroup_id_x 1
		.amdhsa_system_sgpr_workgroup_id_y 0
		.amdhsa_system_sgpr_workgroup_id_z 0
		.amdhsa_system_sgpr_workgroup_info 0
		.amdhsa_system_vgpr_workitem_id 0
		.amdhsa_next_free_vgpr 182
		.amdhsa_next_free_sgpr 73
		.amdhsa_reserve_vcc 1
		.amdhsa_reserve_flat_scratch 0
		.amdhsa_float_round_mode_32 0
		.amdhsa_float_round_mode_16_64 0
		.amdhsa_float_denorm_mode_32 3
		.amdhsa_float_denorm_mode_16_64 3
		.amdhsa_dx10_clamp 1
		.amdhsa_ieee_mode 1
		.amdhsa_fp16_overflow 0
		.amdhsa_exception_fp_ieee_invalid_op 0
		.amdhsa_exception_fp_denorm_src 0
		.amdhsa_exception_fp_ieee_div_zero 0
		.amdhsa_exception_fp_ieee_overflow 0
		.amdhsa_exception_fp_ieee_underflow 0
		.amdhsa_exception_fp_ieee_inexact 0
		.amdhsa_exception_int_div_zero 0
	.end_amdhsa_kernel
	.section	.text._ZN9rocsolver6v33100L18trti2_kernel_smallILi60EfPfEEv13rocblas_fill_17rocblas_diagonal_T1_iil,"axG",@progbits,_ZN9rocsolver6v33100L18trti2_kernel_smallILi60EfPfEEv13rocblas_fill_17rocblas_diagonal_T1_iil,comdat
.Lfunc_end59:
	.size	_ZN9rocsolver6v33100L18trti2_kernel_smallILi60EfPfEEv13rocblas_fill_17rocblas_diagonal_T1_iil, .Lfunc_end59-_ZN9rocsolver6v33100L18trti2_kernel_smallILi60EfPfEEv13rocblas_fill_17rocblas_diagonal_T1_iil
                                        ; -- End function
	.set _ZN9rocsolver6v33100L18trti2_kernel_smallILi60EfPfEEv13rocblas_fill_17rocblas_diagonal_T1_iil.num_vgpr, 182
	.set _ZN9rocsolver6v33100L18trti2_kernel_smallILi60EfPfEEv13rocblas_fill_17rocblas_diagonal_T1_iil.num_agpr, 0
	.set _ZN9rocsolver6v33100L18trti2_kernel_smallILi60EfPfEEv13rocblas_fill_17rocblas_diagonal_T1_iil.numbered_sgpr, 73
	.set _ZN9rocsolver6v33100L18trti2_kernel_smallILi60EfPfEEv13rocblas_fill_17rocblas_diagonal_T1_iil.num_named_barrier, 0
	.set _ZN9rocsolver6v33100L18trti2_kernel_smallILi60EfPfEEv13rocblas_fill_17rocblas_diagonal_T1_iil.private_seg_size, 256
	.set _ZN9rocsolver6v33100L18trti2_kernel_smallILi60EfPfEEv13rocblas_fill_17rocblas_diagonal_T1_iil.uses_vcc, 1
	.set _ZN9rocsolver6v33100L18trti2_kernel_smallILi60EfPfEEv13rocblas_fill_17rocblas_diagonal_T1_iil.uses_flat_scratch, 0
	.set _ZN9rocsolver6v33100L18trti2_kernel_smallILi60EfPfEEv13rocblas_fill_17rocblas_diagonal_T1_iil.has_dyn_sized_stack, 0
	.set _ZN9rocsolver6v33100L18trti2_kernel_smallILi60EfPfEEv13rocblas_fill_17rocblas_diagonal_T1_iil.has_recursion, 0
	.set _ZN9rocsolver6v33100L18trti2_kernel_smallILi60EfPfEEv13rocblas_fill_17rocblas_diagonal_T1_iil.has_indirect_call, 0
	.section	.AMDGPU.csdata,"",@progbits
; Kernel info:
; codeLenInByte = 29256
; TotalNumSgprs: 77
; NumVgprs: 182
; ScratchSize: 256
; MemoryBound: 0
; FloatMode: 240
; IeeeMode: 1
; LDSByteSize: 480 bytes/workgroup (compile time only)
; SGPRBlocks: 9
; VGPRBlocks: 45
; NumSGPRsForWavesPerEU: 77
; NumVGPRsForWavesPerEU: 182
; Occupancy: 1
; WaveLimiterHint : 0
; COMPUTE_PGM_RSRC2:SCRATCH_EN: 1
; COMPUTE_PGM_RSRC2:USER_SGPR: 6
; COMPUTE_PGM_RSRC2:TRAP_HANDLER: 0
; COMPUTE_PGM_RSRC2:TGID_X_EN: 1
; COMPUTE_PGM_RSRC2:TGID_Y_EN: 0
; COMPUTE_PGM_RSRC2:TGID_Z_EN: 0
; COMPUTE_PGM_RSRC2:TIDIG_COMP_CNT: 0
	.section	.text._ZN9rocsolver6v33100L18trti2_kernel_smallILi61EfPfEEv13rocblas_fill_17rocblas_diagonal_T1_iil,"axG",@progbits,_ZN9rocsolver6v33100L18trti2_kernel_smallILi61EfPfEEv13rocblas_fill_17rocblas_diagonal_T1_iil,comdat
	.globl	_ZN9rocsolver6v33100L18trti2_kernel_smallILi61EfPfEEv13rocblas_fill_17rocblas_diagonal_T1_iil ; -- Begin function _ZN9rocsolver6v33100L18trti2_kernel_smallILi61EfPfEEv13rocblas_fill_17rocblas_diagonal_T1_iil
	.p2align	8
	.type	_ZN9rocsolver6v33100L18trti2_kernel_smallILi61EfPfEEv13rocblas_fill_17rocblas_diagonal_T1_iil,@function
_ZN9rocsolver6v33100L18trti2_kernel_smallILi61EfPfEEv13rocblas_fill_17rocblas_diagonal_T1_iil: ; @_ZN9rocsolver6v33100L18trti2_kernel_smallILi61EfPfEEv13rocblas_fill_17rocblas_diagonal_T1_iil
; %bb.0:
	s_add_u32 s0, s0, s7
	s_addc_u32 s1, s1, 0
	v_cmp_gt_u32_e32 vcc, 61, v0
	s_and_saveexec_b64 s[8:9], vcc
	s_cbranch_execz .LBB60_1190
; %bb.1:
	s_load_dwordx8 s[8:15], s[4:5], 0x0
	s_ashr_i32 s7, s6, 31
	v_lshlrev_b32_e32 v123, 2, v0
	s_waitcnt lgkmcnt(0)
	s_ashr_i32 s5, s12, 31
	s_mov_b32 s4, s12
	s_mul_hi_u32 s12, s14, s6
	s_mul_i32 s7, s14, s7
	s_add_i32 s7, s12, s7
	s_mul_i32 s12, s15, s6
	s_add_i32 s7, s7, s12
	s_mul_i32 s6, s14, s6
	s_lshl_b64 s[6:7], s[6:7], 2
	s_add_u32 s6, s10, s6
	s_addc_u32 s7, s11, s7
	s_lshl_b64 s[4:5], s[4:5], 2
	s_add_u32 s4, s6, s4
	s_addc_u32 s5, s7, s5
	v_mov_b32_e32 v2, s5
	v_add_co_u32_e32 v1, vcc, s4, v123
	s_ashr_i32 s7, s13, 31
	s_mov_b32 s6, s13
	v_addc_co_u32_e32 v2, vcc, 0, v2, vcc
	s_lshl_b64 s[6:7], s[6:7], 2
	v_add_co_u32_e32 v3, vcc, s6, v1
	s_add_i32 s6, s13, s13
	v_add_u32_e32 v7, s6, v0
	v_ashrrev_i32_e32 v8, 31, v7
	v_mov_b32_e32 v4, s7
	v_lshlrev_b64 v[5:6], 2, v[7:8]
	v_addc_co_u32_e32 v4, vcc, v2, v4, vcc
	v_add_u32_e32 v9, s13, v7
	v_mov_b32_e32 v8, s5
	v_add_co_u32_e32 v5, vcc, s4, v5
	v_ashrrev_i32_e32 v10, 31, v9
	v_addc_co_u32_e32 v6, vcc, v8, v6, vcc
	v_lshlrev_b64 v[7:8], 2, v[9:10]
	v_add_u32_e32 v11, s13, v9
	v_mov_b32_e32 v10, s5
	v_add_co_u32_e32 v7, vcc, s4, v7
	v_ashrrev_i32_e32 v12, 31, v11
	v_addc_co_u32_e32 v8, vcc, v10, v8, vcc
	v_lshlrev_b64 v[9:10], 2, v[11:12]
	;; [unrolled: 6-line block ×57, first 2 shown]
	v_mov_b32_e32 v122, s5
	v_add_co_u32_e32 v119, vcc, s4, v119
	v_add_u32_e32 v121, s13, v121
	v_addc_co_u32_e32 v120, vcc, v122, v120, vcc
	v_ashrrev_i32_e32 v122, 31, v121
	v_lshlrev_b64 v[121:122], 2, v[121:122]
	global_load_dword v124, v123, s[4:5]
	global_load_dword v125, v[3:4], off
	global_load_dword v126, v[5:6], off
	global_load_dword v127, v[7:8], off
	global_load_dword v128, v[9:10], off
	global_load_dword v129, v[11:12], off
	global_load_dword v130, v[13:14], off
	global_load_dword v131, v[15:16], off
	global_load_dword v132, v[17:18], off
	global_load_dword v133, v[19:20], off
	global_load_dword v134, v[21:22], off
	global_load_dword v135, v[23:24], off
	global_load_dword v136, v[25:26], off
	global_load_dword v137, v[27:28], off
	global_load_dword v138, v[29:30], off
	global_load_dword v139, v[31:32], off
	global_load_dword v140, v[33:34], off
	global_load_dword v141, v[35:36], off
	global_load_dword v142, v[37:38], off
	global_load_dword v143, v[39:40], off
	global_load_dword v144, v[41:42], off
	global_load_dword v145, v[43:44], off
	global_load_dword v146, v[45:46], off
	global_load_dword v147, v[47:48], off
	global_load_dword v148, v[49:50], off
	global_load_dword v149, v[51:52], off
	global_load_dword v150, v[53:54], off
	global_load_dword v151, v[55:56], off
	global_load_dword v152, v[57:58], off
	global_load_dword v153, v[59:60], off
	global_load_dword v154, v[61:62], off
	global_load_dword v155, v[63:64], off
	global_load_dword v156, v[65:66], off
	v_mov_b32_e32 v181, s5
	v_add_co_u32_e32 v121, vcc, s4, v121
	global_load_dword v157, v[67:68], off
	global_load_dword v158, v[69:70], off
	;; [unrolled: 1-line block ×24, first 2 shown]
	v_addc_co_u32_e32 v122, vcc, v181, v122, vcc
	global_load_dword v181, v[115:116], off
	global_load_dword v182, v[117:118], off
	;; [unrolled: 1-line block ×4, first 2 shown]
	s_cmpk_lg_i32 s9, 0x84
	s_waitcnt vmcnt(60)
	buffer_store_dword v124, off, s[0:3], 0
	s_waitcnt vmcnt(60)
	buffer_store_dword v125, off, s[0:3], 0 offset:4
	s_waitcnt vmcnt(60)
	buffer_store_dword v126, off, s[0:3], 0 offset:8
	s_waitcnt vmcnt(60)
	buffer_store_dword v127, off, s[0:3], 0 offset:12
	s_waitcnt vmcnt(60)
	buffer_store_dword v128, off, s[0:3], 0 offset:16
	s_waitcnt vmcnt(60)
	buffer_store_dword v129, off, s[0:3], 0 offset:20
	s_waitcnt vmcnt(60)
	buffer_store_dword v130, off, s[0:3], 0 offset:24
	s_waitcnt vmcnt(60)
	buffer_store_dword v131, off, s[0:3], 0 offset:28
	s_waitcnt vmcnt(60)
	buffer_store_dword v132, off, s[0:3], 0 offset:32
	s_waitcnt vmcnt(60)
	buffer_store_dword v133, off, s[0:3], 0 offset:36
	s_waitcnt vmcnt(60)
	buffer_store_dword v134, off, s[0:3], 0 offset:40
	s_waitcnt vmcnt(60)
	buffer_store_dword v135, off, s[0:3], 0 offset:44
	s_waitcnt vmcnt(60)
	buffer_store_dword v136, off, s[0:3], 0 offset:48
	s_waitcnt vmcnt(60)
	buffer_store_dword v137, off, s[0:3], 0 offset:52
	s_waitcnt vmcnt(60)
	buffer_store_dword v138, off, s[0:3], 0 offset:56
	s_waitcnt vmcnt(60)
	buffer_store_dword v139, off, s[0:3], 0 offset:60
	s_waitcnt vmcnt(60)
	buffer_store_dword v140, off, s[0:3], 0 offset:64
	s_waitcnt vmcnt(60)
	buffer_store_dword v141, off, s[0:3], 0 offset:68
	s_waitcnt vmcnt(60)
	buffer_store_dword v142, off, s[0:3], 0 offset:72
	s_waitcnt vmcnt(60)
	buffer_store_dword v143, off, s[0:3], 0 offset:76
	s_waitcnt vmcnt(60)
	buffer_store_dword v144, off, s[0:3], 0 offset:80
	s_waitcnt vmcnt(60)
	buffer_store_dword v145, off, s[0:3], 0 offset:84
	s_waitcnt vmcnt(60)
	buffer_store_dword v146, off, s[0:3], 0 offset:88
	s_waitcnt vmcnt(60)
	buffer_store_dword v147, off, s[0:3], 0 offset:92
	s_waitcnt vmcnt(60)
	buffer_store_dword v148, off, s[0:3], 0 offset:96
	s_waitcnt vmcnt(60)
	buffer_store_dword v149, off, s[0:3], 0 offset:100
	s_waitcnt vmcnt(60)
	buffer_store_dword v150, off, s[0:3], 0 offset:104
	s_waitcnt vmcnt(60)
	buffer_store_dword v151, off, s[0:3], 0 offset:108
	s_waitcnt vmcnt(60)
	buffer_store_dword v152, off, s[0:3], 0 offset:112
	s_waitcnt vmcnt(60)
	buffer_store_dword v153, off, s[0:3], 0 offset:116
	s_waitcnt vmcnt(60)
	buffer_store_dword v154, off, s[0:3], 0 offset:120
	s_waitcnt vmcnt(60)
	buffer_store_dword v155, off, s[0:3], 0 offset:124
	s_waitcnt vmcnt(60)
	buffer_store_dword v156, off, s[0:3], 0 offset:128
	s_movk_i32 s12, 0x84
	s_cselect_b64 s[10:11], -1, 0
	s_cmpk_eq_i32 s9, 0x84
	v_mov_b32_e32 v124, -1.0
	s_waitcnt vmcnt(60)
	buffer_store_dword v157, off, s[0:3], 0 offset:132
	s_waitcnt vmcnt(60)
	buffer_store_dword v158, off, s[0:3], 0 offset:136
	;; [unrolled: 2-line block ×28, first 2 shown]
	s_cbranch_scc1 .LBB60_3
; %bb.2:
	v_mov_b32_e32 v124, 0
	v_lshl_add_u32 v124, v0, 2, v124
	buffer_load_dword v125, v124, s[0:3], 0 offen
	s_waitcnt vmcnt(0)
	v_div_scale_f32 v126, s[4:5], v125, v125, 1.0
	v_div_scale_f32 v127, vcc, 1.0, v125, 1.0
	v_rcp_f32_e32 v128, v126
	v_fma_f32 v129, -v126, v128, 1.0
	v_fmac_f32_e32 v128, v129, v128
	v_mul_f32_e32 v129, v127, v128
	v_fma_f32 v130, -v126, v129, v127
	v_fmac_f32_e32 v129, v130, v128
	v_fma_f32 v126, -v126, v129, v127
	v_div_fmas_f32 v126, v126, v128, v129
	v_div_fixup_f32 v125, v126, v125, 1.0
	buffer_store_dword v125, v124, s[0:3], 0 offen
	v_xor_b32_e32 v124, 0x80000000, v125
.LBB60_3:
	ds_write_b32 v123, v124
	s_cmpk_eq_i32 s8, 0x79
	v_or_b32_e32 v124, 0x100, v123
	v_mov_b32_e32 v125, v123
	s_mov_b64 s[4:5], -1
	s_cbranch_scc1 .LBB60_597
; %bb.4:
	buffer_load_dword v126, off, s[0:3], 0 offset:236
	s_movk_i32 s30, 0x44
	s_movk_i32 s31, 0x48
	;; [unrolled: 1-line block ×41, first 2 shown]
	v_cmp_eq_u32_e64 s[4:5], 60, v0
	s_waitcnt vmcnt(0)
	ds_write_b32 v124, v126
	s_waitcnt lgkmcnt(0)
	; wave barrier
	s_and_saveexec_b64 s[6:7], s[4:5]
	s_cbranch_execz .LBB60_10
; %bb.5:
	s_and_b64 vcc, exec, s[10:11]
	s_cbranch_vccz .LBB60_7
; %bb.6:
	buffer_load_dword v126, v125, s[0:3], 0 offen
	ds_read_b32 v127, v124
	s_waitcnt vmcnt(0) lgkmcnt(0)
	v_mul_f32_e32 v126, v126, v127
	s_cbranch_execz .LBB60_8
	s_branch .LBB60_9
.LBB60_7:
                                        ; implicit-def: $vgpr126
.LBB60_8:
	ds_read_b32 v126, v124
.LBB60_9:
	v_mov_b32_e32 v127, 0
	ds_read_b32 v127, v127 offset:236
	s_waitcnt lgkmcnt(0)
	v_mul_f32_e32 v126, v126, v127
	buffer_store_dword v126, off, s[0:3], 0 offset:236
.LBB60_10:
	s_or_b64 exec, exec, s[6:7]
	buffer_load_dword v126, off, s[0:3], 0 offset:232
	s_or_b32 s14, 0, 4
	s_or_b32 s15, 0, 8
	;; [unrolled: 1-line block ×3, first 2 shown]
	s_mov_b32 s17, 16
	s_mov_b32 s18, 20
	;; [unrolled: 1-line block ×15, first 2 shown]
	v_cmp_lt_u32_e64 s[6:7], 58, v0
	s_waitcnt vmcnt(0)
	ds_write_b32 v124, v126
	s_waitcnt lgkmcnt(0)
	; wave barrier
	s_and_saveexec_b64 s[8:9], s[6:7]
	s_cbranch_execz .LBB60_16
; %bb.11:
	s_andn2_b64 vcc, exec, s[10:11]
	s_cbranch_vccnz .LBB60_13
; %bb.12:
	buffer_load_dword v126, v125, s[0:3], 0 offen
	ds_read_b32 v127, v124
	s_waitcnt vmcnt(0) lgkmcnt(0)
	v_mul_f32_e32 v126, v126, v127
	s_cbranch_execz .LBB60_14
	s_branch .LBB60_15
.LBB60_13:
                                        ; implicit-def: $vgpr126
.LBB60_14:
	ds_read_b32 v126, v124
.LBB60_15:
	buffer_load_dword v129, off, s[0:3], 0 offset:236
	v_mov_b32_e32 v127, 0
	ds_read2_b32 v[127:128], v127 offset0:58 offset1:123
	s_waitcnt vmcnt(0) lgkmcnt(0)
	v_fma_f32 v128, v129, v128, v126
	v_cndmask_b32_e64 v126, v126, v128, s[4:5]
	v_mul_f32_e32 v126, v126, v127
	buffer_store_dword v126, off, s[0:3], 0 offset:232
.LBB60_16:
	s_or_b64 exec, exec, s[8:9]
	buffer_load_dword v126, off, s[0:3], 0 offset:228
	v_cmp_lt_u32_e64 s[4:5], 57, v0
	s_waitcnt vmcnt(0)
	ds_write_b32 v124, v126
	s_waitcnt lgkmcnt(0)
	; wave barrier
	s_and_saveexec_b64 s[8:9], s[4:5]
	s_cbranch_execz .LBB60_26
; %bb.17:
	s_andn2_b64 vcc, exec, s[10:11]
	s_cbranch_vccnz .LBB60_19
; %bb.18:
	buffer_load_dword v126, v125, s[0:3], 0 offen
	ds_read_b32 v127, v124
	s_waitcnt vmcnt(0) lgkmcnt(0)
	v_mul_f32_e32 v126, v126, v127
	s_cbranch_execz .LBB60_20
	s_branch .LBB60_21
.LBB60_19:
                                        ; implicit-def: $vgpr126
.LBB60_20:
	ds_read_b32 v126, v124
.LBB60_21:
	s_and_saveexec_b64 s[12:13], s[6:7]
	s_cbranch_execz .LBB60_25
; %bb.22:
	v_subrev_u32_e32 v127, 58, v0
	s_movk_i32 s73, 0x1e8
	s_mov_b64 s[6:7], 0
.LBB60_23:                              ; =>This Inner Loop Header: Depth=1
	v_mov_b32_e32 v128, s72
	buffer_load_dword v128, v128, s[0:3], 0 offen
	v_mov_b32_e32 v129, s73
	ds_read_b32 v129, v129
	v_add_u32_e32 v127, -1, v127
	s_add_i32 s73, s73, 4
	s_add_i32 s72, s72, 4
	v_cmp_eq_u32_e32 vcc, 0, v127
	s_or_b64 s[6:7], vcc, s[6:7]
	s_waitcnt vmcnt(0) lgkmcnt(0)
	v_fmac_f32_e32 v126, v128, v129
	s_andn2_b64 exec, exec, s[6:7]
	s_cbranch_execnz .LBB60_23
; %bb.24:
	s_or_b64 exec, exec, s[6:7]
.LBB60_25:
	s_or_b64 exec, exec, s[12:13]
	v_mov_b32_e32 v127, 0
	ds_read_b32 v127, v127 offset:228
	s_waitcnt lgkmcnt(0)
	v_mul_f32_e32 v126, v126, v127
	buffer_store_dword v126, off, s[0:3], 0 offset:228
.LBB60_26:
	s_or_b64 exec, exec, s[8:9]
	buffer_load_dword v126, off, s[0:3], 0 offset:224
	v_cmp_lt_u32_e64 s[6:7], 56, v0
	s_waitcnt vmcnt(0)
	ds_write_b32 v124, v126
	s_waitcnt lgkmcnt(0)
	; wave barrier
	s_and_saveexec_b64 s[8:9], s[6:7]
	s_cbranch_execz .LBB60_36
; %bb.27:
	s_andn2_b64 vcc, exec, s[10:11]
	s_cbranch_vccnz .LBB60_29
; %bb.28:
	buffer_load_dword v126, v125, s[0:3], 0 offen
	ds_read_b32 v127, v124
	s_waitcnt vmcnt(0) lgkmcnt(0)
	v_mul_f32_e32 v126, v126, v127
	s_cbranch_execz .LBB60_30
	s_branch .LBB60_31
.LBB60_29:
                                        ; implicit-def: $vgpr126
.LBB60_30:
	ds_read_b32 v126, v124
.LBB60_31:
	s_and_saveexec_b64 s[12:13], s[4:5]
	s_cbranch_execz .LBB60_35
; %bb.32:
	v_subrev_u32_e32 v127, 57, v0
	s_movk_i32 s72, 0x1e4
	s_mov_b64 s[4:5], 0
.LBB60_33:                              ; =>This Inner Loop Header: Depth=1
	v_mov_b32_e32 v128, s71
	buffer_load_dword v128, v128, s[0:3], 0 offen
	v_mov_b32_e32 v129, s72
	ds_read_b32 v129, v129
	v_add_u32_e32 v127, -1, v127
	s_add_i32 s72, s72, 4
	s_add_i32 s71, s71, 4
	v_cmp_eq_u32_e32 vcc, 0, v127
	s_or_b64 s[4:5], vcc, s[4:5]
	s_waitcnt vmcnt(0) lgkmcnt(0)
	v_fmac_f32_e32 v126, v128, v129
	s_andn2_b64 exec, exec, s[4:5]
	s_cbranch_execnz .LBB60_33
; %bb.34:
	s_or_b64 exec, exec, s[4:5]
.LBB60_35:
	s_or_b64 exec, exec, s[12:13]
	v_mov_b32_e32 v127, 0
	ds_read_b32 v127, v127 offset:224
	s_waitcnt lgkmcnt(0)
	v_mul_f32_e32 v126, v126, v127
	buffer_store_dword v126, off, s[0:3], 0 offset:224
.LBB60_36:
	;; [unrolled: 54-line block ×8, first 2 shown]
	s_or_b64 exec, exec, s[8:9]
	buffer_load_dword v126, off, s[0:3], 0 offset:196
	v_cmp_lt_u32_e64 s[4:5], 49, v0
	s_waitcnt vmcnt(0)
	ds_write_b32 v124, v126
	s_waitcnt lgkmcnt(0)
	; wave barrier
	s_and_saveexec_b64 s[8:9], s[4:5]
	s_cbranch_execz .LBB60_106
; %bb.97:
	s_andn2_b64 vcc, exec, s[10:11]
	s_cbranch_vccnz .LBB60_99
; %bb.98:
	buffer_load_dword v126, v125, s[0:3], 0 offen
	ds_read_b32 v127, v124
	s_waitcnt vmcnt(0) lgkmcnt(0)
	v_mul_f32_e32 v126, v126, v127
	s_cbranch_execz .LBB60_100
	s_branch .LBB60_101
.LBB60_99:
                                        ; implicit-def: $vgpr126
.LBB60_100:
	ds_read_b32 v126, v124
.LBB60_101:
	s_and_saveexec_b64 s[12:13], s[6:7]
	s_cbranch_execz .LBB60_105
; %bb.102:
	v_subrev_u32_e32 v127, 50, v0
	s_movk_i32 s65, 0x1c8
	s_mov_b64 s[6:7], 0
.LBB60_103:                             ; =>This Inner Loop Header: Depth=1
	v_mov_b32_e32 v128, s64
	buffer_load_dword v128, v128, s[0:3], 0 offen
	v_mov_b32_e32 v129, s65
	ds_read_b32 v129, v129
	v_add_u32_e32 v127, -1, v127
	s_add_i32 s65, s65, 4
	s_add_i32 s64, s64, 4
	v_cmp_eq_u32_e32 vcc, 0, v127
	s_or_b64 s[6:7], vcc, s[6:7]
	s_waitcnt vmcnt(0) lgkmcnt(0)
	v_fmac_f32_e32 v126, v128, v129
	s_andn2_b64 exec, exec, s[6:7]
	s_cbranch_execnz .LBB60_103
; %bb.104:
	s_or_b64 exec, exec, s[6:7]
.LBB60_105:
	s_or_b64 exec, exec, s[12:13]
	v_mov_b32_e32 v127, 0
	ds_read_b32 v127, v127 offset:196
	s_waitcnt lgkmcnt(0)
	v_mul_f32_e32 v126, v126, v127
	buffer_store_dword v126, off, s[0:3], 0 offset:196
.LBB60_106:
	s_or_b64 exec, exec, s[8:9]
	buffer_load_dword v126, off, s[0:3], 0 offset:192
	v_cmp_lt_u32_e64 s[6:7], 48, v0
	s_waitcnt vmcnt(0)
	ds_write_b32 v124, v126
	s_waitcnt lgkmcnt(0)
	; wave barrier
	s_and_saveexec_b64 s[8:9], s[6:7]
	s_cbranch_execz .LBB60_116
; %bb.107:
	s_andn2_b64 vcc, exec, s[10:11]
	s_cbranch_vccnz .LBB60_109
; %bb.108:
	buffer_load_dword v126, v125, s[0:3], 0 offen
	ds_read_b32 v127, v124
	s_waitcnt vmcnt(0) lgkmcnt(0)
	v_mul_f32_e32 v126, v126, v127
	s_cbranch_execz .LBB60_110
	s_branch .LBB60_111
.LBB60_109:
                                        ; implicit-def: $vgpr126
.LBB60_110:
	ds_read_b32 v126, v124
.LBB60_111:
	s_and_saveexec_b64 s[12:13], s[4:5]
	s_cbranch_execz .LBB60_115
; %bb.112:
	v_subrev_u32_e32 v127, 49, v0
	s_movk_i32 s64, 0x1c4
	s_mov_b64 s[4:5], 0
.LBB60_113:                             ; =>This Inner Loop Header: Depth=1
	v_mov_b32_e32 v128, s63
	buffer_load_dword v128, v128, s[0:3], 0 offen
	v_mov_b32_e32 v129, s64
	ds_read_b32 v129, v129
	v_add_u32_e32 v127, -1, v127
	s_add_i32 s64, s64, 4
	s_add_i32 s63, s63, 4
	v_cmp_eq_u32_e32 vcc, 0, v127
	s_or_b64 s[4:5], vcc, s[4:5]
	s_waitcnt vmcnt(0) lgkmcnt(0)
	v_fmac_f32_e32 v126, v128, v129
	s_andn2_b64 exec, exec, s[4:5]
	s_cbranch_execnz .LBB60_113
; %bb.114:
	s_or_b64 exec, exec, s[4:5]
.LBB60_115:
	s_or_b64 exec, exec, s[12:13]
	v_mov_b32_e32 v127, 0
	ds_read_b32 v127, v127 offset:192
	s_waitcnt lgkmcnt(0)
	v_mul_f32_e32 v126, v126, v127
	buffer_store_dword v126, off, s[0:3], 0 offset:192
.LBB60_116:
	;; [unrolled: 54-line block ×34, first 2 shown]
	s_or_b64 exec, exec, s[8:9]
	buffer_load_dword v126, off, s[0:3], 0 offset:60
	v_cmp_lt_u32_e64 s[4:5], 15, v0
	s_waitcnt vmcnt(0)
	ds_write_b32 v124, v126
	s_waitcnt lgkmcnt(0)
	; wave barrier
	s_and_saveexec_b64 s[8:9], s[4:5]
	s_cbranch_execz .LBB60_446
; %bb.437:
	s_andn2_b64 vcc, exec, s[10:11]
	s_cbranch_vccnz .LBB60_439
; %bb.438:
	buffer_load_dword v126, v125, s[0:3], 0 offen
	ds_read_b32 v127, v124
	s_waitcnt vmcnt(0) lgkmcnt(0)
	v_mul_f32_e32 v126, v126, v127
	s_cbranch_execz .LBB60_440
	s_branch .LBB60_441
.LBB60_439:
                                        ; implicit-def: $vgpr126
.LBB60_440:
	ds_read_b32 v126, v124
.LBB60_441:
	s_and_saveexec_b64 s[12:13], s[6:7]
	s_cbranch_execz .LBB60_445
; %bb.442:
	v_add_u32_e32 v127, -16, v0
	s_movk_i32 s30, 0x140
	s_mov_b64 s[6:7], 0
.LBB60_443:                             ; =>This Inner Loop Header: Depth=1
	v_mov_b32_e32 v128, s29
	buffer_load_dword v128, v128, s[0:3], 0 offen
	v_mov_b32_e32 v129, s30
	ds_read_b32 v129, v129
	v_add_u32_e32 v127, -1, v127
	s_add_i32 s30, s30, 4
	s_add_i32 s29, s29, 4
	v_cmp_eq_u32_e32 vcc, 0, v127
	s_or_b64 s[6:7], vcc, s[6:7]
	s_waitcnt vmcnt(0) lgkmcnt(0)
	v_fmac_f32_e32 v126, v128, v129
	s_andn2_b64 exec, exec, s[6:7]
	s_cbranch_execnz .LBB60_443
; %bb.444:
	s_or_b64 exec, exec, s[6:7]
.LBB60_445:
	s_or_b64 exec, exec, s[12:13]
	v_mov_b32_e32 v127, 0
	ds_read_b32 v127, v127 offset:60
	s_waitcnt lgkmcnt(0)
	v_mul_f32_e32 v126, v126, v127
	buffer_store_dword v126, off, s[0:3], 0 offset:60
.LBB60_446:
	s_or_b64 exec, exec, s[8:9]
	buffer_load_dword v126, off, s[0:3], 0 offset:56
	v_cmp_lt_u32_e64 s[6:7], 14, v0
	s_waitcnt vmcnt(0)
	ds_write_b32 v124, v126
	s_waitcnt lgkmcnt(0)
	; wave barrier
	s_and_saveexec_b64 s[8:9], s[6:7]
	s_cbranch_execz .LBB60_456
; %bb.447:
	s_andn2_b64 vcc, exec, s[10:11]
	s_cbranch_vccnz .LBB60_449
; %bb.448:
	buffer_load_dword v126, v125, s[0:3], 0 offen
	ds_read_b32 v127, v124
	s_waitcnt vmcnt(0) lgkmcnt(0)
	v_mul_f32_e32 v126, v126, v127
	s_cbranch_execz .LBB60_450
	s_branch .LBB60_451
.LBB60_449:
                                        ; implicit-def: $vgpr126
.LBB60_450:
	ds_read_b32 v126, v124
.LBB60_451:
	s_and_saveexec_b64 s[12:13], s[4:5]
	s_cbranch_execz .LBB60_455
; %bb.452:
	v_add_u32_e32 v127, -15, v0
	s_movk_i32 s29, 0x13c
	s_mov_b64 s[4:5], 0
.LBB60_453:                             ; =>This Inner Loop Header: Depth=1
	v_mov_b32_e32 v128, s28
	buffer_load_dword v128, v128, s[0:3], 0 offen
	v_mov_b32_e32 v129, s29
	ds_read_b32 v129, v129
	v_add_u32_e32 v127, -1, v127
	s_add_i32 s29, s29, 4
	s_add_i32 s28, s28, 4
	v_cmp_eq_u32_e32 vcc, 0, v127
	s_or_b64 s[4:5], vcc, s[4:5]
	s_waitcnt vmcnt(0) lgkmcnt(0)
	v_fmac_f32_e32 v126, v128, v129
	s_andn2_b64 exec, exec, s[4:5]
	s_cbranch_execnz .LBB60_453
; %bb.454:
	s_or_b64 exec, exec, s[4:5]
.LBB60_455:
	s_or_b64 exec, exec, s[12:13]
	v_mov_b32_e32 v127, 0
	ds_read_b32 v127, v127 offset:56
	s_waitcnt lgkmcnt(0)
	v_mul_f32_e32 v126, v126, v127
	buffer_store_dword v126, off, s[0:3], 0 offset:56
.LBB60_456:
	;; [unrolled: 54-line block ×15, first 2 shown]
	s_or_b64 exec, exec, s[8:9]
	buffer_load_dword v126, off, s[0:3], 0
	v_cmp_ne_u32_e32 vcc, 0, v0
	s_waitcnt vmcnt(0)
	ds_write_b32 v124, v126
	s_waitcnt lgkmcnt(0)
	; wave barrier
	s_and_saveexec_b64 s[6:7], vcc
	s_cbranch_execz .LBB60_596
; %bb.587:
	s_andn2_b64 vcc, exec, s[10:11]
	s_cbranch_vccnz .LBB60_589
; %bb.588:
	buffer_load_dword v126, v125, s[0:3], 0 offen
	ds_read_b32 v127, v124
	s_waitcnt vmcnt(0) lgkmcnt(0)
	v_mul_f32_e32 v126, v126, v127
	s_cbranch_execz .LBB60_590
	s_branch .LBB60_591
.LBB60_589:
                                        ; implicit-def: $vgpr126
.LBB60_590:
	ds_read_b32 v126, v124
.LBB60_591:
	s_and_saveexec_b64 s[8:9], s[4:5]
	s_cbranch_execz .LBB60_595
; %bb.592:
	v_add_u32_e32 v127, -1, v0
	s_movk_i32 s12, 0x104
	s_mov_b64 s[4:5], 0
.LBB60_593:                             ; =>This Inner Loop Header: Depth=1
	v_mov_b32_e32 v128, s14
	buffer_load_dword v128, v128, s[0:3], 0 offen
	v_mov_b32_e32 v129, s12
	ds_read_b32 v129, v129
	v_add_u32_e32 v127, -1, v127
	s_add_i32 s12, s12, 4
	s_add_i32 s14, s14, 4
	v_cmp_eq_u32_e32 vcc, 0, v127
	s_or_b64 s[4:5], vcc, s[4:5]
	s_waitcnt vmcnt(0) lgkmcnt(0)
	v_fmac_f32_e32 v126, v128, v129
	s_andn2_b64 exec, exec, s[4:5]
	s_cbranch_execnz .LBB60_593
; %bb.594:
	s_or_b64 exec, exec, s[4:5]
.LBB60_595:
	s_or_b64 exec, exec, s[8:9]
	v_mov_b32_e32 v127, 0
	ds_read_b32 v127, v127
	s_waitcnt lgkmcnt(0)
	v_mul_f32_e32 v126, v126, v127
	buffer_store_dword v126, off, s[0:3], 0
.LBB60_596:
	s_or_b64 exec, exec, s[6:7]
	s_mov_b64 s[4:5], 0
.LBB60_597:
	s_and_b64 vcc, exec, s[4:5]
	s_cbranch_vccz .LBB60_1189
; %bb.598:
	buffer_load_dword v126, off, s[0:3], 0 offset:4
	v_cmp_eq_u32_e64 s[6:7], 0, v0
	s_waitcnt vmcnt(0)
	ds_write_b32 v124, v126
	s_waitcnt lgkmcnt(0)
	; wave barrier
	s_and_saveexec_b64 s[4:5], s[6:7]
	s_cbranch_execz .LBB60_604
; %bb.599:
	s_and_b64 vcc, exec, s[10:11]
	s_cbranch_vccz .LBB60_601
; %bb.600:
	buffer_load_dword v126, v125, s[0:3], 0 offen
	ds_read_b32 v127, v124
	s_waitcnt vmcnt(0) lgkmcnt(0)
	v_mul_f32_e32 v126, v126, v127
	s_cbranch_execz .LBB60_602
	s_branch .LBB60_603
.LBB60_601:
                                        ; implicit-def: $vgpr126
.LBB60_602:
	ds_read_b32 v126, v124
.LBB60_603:
	v_mov_b32_e32 v127, 0
	ds_read_b32 v127, v127 offset:4
	s_waitcnt lgkmcnt(0)
	v_mul_f32_e32 v126, v126, v127
	buffer_store_dword v126, off, s[0:3], 0 offset:4
.LBB60_604:
	s_or_b64 exec, exec, s[4:5]
	buffer_load_dword v126, off, s[0:3], 0 offset:8
	v_cndmask_b32_e64 v127, 0, 1, s[10:11]
	v_cmp_gt_u32_e32 vcc, 2, v0
	v_cmp_ne_u32_e64 s[4:5], 1, v127
	s_waitcnt vmcnt(0)
	ds_write_b32 v124, v126
	s_waitcnt lgkmcnt(0)
	; wave barrier
	s_and_saveexec_b64 s[8:9], vcc
	s_cbranch_execz .LBB60_610
; %bb.605:
	s_and_b64 vcc, exec, s[4:5]
	s_cbranch_vccnz .LBB60_607
; %bb.606:
	buffer_load_dword v126, v125, s[0:3], 0 offen
	ds_read_b32 v127, v124
	s_waitcnt vmcnt(0) lgkmcnt(0)
	v_mul_f32_e32 v126, v126, v127
	s_cbranch_execz .LBB60_608
	s_branch .LBB60_609
.LBB60_607:
                                        ; implicit-def: $vgpr126
.LBB60_608:
	ds_read_b32 v126, v124
.LBB60_609:
	buffer_load_dword v129, off, s[0:3], 0 offset:4
	v_mov_b32_e32 v127, 0
	ds_read2_b32 v[127:128], v127 offset0:2 offset1:65
	s_waitcnt vmcnt(0) lgkmcnt(0)
	v_fma_f32 v128, v129, v128, v126
	v_cndmask_b32_e64 v126, v126, v128, s[6:7]
	v_mul_f32_e32 v126, v126, v127
	buffer_store_dword v126, off, s[0:3], 0 offset:8
.LBB60_610:
	s_or_b64 exec, exec, s[8:9]
	buffer_load_dword v126, off, s[0:3], 0 offset:12
	v_cmp_gt_u32_e32 vcc, 3, v0
	s_waitcnt vmcnt(0)
	ds_write_b32 v124, v126
	s_waitcnt lgkmcnt(0)
	; wave barrier
	s_and_saveexec_b64 s[8:9], vcc
	s_cbranch_execz .LBB60_618
; %bb.611:
	s_and_b64 vcc, exec, s[4:5]
	s_cbranch_vccnz .LBB60_613
; %bb.612:
	buffer_load_dword v126, v125, s[0:3], 0 offen
	ds_read_b32 v127, v124
	s_waitcnt vmcnt(0) lgkmcnt(0)
	v_mul_f32_e32 v126, v126, v127
	s_cbranch_execz .LBB60_614
	s_branch .LBB60_615
.LBB60_613:
                                        ; implicit-def: $vgpr126
.LBB60_614:
	ds_read_b32 v126, v124
.LBB60_615:
	v_cmp_ne_u32_e32 vcc, 2, v0
	s_and_saveexec_b64 s[10:11], vcc
	s_cbranch_execz .LBB60_617
; %bb.616:
	buffer_load_dword v127, v125, s[0:3], 0 offen offset:4
	buffer_load_dword v128, off, s[0:3], 0 offset:8
	v_mov_b32_e32 v129, 0
	ds_read_b32 v130, v124 offset:4
	ds_read_b32 v129, v129 offset:264
	s_waitcnt vmcnt(1) lgkmcnt(1)
	v_fmac_f32_e32 v126, v127, v130
	s_waitcnt vmcnt(0) lgkmcnt(0)
	v_fma_f32 v127, v128, v129, v126
	v_cndmask_b32_e64 v126, v126, v127, s[6:7]
.LBB60_617:
	s_or_b64 exec, exec, s[10:11]
	v_mov_b32_e32 v127, 0
	ds_read_b32 v127, v127 offset:12
	s_waitcnt lgkmcnt(0)
	v_mul_f32_e32 v126, v126, v127
	buffer_store_dword v126, off, s[0:3], 0 offset:12
.LBB60_618:
	s_or_b64 exec, exec, s[8:9]
	buffer_load_dword v126, off, s[0:3], 0 offset:16
	v_cmp_gt_u32_e32 vcc, 4, v0
	s_waitcnt vmcnt(0)
	ds_write_b32 v124, v126
	s_waitcnt lgkmcnt(0)
	; wave barrier
	s_and_saveexec_b64 s[6:7], vcc
	s_cbranch_execz .LBB60_628
; %bb.619:
	s_and_b64 vcc, exec, s[4:5]
	s_cbranch_vccnz .LBB60_621
; %bb.620:
	buffer_load_dword v126, v125, s[0:3], 0 offen
	ds_read_b32 v127, v124
	s_waitcnt vmcnt(0) lgkmcnt(0)
	v_mul_f32_e32 v126, v126, v127
	s_cbranch_execz .LBB60_622
	s_branch .LBB60_623
.LBB60_621:
                                        ; implicit-def: $vgpr126
.LBB60_622:
	ds_read_b32 v126, v124
.LBB60_623:
	v_cmp_ne_u32_e32 vcc, 3, v0
	s_and_saveexec_b64 s[8:9], vcc
	s_cbranch_execz .LBB60_627
; %bb.624:
	s_mov_b32 s10, 0
	v_add_u32_e32 v127, 0x104, v123
	v_add3_u32 v128, v123, s10, 4
	s_mov_b64 s[10:11], 0
	v_mov_b32_e32 v129, v0
.LBB60_625:                             ; =>This Inner Loop Header: Depth=1
	buffer_load_dword v130, v128, s[0:3], 0 offen
	ds_read_b32 v131, v127
	v_add_u32_e32 v129, 1, v129
	v_cmp_lt_u32_e32 vcc, 2, v129
	v_add_u32_e32 v127, 4, v127
	v_add_u32_e32 v128, 4, v128
	s_or_b64 s[10:11], vcc, s[10:11]
	s_waitcnt vmcnt(0) lgkmcnt(0)
	v_fmac_f32_e32 v126, v130, v131
	s_andn2_b64 exec, exec, s[10:11]
	s_cbranch_execnz .LBB60_625
; %bb.626:
	s_or_b64 exec, exec, s[10:11]
.LBB60_627:
	s_or_b64 exec, exec, s[8:9]
	v_mov_b32_e32 v127, 0
	ds_read_b32 v127, v127 offset:16
	s_waitcnt lgkmcnt(0)
	v_mul_f32_e32 v126, v126, v127
	buffer_store_dword v126, off, s[0:3], 0 offset:16
.LBB60_628:
	s_or_b64 exec, exec, s[6:7]
	buffer_load_dword v126, off, s[0:3], 0 offset:20
	v_cmp_gt_u32_e32 vcc, 5, v0
	s_waitcnt vmcnt(0)
	ds_write_b32 v124, v126
	s_waitcnt lgkmcnt(0)
	; wave barrier
	s_and_saveexec_b64 s[6:7], vcc
	s_cbranch_execz .LBB60_638
; %bb.629:
	s_and_b64 vcc, exec, s[4:5]
	s_cbranch_vccnz .LBB60_631
; %bb.630:
	buffer_load_dword v126, v125, s[0:3], 0 offen
	ds_read_b32 v127, v124
	s_waitcnt vmcnt(0) lgkmcnt(0)
	v_mul_f32_e32 v126, v126, v127
	s_cbranch_execz .LBB60_632
	s_branch .LBB60_633
.LBB60_631:
                                        ; implicit-def: $vgpr126
.LBB60_632:
	ds_read_b32 v126, v124
.LBB60_633:
	v_cmp_ne_u32_e32 vcc, 4, v0
	s_and_saveexec_b64 s[8:9], vcc
	s_cbranch_execz .LBB60_637
; %bb.634:
	s_mov_b32 s10, 0
	v_add_u32_e32 v127, 0x104, v123
	v_add3_u32 v128, v123, s10, 4
	s_mov_b64 s[10:11], 0
	v_mov_b32_e32 v129, v0
.LBB60_635:                             ; =>This Inner Loop Header: Depth=1
	buffer_load_dword v130, v128, s[0:3], 0 offen
	ds_read_b32 v131, v127
	v_add_u32_e32 v129, 1, v129
	v_cmp_lt_u32_e32 vcc, 3, v129
	v_add_u32_e32 v127, 4, v127
	v_add_u32_e32 v128, 4, v128
	s_or_b64 s[10:11], vcc, s[10:11]
	s_waitcnt vmcnt(0) lgkmcnt(0)
	v_fmac_f32_e32 v126, v130, v131
	s_andn2_b64 exec, exec, s[10:11]
	s_cbranch_execnz .LBB60_635
; %bb.636:
	s_or_b64 exec, exec, s[10:11]
.LBB60_637:
	s_or_b64 exec, exec, s[8:9]
	v_mov_b32_e32 v127, 0
	ds_read_b32 v127, v127 offset:20
	s_waitcnt lgkmcnt(0)
	v_mul_f32_e32 v126, v126, v127
	buffer_store_dword v126, off, s[0:3], 0 offset:20
.LBB60_638:
	;; [unrolled: 55-line block ×38, first 2 shown]
	s_or_b64 exec, exec, s[6:7]
	buffer_load_dword v126, off, s[0:3], 0 offset:168
	v_cmp_gt_u32_e32 vcc, 42, v0
	s_waitcnt vmcnt(0)
	ds_write_b32 v124, v126
	s_waitcnt lgkmcnt(0)
	; wave barrier
	s_and_saveexec_b64 s[6:7], vcc
	s_cbranch_execz .LBB60_1008
; %bb.999:
	s_and_b64 vcc, exec, s[4:5]
	s_cbranch_vccnz .LBB60_1001
; %bb.1000:
	buffer_load_dword v126, v125, s[0:3], 0 offen
	ds_read_b32 v127, v124
	s_waitcnt vmcnt(0) lgkmcnt(0)
	v_mul_f32_e32 v126, v126, v127
	s_cbranch_execz .LBB60_1002
	s_branch .LBB60_1003
.LBB60_1001:
                                        ; implicit-def: $vgpr126
.LBB60_1002:
	ds_read_b32 v126, v124
.LBB60_1003:
	v_cmp_ne_u32_e32 vcc, 41, v0
	s_and_saveexec_b64 s[8:9], vcc
	s_cbranch_execz .LBB60_1007
; %bb.1004:
	s_mov_b32 s10, 0
	v_add_u32_e32 v127, 0x104, v123
	v_add3_u32 v128, v123, s10, 4
	s_mov_b64 s[10:11], 0
	v_mov_b32_e32 v129, v0
.LBB60_1005:                            ; =>This Inner Loop Header: Depth=1
	buffer_load_dword v130, v128, s[0:3], 0 offen
	ds_read_b32 v131, v127
	v_add_u32_e32 v129, 1, v129
	v_cmp_lt_u32_e32 vcc, 40, v129
	v_add_u32_e32 v127, 4, v127
	v_add_u32_e32 v128, 4, v128
	s_or_b64 s[10:11], vcc, s[10:11]
	s_waitcnt vmcnt(0) lgkmcnt(0)
	v_fmac_f32_e32 v126, v130, v131
	s_andn2_b64 exec, exec, s[10:11]
	s_cbranch_execnz .LBB60_1005
; %bb.1006:
	s_or_b64 exec, exec, s[10:11]
.LBB60_1007:
	s_or_b64 exec, exec, s[8:9]
	v_mov_b32_e32 v127, 0
	ds_read_b32 v127, v127 offset:168
	s_waitcnt lgkmcnt(0)
	v_mul_f32_e32 v126, v126, v127
	buffer_store_dword v126, off, s[0:3], 0 offset:168
.LBB60_1008:
	s_or_b64 exec, exec, s[6:7]
	buffer_load_dword v126, off, s[0:3], 0 offset:172
	v_cmp_gt_u32_e32 vcc, 43, v0
	s_waitcnt vmcnt(0)
	ds_write_b32 v124, v126
	s_waitcnt lgkmcnt(0)
	; wave barrier
	s_and_saveexec_b64 s[6:7], vcc
	s_cbranch_execz .LBB60_1018
; %bb.1009:
	s_and_b64 vcc, exec, s[4:5]
	s_cbranch_vccnz .LBB60_1011
; %bb.1010:
	buffer_load_dword v126, v125, s[0:3], 0 offen
	ds_read_b32 v127, v124
	s_waitcnt vmcnt(0) lgkmcnt(0)
	v_mul_f32_e32 v126, v126, v127
	s_cbranch_execz .LBB60_1012
	s_branch .LBB60_1013
.LBB60_1011:
                                        ; implicit-def: $vgpr126
.LBB60_1012:
	ds_read_b32 v126, v124
.LBB60_1013:
	v_cmp_ne_u32_e32 vcc, 42, v0
	s_and_saveexec_b64 s[8:9], vcc
	s_cbranch_execz .LBB60_1017
; %bb.1014:
	s_mov_b32 s10, 0
	v_add_u32_e32 v127, 0x104, v123
	v_add3_u32 v128, v123, s10, 4
	s_mov_b64 s[10:11], 0
	v_mov_b32_e32 v129, v0
.LBB60_1015:                            ; =>This Inner Loop Header: Depth=1
	buffer_load_dword v130, v128, s[0:3], 0 offen
	ds_read_b32 v131, v127
	v_add_u32_e32 v129, 1, v129
	v_cmp_lt_u32_e32 vcc, 41, v129
	v_add_u32_e32 v127, 4, v127
	v_add_u32_e32 v128, 4, v128
	s_or_b64 s[10:11], vcc, s[10:11]
	s_waitcnt vmcnt(0) lgkmcnt(0)
	v_fmac_f32_e32 v126, v130, v131
	s_andn2_b64 exec, exec, s[10:11]
	s_cbranch_execnz .LBB60_1015
; %bb.1016:
	s_or_b64 exec, exec, s[10:11]
.LBB60_1017:
	s_or_b64 exec, exec, s[8:9]
	v_mov_b32_e32 v127, 0
	ds_read_b32 v127, v127 offset:172
	s_waitcnt lgkmcnt(0)
	v_mul_f32_e32 v126, v126, v127
	buffer_store_dword v126, off, s[0:3], 0 offset:172
.LBB60_1018:
	;; [unrolled: 55-line block ×17, first 2 shown]
	s_or_b64 exec, exec, s[6:7]
	buffer_load_dword v126, off, s[0:3], 0 offset:236
	v_cmp_gt_u32_e64 s[6:7], 59, v0
	s_waitcnt vmcnt(0)
	ds_write_b32 v124, v126
	s_waitcnt lgkmcnt(0)
	; wave barrier
	s_and_saveexec_b64 s[8:9], s[6:7]
	s_cbranch_execz .LBB60_1178
; %bb.1169:
	s_and_b64 vcc, exec, s[4:5]
	s_cbranch_vccnz .LBB60_1171
; %bb.1170:
	buffer_load_dword v126, v125, s[0:3], 0 offen
	ds_read_b32 v127, v124
	s_waitcnt vmcnt(0) lgkmcnt(0)
	v_mul_f32_e32 v126, v126, v127
	s_cbranch_execz .LBB60_1172
	s_branch .LBB60_1173
.LBB60_1171:
                                        ; implicit-def: $vgpr126
.LBB60_1172:
	ds_read_b32 v126, v124
.LBB60_1173:
	v_cmp_ne_u32_e32 vcc, 58, v0
	s_and_saveexec_b64 s[10:11], vcc
	s_cbranch_execz .LBB60_1177
; %bb.1174:
	s_mov_b32 s12, 0
	v_add_u32_e32 v127, 0x104, v123
	v_add3_u32 v128, v123, s12, 4
	s_mov_b64 s[12:13], 0
	v_mov_b32_e32 v129, v0
.LBB60_1175:                            ; =>This Inner Loop Header: Depth=1
	buffer_load_dword v130, v128, s[0:3], 0 offen
	ds_read_b32 v131, v127
	v_add_u32_e32 v129, 1, v129
	v_cmp_lt_u32_e32 vcc, 57, v129
	v_add_u32_e32 v127, 4, v127
	v_add_u32_e32 v128, 4, v128
	s_or_b64 s[12:13], vcc, s[12:13]
	s_waitcnt vmcnt(0) lgkmcnt(0)
	v_fmac_f32_e32 v126, v130, v131
	s_andn2_b64 exec, exec, s[12:13]
	s_cbranch_execnz .LBB60_1175
; %bb.1176:
	s_or_b64 exec, exec, s[12:13]
.LBB60_1177:
	s_or_b64 exec, exec, s[10:11]
	v_mov_b32_e32 v127, 0
	ds_read_b32 v127, v127 offset:236
	s_waitcnt lgkmcnt(0)
	v_mul_f32_e32 v126, v126, v127
	buffer_store_dword v126, off, s[0:3], 0 offset:236
.LBB60_1178:
	s_or_b64 exec, exec, s[8:9]
	buffer_load_dword v126, off, s[0:3], 0 offset:240
	v_cmp_ne_u32_e32 vcc, 60, v0
	s_waitcnt vmcnt(0)
	ds_write_b32 v124, v126
	s_waitcnt lgkmcnt(0)
	; wave barrier
	s_and_saveexec_b64 s[8:9], vcc
	s_cbranch_execz .LBB60_1188
; %bb.1179:
	s_and_b64 vcc, exec, s[4:5]
	s_cbranch_vccnz .LBB60_1181
; %bb.1180:
	buffer_load_dword v125, v125, s[0:3], 0 offen
	ds_read_b32 v126, v124
	s_waitcnt vmcnt(0) lgkmcnt(0)
	v_mul_f32_e32 v125, v125, v126
	s_cbranch_execz .LBB60_1182
	s_branch .LBB60_1183
.LBB60_1181:
                                        ; implicit-def: $vgpr125
.LBB60_1182:
	ds_read_b32 v125, v124
.LBB60_1183:
	s_and_saveexec_b64 s[4:5], s[6:7]
	s_cbranch_execz .LBB60_1187
; %bb.1184:
	s_mov_b32 s6, 0
	v_add_u32_e32 v124, 0x104, v123
	v_add3_u32 v123, v123, s6, 4
	s_mov_b64 s[6:7], 0
.LBB60_1185:                            ; =>This Inner Loop Header: Depth=1
	buffer_load_dword v126, v123, s[0:3], 0 offen
	ds_read_b32 v127, v124
	v_add_u32_e32 v0, 1, v0
	v_cmp_lt_u32_e32 vcc, 58, v0
	v_add_u32_e32 v124, 4, v124
	v_add_u32_e32 v123, 4, v123
	s_or_b64 s[6:7], vcc, s[6:7]
	s_waitcnt vmcnt(0) lgkmcnt(0)
	v_fmac_f32_e32 v125, v126, v127
	s_andn2_b64 exec, exec, s[6:7]
	s_cbranch_execnz .LBB60_1185
; %bb.1186:
	s_or_b64 exec, exec, s[6:7]
.LBB60_1187:
	s_or_b64 exec, exec, s[4:5]
	v_mov_b32_e32 v0, 0
	ds_read_b32 v0, v0 offset:240
	s_waitcnt lgkmcnt(0)
	v_mul_f32_e32 v0, v125, v0
	buffer_store_dword v0, off, s[0:3], 0 offset:240
.LBB60_1188:
	s_or_b64 exec, exec, s[8:9]
.LBB60_1189:
	buffer_load_dword v0, off, s[0:3], 0
	buffer_load_dword v123, off, s[0:3], 0 offset:4
	buffer_load_dword v124, off, s[0:3], 0 offset:8
	;; [unrolled: 1-line block ×60, first 2 shown]
	s_waitcnt vmcnt(60)
	global_store_dword v[1:2], v0, off
	s_waitcnt vmcnt(60)
	global_store_dword v[3:4], v123, off
	;; [unrolled: 2-line block ×61, first 2 shown]
.LBB60_1190:
	s_endpgm
	.section	.rodata,"a",@progbits
	.p2align	6, 0x0
	.amdhsa_kernel _ZN9rocsolver6v33100L18trti2_kernel_smallILi61EfPfEEv13rocblas_fill_17rocblas_diagonal_T1_iil
		.amdhsa_group_segment_fixed_size 500
		.amdhsa_private_segment_fixed_size 256
		.amdhsa_kernarg_size 32
		.amdhsa_user_sgpr_count 6
		.amdhsa_user_sgpr_private_segment_buffer 1
		.amdhsa_user_sgpr_dispatch_ptr 0
		.amdhsa_user_sgpr_queue_ptr 0
		.amdhsa_user_sgpr_kernarg_segment_ptr 1
		.amdhsa_user_sgpr_dispatch_id 0
		.amdhsa_user_sgpr_flat_scratch_init 0
		.amdhsa_user_sgpr_private_segment_size 0
		.amdhsa_uses_dynamic_stack 0
		.amdhsa_system_sgpr_private_segment_wavefront_offset 1
		.amdhsa_system_sgpr_workgroup_id_x 1
		.amdhsa_system_sgpr_workgroup_id_y 0
		.amdhsa_system_sgpr_workgroup_id_z 0
		.amdhsa_system_sgpr_workgroup_info 0
		.amdhsa_system_vgpr_workitem_id 0
		.amdhsa_next_free_vgpr 185
		.amdhsa_next_free_sgpr 74
		.amdhsa_reserve_vcc 1
		.amdhsa_reserve_flat_scratch 0
		.amdhsa_float_round_mode_32 0
		.amdhsa_float_round_mode_16_64 0
		.amdhsa_float_denorm_mode_32 3
		.amdhsa_float_denorm_mode_16_64 3
		.amdhsa_dx10_clamp 1
		.amdhsa_ieee_mode 1
		.amdhsa_fp16_overflow 0
		.amdhsa_exception_fp_ieee_invalid_op 0
		.amdhsa_exception_fp_denorm_src 0
		.amdhsa_exception_fp_ieee_div_zero 0
		.amdhsa_exception_fp_ieee_overflow 0
		.amdhsa_exception_fp_ieee_underflow 0
		.amdhsa_exception_fp_ieee_inexact 0
		.amdhsa_exception_int_div_zero 0
	.end_amdhsa_kernel
	.section	.text._ZN9rocsolver6v33100L18trti2_kernel_smallILi61EfPfEEv13rocblas_fill_17rocblas_diagonal_T1_iil,"axG",@progbits,_ZN9rocsolver6v33100L18trti2_kernel_smallILi61EfPfEEv13rocblas_fill_17rocblas_diagonal_T1_iil,comdat
.Lfunc_end60:
	.size	_ZN9rocsolver6v33100L18trti2_kernel_smallILi61EfPfEEv13rocblas_fill_17rocblas_diagonal_T1_iil, .Lfunc_end60-_ZN9rocsolver6v33100L18trti2_kernel_smallILi61EfPfEEv13rocblas_fill_17rocblas_diagonal_T1_iil
                                        ; -- End function
	.set _ZN9rocsolver6v33100L18trti2_kernel_smallILi61EfPfEEv13rocblas_fill_17rocblas_diagonal_T1_iil.num_vgpr, 185
	.set _ZN9rocsolver6v33100L18trti2_kernel_smallILi61EfPfEEv13rocblas_fill_17rocblas_diagonal_T1_iil.num_agpr, 0
	.set _ZN9rocsolver6v33100L18trti2_kernel_smallILi61EfPfEEv13rocblas_fill_17rocblas_diagonal_T1_iil.numbered_sgpr, 74
	.set _ZN9rocsolver6v33100L18trti2_kernel_smallILi61EfPfEEv13rocblas_fill_17rocblas_diagonal_T1_iil.num_named_barrier, 0
	.set _ZN9rocsolver6v33100L18trti2_kernel_smallILi61EfPfEEv13rocblas_fill_17rocblas_diagonal_T1_iil.private_seg_size, 256
	.set _ZN9rocsolver6v33100L18trti2_kernel_smallILi61EfPfEEv13rocblas_fill_17rocblas_diagonal_T1_iil.uses_vcc, 1
	.set _ZN9rocsolver6v33100L18trti2_kernel_smallILi61EfPfEEv13rocblas_fill_17rocblas_diagonal_T1_iil.uses_flat_scratch, 0
	.set _ZN9rocsolver6v33100L18trti2_kernel_smallILi61EfPfEEv13rocblas_fill_17rocblas_diagonal_T1_iil.has_dyn_sized_stack, 0
	.set _ZN9rocsolver6v33100L18trti2_kernel_smallILi61EfPfEEv13rocblas_fill_17rocblas_diagonal_T1_iil.has_recursion, 0
	.set _ZN9rocsolver6v33100L18trti2_kernel_smallILi61EfPfEEv13rocblas_fill_17rocblas_diagonal_T1_iil.has_indirect_call, 0
	.section	.AMDGPU.csdata,"",@progbits
; Kernel info:
; codeLenInByte = 29752
; TotalNumSgprs: 78
; NumVgprs: 185
; ScratchSize: 256
; MemoryBound: 0
; FloatMode: 240
; IeeeMode: 1
; LDSByteSize: 500 bytes/workgroup (compile time only)
; SGPRBlocks: 9
; VGPRBlocks: 46
; NumSGPRsForWavesPerEU: 78
; NumVGPRsForWavesPerEU: 185
; Occupancy: 1
; WaveLimiterHint : 0
; COMPUTE_PGM_RSRC2:SCRATCH_EN: 1
; COMPUTE_PGM_RSRC2:USER_SGPR: 6
; COMPUTE_PGM_RSRC2:TRAP_HANDLER: 0
; COMPUTE_PGM_RSRC2:TGID_X_EN: 1
; COMPUTE_PGM_RSRC2:TGID_Y_EN: 0
; COMPUTE_PGM_RSRC2:TGID_Z_EN: 0
; COMPUTE_PGM_RSRC2:TIDIG_COMP_CNT: 0
	.section	.text._ZN9rocsolver6v33100L18trti2_kernel_smallILi62EfPfEEv13rocblas_fill_17rocblas_diagonal_T1_iil,"axG",@progbits,_ZN9rocsolver6v33100L18trti2_kernel_smallILi62EfPfEEv13rocblas_fill_17rocblas_diagonal_T1_iil,comdat
	.globl	_ZN9rocsolver6v33100L18trti2_kernel_smallILi62EfPfEEv13rocblas_fill_17rocblas_diagonal_T1_iil ; -- Begin function _ZN9rocsolver6v33100L18trti2_kernel_smallILi62EfPfEEv13rocblas_fill_17rocblas_diagonal_T1_iil
	.p2align	8
	.type	_ZN9rocsolver6v33100L18trti2_kernel_smallILi62EfPfEEv13rocblas_fill_17rocblas_diagonal_T1_iil,@function
_ZN9rocsolver6v33100L18trti2_kernel_smallILi62EfPfEEv13rocblas_fill_17rocblas_diagonal_T1_iil: ; @_ZN9rocsolver6v33100L18trti2_kernel_smallILi62EfPfEEv13rocblas_fill_17rocblas_diagonal_T1_iil
; %bb.0:
	s_add_u32 s0, s0, s7
	s_addc_u32 s1, s1, 0
	v_cmp_gt_u32_e32 vcc, 62, v0
	s_and_saveexec_b64 s[8:9], vcc
	s_cbranch_execz .LBB61_1210
; %bb.1:
	s_load_dwordx8 s[8:15], s[4:5], 0x0
	s_ashr_i32 s7, s6, 31
	v_lshlrev_b32_e32 v125, 2, v0
	s_waitcnt lgkmcnt(0)
	s_ashr_i32 s5, s12, 31
	s_mov_b32 s4, s12
	s_mul_hi_u32 s12, s14, s6
	s_mul_i32 s7, s14, s7
	s_add_i32 s7, s12, s7
	s_mul_i32 s12, s15, s6
	s_add_i32 s7, s7, s12
	s_mul_i32 s6, s14, s6
	s_lshl_b64 s[6:7], s[6:7], 2
	s_add_u32 s6, s10, s6
	s_addc_u32 s7, s11, s7
	s_lshl_b64 s[4:5], s[4:5], 2
	s_add_u32 s4, s6, s4
	s_addc_u32 s5, s7, s5
	v_mov_b32_e32 v2, s5
	v_add_co_u32_e32 v1, vcc, s4, v125
	s_ashr_i32 s7, s13, 31
	s_mov_b32 s6, s13
	v_addc_co_u32_e32 v2, vcc, 0, v2, vcc
	s_lshl_b64 s[6:7], s[6:7], 2
	v_add_co_u32_e32 v3, vcc, s6, v1
	s_add_i32 s6, s13, s13
	v_add_u32_e32 v7, s6, v0
	v_ashrrev_i32_e32 v8, 31, v7
	v_mov_b32_e32 v4, s7
	v_lshlrev_b64 v[5:6], 2, v[7:8]
	v_addc_co_u32_e32 v4, vcc, v2, v4, vcc
	v_add_u32_e32 v9, s13, v7
	v_mov_b32_e32 v8, s5
	v_add_co_u32_e32 v5, vcc, s4, v5
	v_ashrrev_i32_e32 v10, 31, v9
	v_addc_co_u32_e32 v6, vcc, v8, v6, vcc
	v_lshlrev_b64 v[7:8], 2, v[9:10]
	v_add_u32_e32 v11, s13, v9
	v_mov_b32_e32 v10, s5
	v_add_co_u32_e32 v7, vcc, s4, v7
	v_ashrrev_i32_e32 v12, 31, v11
	v_addc_co_u32_e32 v8, vcc, v10, v8, vcc
	v_lshlrev_b64 v[9:10], 2, v[11:12]
	;; [unrolled: 6-line block ×58, first 2 shown]
	v_mov_b32_e32 v124, s5
	v_add_co_u32_e32 v121, vcc, s4, v121
	v_add_u32_e32 v123, s13, v123
	v_addc_co_u32_e32 v122, vcc, v124, v122, vcc
	v_ashrrev_i32_e32 v124, 31, v123
	v_lshlrev_b64 v[123:124], 2, v[123:124]
	global_load_dword v126, v125, s[4:5]
	global_load_dword v127, v[3:4], off
	global_load_dword v128, v[5:6], off
	;; [unrolled: 1-line block ×32, first 2 shown]
	v_mov_b32_e32 v183, s5
	v_add_co_u32_e32 v123, vcc, s4, v123
	global_load_dword v159, v[67:68], off
	global_load_dword v160, v[69:70], off
	global_load_dword v161, v[71:72], off
	global_load_dword v162, v[73:74], off
	global_load_dword v163, v[75:76], off
	global_load_dword v164, v[77:78], off
	global_load_dword v165, v[79:80], off
	global_load_dword v166, v[81:82], off
	global_load_dword v167, v[83:84], off
	global_load_dword v168, v[85:86], off
	global_load_dword v169, v[87:88], off
	global_load_dword v170, v[89:90], off
	global_load_dword v171, v[91:92], off
	global_load_dword v172, v[93:94], off
	global_load_dword v173, v[95:96], off
	global_load_dword v174, v[97:98], off
	global_load_dword v175, v[99:100], off
	global_load_dword v176, v[101:102], off
	global_load_dword v177, v[103:104], off
	global_load_dword v178, v[105:106], off
	global_load_dword v179, v[107:108], off
	global_load_dword v180, v[109:110], off
	global_load_dword v181, v[111:112], off
	global_load_dword v182, v[113:114], off
	v_addc_co_u32_e32 v124, vcc, v183, v124, vcc
	global_load_dword v183, v[115:116], off
	global_load_dword v184, v[117:118], off
	;; [unrolled: 1-line block ×5, first 2 shown]
	s_cmpk_lg_i32 s9, 0x84
	s_waitcnt vmcnt(61)
	buffer_store_dword v126, off, s[0:3], 0
	s_waitcnt vmcnt(61)
	buffer_store_dword v127, off, s[0:3], 0 offset:4
	s_waitcnt vmcnt(61)
	buffer_store_dword v128, off, s[0:3], 0 offset:8
	;; [unrolled: 2-line block ×32, first 2 shown]
	s_movk_i32 s12, 0x84
	s_cselect_b64 s[10:11], -1, 0
	s_cmpk_eq_i32 s9, 0x84
	v_mov_b32_e32 v126, -1.0
	s_waitcnt vmcnt(61)
	buffer_store_dword v159, off, s[0:3], 0 offset:132
	s_waitcnt vmcnt(61)
	buffer_store_dword v160, off, s[0:3], 0 offset:136
	;; [unrolled: 2-line block ×29, first 2 shown]
	s_cbranch_scc1 .LBB61_3
; %bb.2:
	v_mov_b32_e32 v126, 0
	v_lshl_add_u32 v126, v0, 2, v126
	buffer_load_dword v127, v126, s[0:3], 0 offen
	s_waitcnt vmcnt(0)
	v_div_scale_f32 v128, s[4:5], v127, v127, 1.0
	v_div_scale_f32 v129, vcc, 1.0, v127, 1.0
	v_rcp_f32_e32 v130, v128
	v_fma_f32 v131, -v128, v130, 1.0
	v_fmac_f32_e32 v130, v131, v130
	v_mul_f32_e32 v131, v129, v130
	v_fma_f32 v132, -v128, v131, v129
	v_fmac_f32_e32 v131, v132, v130
	v_fma_f32 v128, -v128, v131, v129
	v_div_fmas_f32 v128, v128, v130, v131
	v_div_fixup_f32 v127, v128, v127, 1.0
	buffer_store_dword v127, v126, s[0:3], 0 offen
	v_xor_b32_e32 v126, 0x80000000, v127
.LBB61_3:
	ds_write_b32 v125, v126
	s_cmpk_eq_i32 s8, 0x79
	v_or_b32_e32 v126, 0x100, v125
	v_mov_b32_e32 v127, v125
	s_mov_b64 s[4:5], -1
	s_cbranch_scc1 .LBB61_607
; %bb.4:
	buffer_load_dword v128, off, s[0:3], 0 offset:240
	s_movk_i32 s30, 0x44
	s_movk_i32 s31, 0x48
	;; [unrolled: 1-line block ×42, first 2 shown]
	v_cmp_eq_u32_e64 s[4:5], 61, v0
	s_waitcnt vmcnt(0)
	ds_write_b32 v126, v128
	s_waitcnt lgkmcnt(0)
	; wave barrier
	s_and_saveexec_b64 s[6:7], s[4:5]
	s_cbranch_execz .LBB61_10
; %bb.5:
	s_and_b64 vcc, exec, s[10:11]
	s_cbranch_vccz .LBB61_7
; %bb.6:
	buffer_load_dword v128, v127, s[0:3], 0 offen
	ds_read_b32 v129, v126
	s_waitcnt vmcnt(0) lgkmcnt(0)
	v_mul_f32_e32 v128, v128, v129
	s_cbranch_execz .LBB61_8
	s_branch .LBB61_9
.LBB61_7:
                                        ; implicit-def: $vgpr128
.LBB61_8:
	ds_read_b32 v128, v126
.LBB61_9:
	v_mov_b32_e32 v129, 0
	ds_read_b32 v129, v129 offset:240
	s_waitcnt lgkmcnt(0)
	v_mul_f32_e32 v128, v128, v129
	buffer_store_dword v128, off, s[0:3], 0 offset:240
.LBB61_10:
	s_or_b64 exec, exec, s[6:7]
	buffer_load_dword v128, off, s[0:3], 0 offset:236
	s_or_b32 s14, 0, 4
	s_or_b32 s15, 0, 8
	;; [unrolled: 1-line block ×3, first 2 shown]
	s_mov_b32 s17, 16
	s_mov_b32 s18, 20
	s_mov_b32 s19, 24
	s_mov_b32 s20, 28
	s_mov_b32 s21, 32
	s_mov_b32 s22, 36
	s_mov_b32 s23, 40
	s_mov_b32 s24, 44
	s_mov_b32 s25, 48
	s_mov_b32 s26, 52
	s_mov_b32 s27, 56
	s_mov_b32 s28, 60
	s_mov_b32 s29, 64
	s_mov_b32 s47, s12
	s_mov_b32 s48, s13
	v_cmp_lt_u32_e64 s[6:7], 59, v0
	s_waitcnt vmcnt(0)
	ds_write_b32 v126, v128
	s_waitcnt lgkmcnt(0)
	; wave barrier
	s_and_saveexec_b64 s[8:9], s[6:7]
	s_cbranch_execz .LBB61_16
; %bb.11:
	s_andn2_b64 vcc, exec, s[10:11]
	s_cbranch_vccnz .LBB61_13
; %bb.12:
	buffer_load_dword v128, v127, s[0:3], 0 offen
	ds_read_b32 v129, v126
	s_waitcnt vmcnt(0) lgkmcnt(0)
	v_mul_f32_e32 v128, v128, v129
	s_cbranch_execz .LBB61_14
	s_branch .LBB61_15
.LBB61_13:
                                        ; implicit-def: $vgpr128
.LBB61_14:
	ds_read_b32 v128, v126
.LBB61_15:
	buffer_load_dword v131, off, s[0:3], 0 offset:240
	v_mov_b32_e32 v129, 0
	ds_read2_b32 v[129:130], v129 offset0:59 offset1:124
	s_waitcnt vmcnt(0) lgkmcnt(0)
	v_fma_f32 v130, v131, v130, v128
	v_cndmask_b32_e64 v128, v128, v130, s[4:5]
	v_mul_f32_e32 v128, v128, v129
	buffer_store_dword v128, off, s[0:3], 0 offset:236
.LBB61_16:
	s_or_b64 exec, exec, s[8:9]
	buffer_load_dword v128, off, s[0:3], 0 offset:232
	v_cmp_lt_u32_e64 s[4:5], 58, v0
	s_waitcnt vmcnt(0)
	ds_write_b32 v126, v128
	s_waitcnt lgkmcnt(0)
	; wave barrier
	s_and_saveexec_b64 s[8:9], s[4:5]
	s_cbranch_execz .LBB61_26
; %bb.17:
	s_andn2_b64 vcc, exec, s[10:11]
	s_cbranch_vccnz .LBB61_19
; %bb.18:
	buffer_load_dword v128, v127, s[0:3], 0 offen
	ds_read_b32 v129, v126
	s_waitcnt vmcnt(0) lgkmcnt(0)
	v_mul_f32_e32 v128, v128, v129
	s_cbranch_execz .LBB61_20
	s_branch .LBB61_21
.LBB61_19:
                                        ; implicit-def: $vgpr128
.LBB61_20:
	ds_read_b32 v128, v126
.LBB61_21:
	s_and_saveexec_b64 s[12:13], s[6:7]
	s_cbranch_execz .LBB61_25
; %bb.22:
	v_subrev_u32_e32 v129, 59, v0
	s_movk_i32 s74, 0x1ec
	s_mov_b64 s[6:7], 0
.LBB61_23:                              ; =>This Inner Loop Header: Depth=1
	v_mov_b32_e32 v130, s73
	buffer_load_dword v130, v130, s[0:3], 0 offen
	v_mov_b32_e32 v131, s74
	ds_read_b32 v131, v131
	v_add_u32_e32 v129, -1, v129
	s_add_i32 s74, s74, 4
	s_add_i32 s73, s73, 4
	v_cmp_eq_u32_e32 vcc, 0, v129
	s_or_b64 s[6:7], vcc, s[6:7]
	s_waitcnt vmcnt(0) lgkmcnt(0)
	v_fmac_f32_e32 v128, v130, v131
	s_andn2_b64 exec, exec, s[6:7]
	s_cbranch_execnz .LBB61_23
; %bb.24:
	s_or_b64 exec, exec, s[6:7]
.LBB61_25:
	s_or_b64 exec, exec, s[12:13]
	v_mov_b32_e32 v129, 0
	ds_read_b32 v129, v129 offset:232
	s_waitcnt lgkmcnt(0)
	v_mul_f32_e32 v128, v128, v129
	buffer_store_dword v128, off, s[0:3], 0 offset:232
.LBB61_26:
	s_or_b64 exec, exec, s[8:9]
	buffer_load_dword v128, off, s[0:3], 0 offset:228
	v_cmp_lt_u32_e64 s[6:7], 57, v0
	s_waitcnt vmcnt(0)
	ds_write_b32 v126, v128
	s_waitcnt lgkmcnt(0)
	; wave barrier
	s_and_saveexec_b64 s[8:9], s[6:7]
	s_cbranch_execz .LBB61_36
; %bb.27:
	s_andn2_b64 vcc, exec, s[10:11]
	s_cbranch_vccnz .LBB61_29
; %bb.28:
	buffer_load_dword v128, v127, s[0:3], 0 offen
	ds_read_b32 v129, v126
	s_waitcnt vmcnt(0) lgkmcnt(0)
	v_mul_f32_e32 v128, v128, v129
	s_cbranch_execz .LBB61_30
	s_branch .LBB61_31
.LBB61_29:
                                        ; implicit-def: $vgpr128
.LBB61_30:
	ds_read_b32 v128, v126
.LBB61_31:
	s_and_saveexec_b64 s[12:13], s[4:5]
	s_cbranch_execz .LBB61_35
; %bb.32:
	v_subrev_u32_e32 v129, 58, v0
	s_movk_i32 s73, 0x1e8
	s_mov_b64 s[4:5], 0
.LBB61_33:                              ; =>This Inner Loop Header: Depth=1
	v_mov_b32_e32 v130, s72
	buffer_load_dword v130, v130, s[0:3], 0 offen
	v_mov_b32_e32 v131, s73
	ds_read_b32 v131, v131
	v_add_u32_e32 v129, -1, v129
	s_add_i32 s73, s73, 4
	s_add_i32 s72, s72, 4
	v_cmp_eq_u32_e32 vcc, 0, v129
	s_or_b64 s[4:5], vcc, s[4:5]
	s_waitcnt vmcnt(0) lgkmcnt(0)
	v_fmac_f32_e32 v128, v130, v131
	s_andn2_b64 exec, exec, s[4:5]
	s_cbranch_execnz .LBB61_33
; %bb.34:
	s_or_b64 exec, exec, s[4:5]
.LBB61_35:
	s_or_b64 exec, exec, s[12:13]
	v_mov_b32_e32 v129, 0
	ds_read_b32 v129, v129 offset:228
	s_waitcnt lgkmcnt(0)
	v_mul_f32_e32 v128, v128, v129
	buffer_store_dword v128, off, s[0:3], 0 offset:228
.LBB61_36:
	;; [unrolled: 54-line block ×8, first 2 shown]
	s_or_b64 exec, exec, s[8:9]
	buffer_load_dword v128, off, s[0:3], 0 offset:200
	v_cmp_lt_u32_e64 s[4:5], 50, v0
	s_waitcnt vmcnt(0)
	ds_write_b32 v126, v128
	s_waitcnt lgkmcnt(0)
	; wave barrier
	s_and_saveexec_b64 s[8:9], s[4:5]
	s_cbranch_execz .LBB61_106
; %bb.97:
	s_andn2_b64 vcc, exec, s[10:11]
	s_cbranch_vccnz .LBB61_99
; %bb.98:
	buffer_load_dword v128, v127, s[0:3], 0 offen
	ds_read_b32 v129, v126
	s_waitcnt vmcnt(0) lgkmcnt(0)
	v_mul_f32_e32 v128, v128, v129
	s_cbranch_execz .LBB61_100
	s_branch .LBB61_101
.LBB61_99:
                                        ; implicit-def: $vgpr128
.LBB61_100:
	ds_read_b32 v128, v126
.LBB61_101:
	s_and_saveexec_b64 s[12:13], s[6:7]
	s_cbranch_execz .LBB61_105
; %bb.102:
	v_subrev_u32_e32 v129, 51, v0
	s_movk_i32 s66, 0x1cc
	s_mov_b64 s[6:7], 0
.LBB61_103:                             ; =>This Inner Loop Header: Depth=1
	v_mov_b32_e32 v130, s65
	buffer_load_dword v130, v130, s[0:3], 0 offen
	v_mov_b32_e32 v131, s66
	ds_read_b32 v131, v131
	v_add_u32_e32 v129, -1, v129
	s_add_i32 s66, s66, 4
	s_add_i32 s65, s65, 4
	v_cmp_eq_u32_e32 vcc, 0, v129
	s_or_b64 s[6:7], vcc, s[6:7]
	s_waitcnt vmcnt(0) lgkmcnt(0)
	v_fmac_f32_e32 v128, v130, v131
	s_andn2_b64 exec, exec, s[6:7]
	s_cbranch_execnz .LBB61_103
; %bb.104:
	s_or_b64 exec, exec, s[6:7]
.LBB61_105:
	s_or_b64 exec, exec, s[12:13]
	v_mov_b32_e32 v129, 0
	ds_read_b32 v129, v129 offset:200
	s_waitcnt lgkmcnt(0)
	v_mul_f32_e32 v128, v128, v129
	buffer_store_dword v128, off, s[0:3], 0 offset:200
.LBB61_106:
	s_or_b64 exec, exec, s[8:9]
	buffer_load_dword v128, off, s[0:3], 0 offset:196
	v_cmp_lt_u32_e64 s[6:7], 49, v0
	s_waitcnt vmcnt(0)
	ds_write_b32 v126, v128
	s_waitcnt lgkmcnt(0)
	; wave barrier
	s_and_saveexec_b64 s[8:9], s[6:7]
	s_cbranch_execz .LBB61_116
; %bb.107:
	s_andn2_b64 vcc, exec, s[10:11]
	s_cbranch_vccnz .LBB61_109
; %bb.108:
	buffer_load_dword v128, v127, s[0:3], 0 offen
	ds_read_b32 v129, v126
	s_waitcnt vmcnt(0) lgkmcnt(0)
	v_mul_f32_e32 v128, v128, v129
	s_cbranch_execz .LBB61_110
	s_branch .LBB61_111
.LBB61_109:
                                        ; implicit-def: $vgpr128
.LBB61_110:
	ds_read_b32 v128, v126
.LBB61_111:
	s_and_saveexec_b64 s[12:13], s[4:5]
	s_cbranch_execz .LBB61_115
; %bb.112:
	v_subrev_u32_e32 v129, 50, v0
	s_movk_i32 s65, 0x1c8
	s_mov_b64 s[4:5], 0
.LBB61_113:                             ; =>This Inner Loop Header: Depth=1
	v_mov_b32_e32 v130, s64
	buffer_load_dword v130, v130, s[0:3], 0 offen
	v_mov_b32_e32 v131, s65
	ds_read_b32 v131, v131
	v_add_u32_e32 v129, -1, v129
	s_add_i32 s65, s65, 4
	s_add_i32 s64, s64, 4
	v_cmp_eq_u32_e32 vcc, 0, v129
	s_or_b64 s[4:5], vcc, s[4:5]
	s_waitcnt vmcnt(0) lgkmcnt(0)
	v_fmac_f32_e32 v128, v130, v131
	s_andn2_b64 exec, exec, s[4:5]
	s_cbranch_execnz .LBB61_113
; %bb.114:
	s_or_b64 exec, exec, s[4:5]
.LBB61_115:
	s_or_b64 exec, exec, s[12:13]
	v_mov_b32_e32 v129, 0
	ds_read_b32 v129, v129 offset:196
	s_waitcnt lgkmcnt(0)
	v_mul_f32_e32 v128, v128, v129
	buffer_store_dword v128, off, s[0:3], 0 offset:196
.LBB61_116:
	;; [unrolled: 54-line block ×35, first 2 shown]
	s_or_b64 exec, exec, s[8:9]
	buffer_load_dword v128, off, s[0:3], 0 offset:60
	v_cmp_lt_u32_e64 s[6:7], 15, v0
	s_waitcnt vmcnt(0)
	ds_write_b32 v126, v128
	s_waitcnt lgkmcnt(0)
	; wave barrier
	s_and_saveexec_b64 s[8:9], s[6:7]
	s_cbranch_execz .LBB61_456
; %bb.447:
	s_andn2_b64 vcc, exec, s[10:11]
	s_cbranch_vccnz .LBB61_449
; %bb.448:
	buffer_load_dword v128, v127, s[0:3], 0 offen
	ds_read_b32 v129, v126
	s_waitcnt vmcnt(0) lgkmcnt(0)
	v_mul_f32_e32 v128, v128, v129
	s_cbranch_execz .LBB61_450
	s_branch .LBB61_451
.LBB61_449:
                                        ; implicit-def: $vgpr128
.LBB61_450:
	ds_read_b32 v128, v126
.LBB61_451:
	s_and_saveexec_b64 s[12:13], s[4:5]
	s_cbranch_execz .LBB61_455
; %bb.452:
	v_add_u32_e32 v129, -16, v0
	s_movk_i32 s30, 0x140
	s_mov_b64 s[4:5], 0
.LBB61_453:                             ; =>This Inner Loop Header: Depth=1
	v_mov_b32_e32 v130, s29
	buffer_load_dword v130, v130, s[0:3], 0 offen
	v_mov_b32_e32 v131, s30
	ds_read_b32 v131, v131
	v_add_u32_e32 v129, -1, v129
	s_add_i32 s30, s30, 4
	s_add_i32 s29, s29, 4
	v_cmp_eq_u32_e32 vcc, 0, v129
	s_or_b64 s[4:5], vcc, s[4:5]
	s_waitcnt vmcnt(0) lgkmcnt(0)
	v_fmac_f32_e32 v128, v130, v131
	s_andn2_b64 exec, exec, s[4:5]
	s_cbranch_execnz .LBB61_453
; %bb.454:
	s_or_b64 exec, exec, s[4:5]
.LBB61_455:
	s_or_b64 exec, exec, s[12:13]
	v_mov_b32_e32 v129, 0
	ds_read_b32 v129, v129 offset:60
	s_waitcnt lgkmcnt(0)
	v_mul_f32_e32 v128, v128, v129
	buffer_store_dword v128, off, s[0:3], 0 offset:60
.LBB61_456:
	s_or_b64 exec, exec, s[8:9]
	buffer_load_dword v128, off, s[0:3], 0 offset:56
	v_cmp_lt_u32_e64 s[4:5], 14, v0
	s_waitcnt vmcnt(0)
	ds_write_b32 v126, v128
	s_waitcnt lgkmcnt(0)
	; wave barrier
	s_and_saveexec_b64 s[8:9], s[4:5]
	s_cbranch_execz .LBB61_466
; %bb.457:
	s_andn2_b64 vcc, exec, s[10:11]
	s_cbranch_vccnz .LBB61_459
; %bb.458:
	buffer_load_dword v128, v127, s[0:3], 0 offen
	ds_read_b32 v129, v126
	s_waitcnt vmcnt(0) lgkmcnt(0)
	v_mul_f32_e32 v128, v128, v129
	s_cbranch_execz .LBB61_460
	s_branch .LBB61_461
.LBB61_459:
                                        ; implicit-def: $vgpr128
.LBB61_460:
	ds_read_b32 v128, v126
.LBB61_461:
	s_and_saveexec_b64 s[12:13], s[6:7]
	s_cbranch_execz .LBB61_465
; %bb.462:
	v_add_u32_e32 v129, -15, v0
	s_movk_i32 s29, 0x13c
	s_mov_b64 s[6:7], 0
.LBB61_463:                             ; =>This Inner Loop Header: Depth=1
	v_mov_b32_e32 v130, s28
	buffer_load_dword v130, v130, s[0:3], 0 offen
	v_mov_b32_e32 v131, s29
	ds_read_b32 v131, v131
	v_add_u32_e32 v129, -1, v129
	s_add_i32 s29, s29, 4
	s_add_i32 s28, s28, 4
	v_cmp_eq_u32_e32 vcc, 0, v129
	s_or_b64 s[6:7], vcc, s[6:7]
	s_waitcnt vmcnt(0) lgkmcnt(0)
	v_fmac_f32_e32 v128, v130, v131
	s_andn2_b64 exec, exec, s[6:7]
	s_cbranch_execnz .LBB61_463
; %bb.464:
	s_or_b64 exec, exec, s[6:7]
.LBB61_465:
	s_or_b64 exec, exec, s[12:13]
	v_mov_b32_e32 v129, 0
	ds_read_b32 v129, v129 offset:56
	s_waitcnt lgkmcnt(0)
	v_mul_f32_e32 v128, v128, v129
	buffer_store_dword v128, off, s[0:3], 0 offset:56
.LBB61_466:
	;; [unrolled: 54-line block ×15, first 2 shown]
	s_or_b64 exec, exec, s[8:9]
	buffer_load_dword v128, off, s[0:3], 0
	v_cmp_ne_u32_e32 vcc, 0, v0
	s_waitcnt vmcnt(0)
	ds_write_b32 v126, v128
	s_waitcnt lgkmcnt(0)
	; wave barrier
	s_and_saveexec_b64 s[4:5], vcc
	s_cbranch_execz .LBB61_606
; %bb.597:
	s_andn2_b64 vcc, exec, s[10:11]
	s_cbranch_vccnz .LBB61_599
; %bb.598:
	buffer_load_dword v128, v127, s[0:3], 0 offen
	ds_read_b32 v129, v126
	s_waitcnt vmcnt(0) lgkmcnt(0)
	v_mul_f32_e32 v128, v128, v129
	s_cbranch_execz .LBB61_600
	s_branch .LBB61_601
.LBB61_599:
                                        ; implicit-def: $vgpr128
.LBB61_600:
	ds_read_b32 v128, v126
.LBB61_601:
	s_and_saveexec_b64 s[8:9], s[6:7]
	s_cbranch_execz .LBB61_605
; %bb.602:
	v_add_u32_e32 v129, -1, v0
	s_movk_i32 s12, 0x104
	s_mov_b64 s[6:7], 0
.LBB61_603:                             ; =>This Inner Loop Header: Depth=1
	v_mov_b32_e32 v130, s14
	buffer_load_dword v130, v130, s[0:3], 0 offen
	v_mov_b32_e32 v131, s12
	ds_read_b32 v131, v131
	v_add_u32_e32 v129, -1, v129
	s_add_i32 s12, s12, 4
	s_add_i32 s14, s14, 4
	v_cmp_eq_u32_e32 vcc, 0, v129
	s_or_b64 s[6:7], vcc, s[6:7]
	s_waitcnt vmcnt(0) lgkmcnt(0)
	v_fmac_f32_e32 v128, v130, v131
	s_andn2_b64 exec, exec, s[6:7]
	s_cbranch_execnz .LBB61_603
; %bb.604:
	s_or_b64 exec, exec, s[6:7]
.LBB61_605:
	s_or_b64 exec, exec, s[8:9]
	v_mov_b32_e32 v129, 0
	ds_read_b32 v129, v129
	s_waitcnt lgkmcnt(0)
	v_mul_f32_e32 v128, v128, v129
	buffer_store_dword v128, off, s[0:3], 0
.LBB61_606:
	s_or_b64 exec, exec, s[4:5]
	s_mov_b64 s[4:5], 0
.LBB61_607:
	s_and_b64 vcc, exec, s[4:5]
	s_cbranch_vccz .LBB61_1209
; %bb.608:
	buffer_load_dword v128, off, s[0:3], 0 offset:4
	v_cmp_eq_u32_e64 s[6:7], 0, v0
	s_waitcnt vmcnt(0)
	ds_write_b32 v126, v128
	s_waitcnt lgkmcnt(0)
	; wave barrier
	s_and_saveexec_b64 s[4:5], s[6:7]
	s_cbranch_execz .LBB61_614
; %bb.609:
	s_and_b64 vcc, exec, s[10:11]
	s_cbranch_vccz .LBB61_611
; %bb.610:
	buffer_load_dword v128, v127, s[0:3], 0 offen
	ds_read_b32 v129, v126
	s_waitcnt vmcnt(0) lgkmcnt(0)
	v_mul_f32_e32 v128, v128, v129
	s_cbranch_execz .LBB61_612
	s_branch .LBB61_613
.LBB61_611:
                                        ; implicit-def: $vgpr128
.LBB61_612:
	ds_read_b32 v128, v126
.LBB61_613:
	v_mov_b32_e32 v129, 0
	ds_read_b32 v129, v129 offset:4
	s_waitcnt lgkmcnt(0)
	v_mul_f32_e32 v128, v128, v129
	buffer_store_dword v128, off, s[0:3], 0 offset:4
.LBB61_614:
	s_or_b64 exec, exec, s[4:5]
	buffer_load_dword v128, off, s[0:3], 0 offset:8
	v_cndmask_b32_e64 v129, 0, 1, s[10:11]
	v_cmp_gt_u32_e32 vcc, 2, v0
	v_cmp_ne_u32_e64 s[4:5], 1, v129
	s_waitcnt vmcnt(0)
	ds_write_b32 v126, v128
	s_waitcnt lgkmcnt(0)
	; wave barrier
	s_and_saveexec_b64 s[8:9], vcc
	s_cbranch_execz .LBB61_620
; %bb.615:
	s_and_b64 vcc, exec, s[4:5]
	s_cbranch_vccnz .LBB61_617
; %bb.616:
	buffer_load_dword v128, v127, s[0:3], 0 offen
	ds_read_b32 v129, v126
	s_waitcnt vmcnt(0) lgkmcnt(0)
	v_mul_f32_e32 v128, v128, v129
	s_cbranch_execz .LBB61_618
	s_branch .LBB61_619
.LBB61_617:
                                        ; implicit-def: $vgpr128
.LBB61_618:
	ds_read_b32 v128, v126
.LBB61_619:
	buffer_load_dword v131, off, s[0:3], 0 offset:4
	v_mov_b32_e32 v129, 0
	ds_read2_b32 v[129:130], v129 offset0:2 offset1:65
	s_waitcnt vmcnt(0) lgkmcnt(0)
	v_fma_f32 v130, v131, v130, v128
	v_cndmask_b32_e64 v128, v128, v130, s[6:7]
	v_mul_f32_e32 v128, v128, v129
	buffer_store_dword v128, off, s[0:3], 0 offset:8
.LBB61_620:
	s_or_b64 exec, exec, s[8:9]
	buffer_load_dword v128, off, s[0:3], 0 offset:12
	v_cmp_gt_u32_e32 vcc, 3, v0
	s_waitcnt vmcnt(0)
	ds_write_b32 v126, v128
	s_waitcnt lgkmcnt(0)
	; wave barrier
	s_and_saveexec_b64 s[8:9], vcc
	s_cbranch_execz .LBB61_628
; %bb.621:
	s_and_b64 vcc, exec, s[4:5]
	s_cbranch_vccnz .LBB61_623
; %bb.622:
	buffer_load_dword v128, v127, s[0:3], 0 offen
	ds_read_b32 v129, v126
	s_waitcnt vmcnt(0) lgkmcnt(0)
	v_mul_f32_e32 v128, v128, v129
	s_cbranch_execz .LBB61_624
	s_branch .LBB61_625
.LBB61_623:
                                        ; implicit-def: $vgpr128
.LBB61_624:
	ds_read_b32 v128, v126
.LBB61_625:
	v_cmp_ne_u32_e32 vcc, 2, v0
	s_and_saveexec_b64 s[10:11], vcc
	s_cbranch_execz .LBB61_627
; %bb.626:
	buffer_load_dword v129, v127, s[0:3], 0 offen offset:4
	buffer_load_dword v130, off, s[0:3], 0 offset:8
	v_mov_b32_e32 v131, 0
	ds_read_b32 v132, v126 offset:4
	ds_read_b32 v131, v131 offset:264
	s_waitcnt vmcnt(1) lgkmcnt(1)
	v_fmac_f32_e32 v128, v129, v132
	s_waitcnt vmcnt(0) lgkmcnt(0)
	v_fma_f32 v129, v130, v131, v128
	v_cndmask_b32_e64 v128, v128, v129, s[6:7]
.LBB61_627:
	s_or_b64 exec, exec, s[10:11]
	v_mov_b32_e32 v129, 0
	ds_read_b32 v129, v129 offset:12
	s_waitcnt lgkmcnt(0)
	v_mul_f32_e32 v128, v128, v129
	buffer_store_dword v128, off, s[0:3], 0 offset:12
.LBB61_628:
	s_or_b64 exec, exec, s[8:9]
	buffer_load_dword v128, off, s[0:3], 0 offset:16
	v_cmp_gt_u32_e32 vcc, 4, v0
	s_waitcnt vmcnt(0)
	ds_write_b32 v126, v128
	s_waitcnt lgkmcnt(0)
	; wave barrier
	s_and_saveexec_b64 s[6:7], vcc
	s_cbranch_execz .LBB61_638
; %bb.629:
	s_and_b64 vcc, exec, s[4:5]
	s_cbranch_vccnz .LBB61_631
; %bb.630:
	buffer_load_dword v128, v127, s[0:3], 0 offen
	ds_read_b32 v129, v126
	s_waitcnt vmcnt(0) lgkmcnt(0)
	v_mul_f32_e32 v128, v128, v129
	s_cbranch_execz .LBB61_632
	s_branch .LBB61_633
.LBB61_631:
                                        ; implicit-def: $vgpr128
.LBB61_632:
	ds_read_b32 v128, v126
.LBB61_633:
	v_cmp_ne_u32_e32 vcc, 3, v0
	s_and_saveexec_b64 s[8:9], vcc
	s_cbranch_execz .LBB61_637
; %bb.634:
	s_mov_b32 s10, 0
	v_add_u32_e32 v129, 0x104, v125
	v_add3_u32 v130, v125, s10, 4
	s_mov_b64 s[10:11], 0
	v_mov_b32_e32 v131, v0
.LBB61_635:                             ; =>This Inner Loop Header: Depth=1
	buffer_load_dword v132, v130, s[0:3], 0 offen
	ds_read_b32 v133, v129
	v_add_u32_e32 v131, 1, v131
	v_cmp_lt_u32_e32 vcc, 2, v131
	v_add_u32_e32 v129, 4, v129
	v_add_u32_e32 v130, 4, v130
	s_or_b64 s[10:11], vcc, s[10:11]
	s_waitcnt vmcnt(0) lgkmcnt(0)
	v_fmac_f32_e32 v128, v132, v133
	s_andn2_b64 exec, exec, s[10:11]
	s_cbranch_execnz .LBB61_635
; %bb.636:
	s_or_b64 exec, exec, s[10:11]
.LBB61_637:
	s_or_b64 exec, exec, s[8:9]
	v_mov_b32_e32 v129, 0
	ds_read_b32 v129, v129 offset:16
	s_waitcnt lgkmcnt(0)
	v_mul_f32_e32 v128, v128, v129
	buffer_store_dword v128, off, s[0:3], 0 offset:16
.LBB61_638:
	s_or_b64 exec, exec, s[6:7]
	buffer_load_dword v128, off, s[0:3], 0 offset:20
	v_cmp_gt_u32_e32 vcc, 5, v0
	s_waitcnt vmcnt(0)
	ds_write_b32 v126, v128
	s_waitcnt lgkmcnt(0)
	; wave barrier
	s_and_saveexec_b64 s[6:7], vcc
	s_cbranch_execz .LBB61_648
; %bb.639:
	s_and_b64 vcc, exec, s[4:5]
	s_cbranch_vccnz .LBB61_641
; %bb.640:
	buffer_load_dword v128, v127, s[0:3], 0 offen
	ds_read_b32 v129, v126
	s_waitcnt vmcnt(0) lgkmcnt(0)
	v_mul_f32_e32 v128, v128, v129
	s_cbranch_execz .LBB61_642
	s_branch .LBB61_643
.LBB61_641:
                                        ; implicit-def: $vgpr128
.LBB61_642:
	ds_read_b32 v128, v126
.LBB61_643:
	v_cmp_ne_u32_e32 vcc, 4, v0
	s_and_saveexec_b64 s[8:9], vcc
	s_cbranch_execz .LBB61_647
; %bb.644:
	s_mov_b32 s10, 0
	v_add_u32_e32 v129, 0x104, v125
	v_add3_u32 v130, v125, s10, 4
	s_mov_b64 s[10:11], 0
	v_mov_b32_e32 v131, v0
.LBB61_645:                             ; =>This Inner Loop Header: Depth=1
	buffer_load_dword v132, v130, s[0:3], 0 offen
	ds_read_b32 v133, v129
	v_add_u32_e32 v131, 1, v131
	v_cmp_lt_u32_e32 vcc, 3, v131
	v_add_u32_e32 v129, 4, v129
	v_add_u32_e32 v130, 4, v130
	s_or_b64 s[10:11], vcc, s[10:11]
	s_waitcnt vmcnt(0) lgkmcnt(0)
	v_fmac_f32_e32 v128, v132, v133
	s_andn2_b64 exec, exec, s[10:11]
	s_cbranch_execnz .LBB61_645
; %bb.646:
	s_or_b64 exec, exec, s[10:11]
.LBB61_647:
	s_or_b64 exec, exec, s[8:9]
	v_mov_b32_e32 v129, 0
	ds_read_b32 v129, v129 offset:20
	s_waitcnt lgkmcnt(0)
	v_mul_f32_e32 v128, v128, v129
	buffer_store_dword v128, off, s[0:3], 0 offset:20
.LBB61_648:
	;; [unrolled: 55-line block ×37, first 2 shown]
	s_or_b64 exec, exec, s[6:7]
	buffer_load_dword v128, off, s[0:3], 0 offset:164
	v_cmp_gt_u32_e32 vcc, 41, v0
	s_waitcnt vmcnt(0)
	ds_write_b32 v126, v128
	s_waitcnt lgkmcnt(0)
	; wave barrier
	s_and_saveexec_b64 s[6:7], vcc
	s_cbranch_execz .LBB61_1008
; %bb.999:
	s_and_b64 vcc, exec, s[4:5]
	s_cbranch_vccnz .LBB61_1001
; %bb.1000:
	buffer_load_dword v128, v127, s[0:3], 0 offen
	ds_read_b32 v129, v126
	s_waitcnt vmcnt(0) lgkmcnt(0)
	v_mul_f32_e32 v128, v128, v129
	s_cbranch_execz .LBB61_1002
	s_branch .LBB61_1003
.LBB61_1001:
                                        ; implicit-def: $vgpr128
.LBB61_1002:
	ds_read_b32 v128, v126
.LBB61_1003:
	v_cmp_ne_u32_e32 vcc, 40, v0
	s_and_saveexec_b64 s[8:9], vcc
	s_cbranch_execz .LBB61_1007
; %bb.1004:
	s_mov_b32 s10, 0
	v_add_u32_e32 v129, 0x104, v125
	v_add3_u32 v130, v125, s10, 4
	s_mov_b64 s[10:11], 0
	v_mov_b32_e32 v131, v0
.LBB61_1005:                            ; =>This Inner Loop Header: Depth=1
	buffer_load_dword v132, v130, s[0:3], 0 offen
	ds_read_b32 v133, v129
	v_add_u32_e32 v131, 1, v131
	v_cmp_lt_u32_e32 vcc, 39, v131
	v_add_u32_e32 v129, 4, v129
	v_add_u32_e32 v130, 4, v130
	s_or_b64 s[10:11], vcc, s[10:11]
	s_waitcnt vmcnt(0) lgkmcnt(0)
	v_fmac_f32_e32 v128, v132, v133
	s_andn2_b64 exec, exec, s[10:11]
	s_cbranch_execnz .LBB61_1005
; %bb.1006:
	s_or_b64 exec, exec, s[10:11]
.LBB61_1007:
	s_or_b64 exec, exec, s[8:9]
	v_mov_b32_e32 v129, 0
	ds_read_b32 v129, v129 offset:164
	s_waitcnt lgkmcnt(0)
	v_mul_f32_e32 v128, v128, v129
	buffer_store_dword v128, off, s[0:3], 0 offset:164
.LBB61_1008:
	s_or_b64 exec, exec, s[6:7]
	buffer_load_dword v128, off, s[0:3], 0 offset:168
	v_cmp_gt_u32_e32 vcc, 42, v0
	s_waitcnt vmcnt(0)
	ds_write_b32 v126, v128
	s_waitcnt lgkmcnt(0)
	; wave barrier
	s_and_saveexec_b64 s[6:7], vcc
	s_cbranch_execz .LBB61_1018
; %bb.1009:
	s_and_b64 vcc, exec, s[4:5]
	s_cbranch_vccnz .LBB61_1011
; %bb.1010:
	buffer_load_dword v128, v127, s[0:3], 0 offen
	ds_read_b32 v129, v126
	s_waitcnt vmcnt(0) lgkmcnt(0)
	v_mul_f32_e32 v128, v128, v129
	s_cbranch_execz .LBB61_1012
	s_branch .LBB61_1013
.LBB61_1011:
                                        ; implicit-def: $vgpr128
.LBB61_1012:
	ds_read_b32 v128, v126
.LBB61_1013:
	v_cmp_ne_u32_e32 vcc, 41, v0
	s_and_saveexec_b64 s[8:9], vcc
	s_cbranch_execz .LBB61_1017
; %bb.1014:
	s_mov_b32 s10, 0
	v_add_u32_e32 v129, 0x104, v125
	v_add3_u32 v130, v125, s10, 4
	s_mov_b64 s[10:11], 0
	v_mov_b32_e32 v131, v0
.LBB61_1015:                            ; =>This Inner Loop Header: Depth=1
	buffer_load_dword v132, v130, s[0:3], 0 offen
	ds_read_b32 v133, v129
	v_add_u32_e32 v131, 1, v131
	v_cmp_lt_u32_e32 vcc, 40, v131
	v_add_u32_e32 v129, 4, v129
	v_add_u32_e32 v130, 4, v130
	s_or_b64 s[10:11], vcc, s[10:11]
	s_waitcnt vmcnt(0) lgkmcnt(0)
	v_fmac_f32_e32 v128, v132, v133
	s_andn2_b64 exec, exec, s[10:11]
	s_cbranch_execnz .LBB61_1015
; %bb.1016:
	s_or_b64 exec, exec, s[10:11]
.LBB61_1017:
	s_or_b64 exec, exec, s[8:9]
	v_mov_b32_e32 v129, 0
	ds_read_b32 v129, v129 offset:168
	s_waitcnt lgkmcnt(0)
	v_mul_f32_e32 v128, v128, v129
	buffer_store_dword v128, off, s[0:3], 0 offset:168
.LBB61_1018:
	;; [unrolled: 55-line block ×19, first 2 shown]
	s_or_b64 exec, exec, s[6:7]
	buffer_load_dword v128, off, s[0:3], 0 offset:240
	v_cmp_gt_u32_e64 s[6:7], 60, v0
	s_waitcnt vmcnt(0)
	ds_write_b32 v126, v128
	s_waitcnt lgkmcnt(0)
	; wave barrier
	s_and_saveexec_b64 s[8:9], s[6:7]
	s_cbranch_execz .LBB61_1198
; %bb.1189:
	s_and_b64 vcc, exec, s[4:5]
	s_cbranch_vccnz .LBB61_1191
; %bb.1190:
	buffer_load_dword v128, v127, s[0:3], 0 offen
	ds_read_b32 v129, v126
	s_waitcnt vmcnt(0) lgkmcnt(0)
	v_mul_f32_e32 v128, v128, v129
	s_cbranch_execz .LBB61_1192
	s_branch .LBB61_1193
.LBB61_1191:
                                        ; implicit-def: $vgpr128
.LBB61_1192:
	ds_read_b32 v128, v126
.LBB61_1193:
	v_cmp_ne_u32_e32 vcc, 59, v0
	s_and_saveexec_b64 s[10:11], vcc
	s_cbranch_execz .LBB61_1197
; %bb.1194:
	s_mov_b32 s12, 0
	v_add_u32_e32 v129, 0x104, v125
	v_add3_u32 v130, v125, s12, 4
	s_mov_b64 s[12:13], 0
	v_mov_b32_e32 v131, v0
.LBB61_1195:                            ; =>This Inner Loop Header: Depth=1
	buffer_load_dword v132, v130, s[0:3], 0 offen
	ds_read_b32 v133, v129
	v_add_u32_e32 v131, 1, v131
	v_cmp_lt_u32_e32 vcc, 58, v131
	v_add_u32_e32 v129, 4, v129
	v_add_u32_e32 v130, 4, v130
	s_or_b64 s[12:13], vcc, s[12:13]
	s_waitcnt vmcnt(0) lgkmcnt(0)
	v_fmac_f32_e32 v128, v132, v133
	s_andn2_b64 exec, exec, s[12:13]
	s_cbranch_execnz .LBB61_1195
; %bb.1196:
	s_or_b64 exec, exec, s[12:13]
.LBB61_1197:
	s_or_b64 exec, exec, s[10:11]
	v_mov_b32_e32 v129, 0
	ds_read_b32 v129, v129 offset:240
	s_waitcnt lgkmcnt(0)
	v_mul_f32_e32 v128, v128, v129
	buffer_store_dword v128, off, s[0:3], 0 offset:240
.LBB61_1198:
	s_or_b64 exec, exec, s[8:9]
	buffer_load_dword v128, off, s[0:3], 0 offset:244
	v_cmp_ne_u32_e32 vcc, 61, v0
	s_waitcnt vmcnt(0)
	ds_write_b32 v126, v128
	s_waitcnt lgkmcnt(0)
	; wave barrier
	s_and_saveexec_b64 s[8:9], vcc
	s_cbranch_execz .LBB61_1208
; %bb.1199:
	s_and_b64 vcc, exec, s[4:5]
	s_cbranch_vccnz .LBB61_1201
; %bb.1200:
	buffer_load_dword v127, v127, s[0:3], 0 offen
	ds_read_b32 v128, v126
	s_waitcnt vmcnt(0) lgkmcnt(0)
	v_mul_f32_e32 v127, v127, v128
	s_cbranch_execz .LBB61_1202
	s_branch .LBB61_1203
.LBB61_1201:
                                        ; implicit-def: $vgpr127
.LBB61_1202:
	ds_read_b32 v127, v126
.LBB61_1203:
	s_and_saveexec_b64 s[4:5], s[6:7]
	s_cbranch_execz .LBB61_1207
; %bb.1204:
	s_mov_b32 s6, 0
	v_add_u32_e32 v126, 0x104, v125
	v_add3_u32 v125, v125, s6, 4
	s_mov_b64 s[6:7], 0
.LBB61_1205:                            ; =>This Inner Loop Header: Depth=1
	buffer_load_dword v128, v125, s[0:3], 0 offen
	ds_read_b32 v129, v126
	v_add_u32_e32 v0, 1, v0
	v_cmp_lt_u32_e32 vcc, 59, v0
	v_add_u32_e32 v126, 4, v126
	v_add_u32_e32 v125, 4, v125
	s_or_b64 s[6:7], vcc, s[6:7]
	s_waitcnt vmcnt(0) lgkmcnt(0)
	v_fmac_f32_e32 v127, v128, v129
	s_andn2_b64 exec, exec, s[6:7]
	s_cbranch_execnz .LBB61_1205
; %bb.1206:
	s_or_b64 exec, exec, s[6:7]
.LBB61_1207:
	s_or_b64 exec, exec, s[4:5]
	v_mov_b32_e32 v0, 0
	ds_read_b32 v0, v0 offset:244
	s_waitcnt lgkmcnt(0)
	v_mul_f32_e32 v0, v127, v0
	buffer_store_dword v0, off, s[0:3], 0 offset:244
.LBB61_1208:
	s_or_b64 exec, exec, s[8:9]
.LBB61_1209:
	buffer_load_dword v0, off, s[0:3], 0
	buffer_load_dword v125, off, s[0:3], 0 offset:4
	buffer_load_dword v126, off, s[0:3], 0 offset:8
	;; [unrolled: 1-line block ×61, first 2 shown]
	s_waitcnt vmcnt(61)
	global_store_dword v[1:2], v0, off
	s_waitcnt vmcnt(61)
	global_store_dword v[3:4], v125, off
	;; [unrolled: 2-line block ×62, first 2 shown]
.LBB61_1210:
	s_endpgm
	.section	.rodata,"a",@progbits
	.p2align	6, 0x0
	.amdhsa_kernel _ZN9rocsolver6v33100L18trti2_kernel_smallILi62EfPfEEv13rocblas_fill_17rocblas_diagonal_T1_iil
		.amdhsa_group_segment_fixed_size 504
		.amdhsa_private_segment_fixed_size 256
		.amdhsa_kernarg_size 32
		.amdhsa_user_sgpr_count 6
		.amdhsa_user_sgpr_private_segment_buffer 1
		.amdhsa_user_sgpr_dispatch_ptr 0
		.amdhsa_user_sgpr_queue_ptr 0
		.amdhsa_user_sgpr_kernarg_segment_ptr 1
		.amdhsa_user_sgpr_dispatch_id 0
		.amdhsa_user_sgpr_flat_scratch_init 0
		.amdhsa_user_sgpr_private_segment_size 0
		.amdhsa_uses_dynamic_stack 0
		.amdhsa_system_sgpr_private_segment_wavefront_offset 1
		.amdhsa_system_sgpr_workgroup_id_x 1
		.amdhsa_system_sgpr_workgroup_id_y 0
		.amdhsa_system_sgpr_workgroup_id_z 0
		.amdhsa_system_sgpr_workgroup_info 0
		.amdhsa_system_vgpr_workitem_id 0
		.amdhsa_next_free_vgpr 188
		.amdhsa_next_free_sgpr 75
		.amdhsa_reserve_vcc 1
		.amdhsa_reserve_flat_scratch 0
		.amdhsa_float_round_mode_32 0
		.amdhsa_float_round_mode_16_64 0
		.amdhsa_float_denorm_mode_32 3
		.amdhsa_float_denorm_mode_16_64 3
		.amdhsa_dx10_clamp 1
		.amdhsa_ieee_mode 1
		.amdhsa_fp16_overflow 0
		.amdhsa_exception_fp_ieee_invalid_op 0
		.amdhsa_exception_fp_denorm_src 0
		.amdhsa_exception_fp_ieee_div_zero 0
		.amdhsa_exception_fp_ieee_overflow 0
		.amdhsa_exception_fp_ieee_underflow 0
		.amdhsa_exception_fp_ieee_inexact 0
		.amdhsa_exception_int_div_zero 0
	.end_amdhsa_kernel
	.section	.text._ZN9rocsolver6v33100L18trti2_kernel_smallILi62EfPfEEv13rocblas_fill_17rocblas_diagonal_T1_iil,"axG",@progbits,_ZN9rocsolver6v33100L18trti2_kernel_smallILi62EfPfEEv13rocblas_fill_17rocblas_diagonal_T1_iil,comdat
.Lfunc_end61:
	.size	_ZN9rocsolver6v33100L18trti2_kernel_smallILi62EfPfEEv13rocblas_fill_17rocblas_diagonal_T1_iil, .Lfunc_end61-_ZN9rocsolver6v33100L18trti2_kernel_smallILi62EfPfEEv13rocblas_fill_17rocblas_diagonal_T1_iil
                                        ; -- End function
	.set _ZN9rocsolver6v33100L18trti2_kernel_smallILi62EfPfEEv13rocblas_fill_17rocblas_diagonal_T1_iil.num_vgpr, 188
	.set _ZN9rocsolver6v33100L18trti2_kernel_smallILi62EfPfEEv13rocblas_fill_17rocblas_diagonal_T1_iil.num_agpr, 0
	.set _ZN9rocsolver6v33100L18trti2_kernel_smallILi62EfPfEEv13rocblas_fill_17rocblas_diagonal_T1_iil.numbered_sgpr, 75
	.set _ZN9rocsolver6v33100L18trti2_kernel_smallILi62EfPfEEv13rocblas_fill_17rocblas_diagonal_T1_iil.num_named_barrier, 0
	.set _ZN9rocsolver6v33100L18trti2_kernel_smallILi62EfPfEEv13rocblas_fill_17rocblas_diagonal_T1_iil.private_seg_size, 256
	.set _ZN9rocsolver6v33100L18trti2_kernel_smallILi62EfPfEEv13rocblas_fill_17rocblas_diagonal_T1_iil.uses_vcc, 1
	.set _ZN9rocsolver6v33100L18trti2_kernel_smallILi62EfPfEEv13rocblas_fill_17rocblas_diagonal_T1_iil.uses_flat_scratch, 0
	.set _ZN9rocsolver6v33100L18trti2_kernel_smallILi62EfPfEEv13rocblas_fill_17rocblas_diagonal_T1_iil.has_dyn_sized_stack, 0
	.set _ZN9rocsolver6v33100L18trti2_kernel_smallILi62EfPfEEv13rocblas_fill_17rocblas_diagonal_T1_iil.has_recursion, 0
	.set _ZN9rocsolver6v33100L18trti2_kernel_smallILi62EfPfEEv13rocblas_fill_17rocblas_diagonal_T1_iil.has_indirect_call, 0
	.section	.AMDGPU.csdata,"",@progbits
; Kernel info:
; codeLenInByte = 30248
; TotalNumSgprs: 79
; NumVgprs: 188
; ScratchSize: 256
; MemoryBound: 0
; FloatMode: 240
; IeeeMode: 1
; LDSByteSize: 504 bytes/workgroup (compile time only)
; SGPRBlocks: 9
; VGPRBlocks: 46
; NumSGPRsForWavesPerEU: 79
; NumVGPRsForWavesPerEU: 188
; Occupancy: 1
; WaveLimiterHint : 0
; COMPUTE_PGM_RSRC2:SCRATCH_EN: 1
; COMPUTE_PGM_RSRC2:USER_SGPR: 6
; COMPUTE_PGM_RSRC2:TRAP_HANDLER: 0
; COMPUTE_PGM_RSRC2:TGID_X_EN: 1
; COMPUTE_PGM_RSRC2:TGID_Y_EN: 0
; COMPUTE_PGM_RSRC2:TGID_Z_EN: 0
; COMPUTE_PGM_RSRC2:TIDIG_COMP_CNT: 0
	.section	.text._ZN9rocsolver6v33100L18trti2_kernel_smallILi63EfPfEEv13rocblas_fill_17rocblas_diagonal_T1_iil,"axG",@progbits,_ZN9rocsolver6v33100L18trti2_kernel_smallILi63EfPfEEv13rocblas_fill_17rocblas_diagonal_T1_iil,comdat
	.globl	_ZN9rocsolver6v33100L18trti2_kernel_smallILi63EfPfEEv13rocblas_fill_17rocblas_diagonal_T1_iil ; -- Begin function _ZN9rocsolver6v33100L18trti2_kernel_smallILi63EfPfEEv13rocblas_fill_17rocblas_diagonal_T1_iil
	.p2align	8
	.type	_ZN9rocsolver6v33100L18trti2_kernel_smallILi63EfPfEEv13rocblas_fill_17rocblas_diagonal_T1_iil,@function
_ZN9rocsolver6v33100L18trti2_kernel_smallILi63EfPfEEv13rocblas_fill_17rocblas_diagonal_T1_iil: ; @_ZN9rocsolver6v33100L18trti2_kernel_smallILi63EfPfEEv13rocblas_fill_17rocblas_diagonal_T1_iil
; %bb.0:
	s_add_u32 s0, s0, s7
	s_addc_u32 s1, s1, 0
	v_cmp_gt_u32_e32 vcc, 63, v0
	s_and_saveexec_b64 s[8:9], vcc
	s_cbranch_execz .LBB62_1230
; %bb.1:
	s_load_dwordx8 s[8:15], s[4:5], 0x0
	s_ashr_i32 s7, s6, 31
	v_lshlrev_b32_e32 v127, 2, v0
	s_waitcnt lgkmcnt(0)
	s_ashr_i32 s5, s12, 31
	s_mov_b32 s4, s12
	s_mul_hi_u32 s12, s14, s6
	s_mul_i32 s7, s14, s7
	s_add_i32 s7, s12, s7
	s_mul_i32 s12, s15, s6
	s_add_i32 s7, s7, s12
	s_mul_i32 s6, s14, s6
	s_lshl_b64 s[6:7], s[6:7], 2
	s_add_u32 s6, s10, s6
	s_addc_u32 s7, s11, s7
	s_lshl_b64 s[4:5], s[4:5], 2
	s_add_u32 s4, s6, s4
	s_addc_u32 s5, s7, s5
	s_add_i32 s6, s13, s13
	v_add_u32_e32 v3, s6, v0
	v_ashrrev_i32_e32 v4, 31, v3
	v_lshlrev_b64 v[1:2], 2, v[3:4]
	v_add_u32_e32 v5, s13, v3
	v_mov_b32_e32 v4, s5
	v_add_co_u32_e32 v1, vcc, s4, v1
	v_ashrrev_i32_e32 v6, 31, v5
	v_addc_co_u32_e32 v2, vcc, v4, v2, vcc
	v_lshlrev_b64 v[3:4], 2, v[5:6]
	v_add_u32_e32 v7, s13, v5
	v_mov_b32_e32 v6, s5
	v_add_co_u32_e32 v3, vcc, s4, v3
	v_ashrrev_i32_e32 v8, 31, v7
	v_addc_co_u32_e32 v4, vcc, v6, v4, vcc
	;; [unrolled: 6-line block ×8, first 2 shown]
	v_lshlrev_b64 v[17:18], 2, v[19:20]
	v_mov_b32_e32 v21, s5
	v_add_co_u32_e32 v17, vcc, s4, v17
	v_addc_co_u32_e32 v18, vcc, v21, v18, vcc
	v_add_u32_e32 v21, s13, v19
	v_ashrrev_i32_e32 v22, 31, v21
	v_lshlrev_b64 v[19:20], 2, v[21:22]
	v_mov_b32_e32 v23, s5
	v_add_co_u32_e32 v19, vcc, s4, v19
	v_addc_co_u32_e32 v20, vcc, v23, v20, vcc
	v_add_u32_e32 v23, s13, v21
	v_ashrrev_i32_e32 v24, 31, v23
	;; [unrolled: 6-line block ×51, first 2 shown]
	v_lshlrev_b64 v[119:120], 2, v[121:122]
	v_add_u32_e32 v121, s13, v121
	v_ashrrev_i32_e32 v122, 31, v121
	v_mov_b32_e32 v123, s5
	v_add_co_u32_e32 v119, vcc, s4, v119
	v_lshlrev_b64 v[121:122], 2, v[121:122]
	v_addc_co_u32_e32 v120, vcc, v123, v120, vcc
	v_add_co_u32_e32 v121, vcc, s4, v121
	v_addc_co_u32_e32 v122, vcc, v123, v122, vcc
	v_mov_b32_e32 v124, s5
	v_add_co_u32_e32 v123, vcc, s4, v127
	global_load_dword v128, v127, s[4:5]
	s_ashr_i32 s5, s13, 31
	s_mov_b32 s4, s13
	v_addc_co_u32_e32 v124, vcc, 0, v124, vcc
	s_lshl_b64 s[4:5], s[4:5], 2
	v_mov_b32_e32 v126, s5
	v_add_co_u32_e32 v125, vcc, s4, v123
	v_addc_co_u32_e32 v126, vcc, v124, v126, vcc
	global_load_dword v129, v[125:126], off
	global_load_dword v130, v[1:2], off
	;; [unrolled: 1-line block ×62, first 2 shown]
	s_cmpk_lg_i32 s9, 0x84
	s_waitcnt vmcnt(62)
	buffer_store_dword v128, off, s[0:3], 0
	s_waitcnt vmcnt(62)
	buffer_store_dword v129, off, s[0:3], 0 offset:4
	s_waitcnt vmcnt(62)
	buffer_store_dword v130, off, s[0:3], 0 offset:8
	s_waitcnt vmcnt(62)
	buffer_store_dword v131, off, s[0:3], 0 offset:12
	s_waitcnt vmcnt(62)
	buffer_store_dword v132, off, s[0:3], 0 offset:16
	s_waitcnt vmcnt(62)
	buffer_store_dword v133, off, s[0:3], 0 offset:20
	s_waitcnt vmcnt(62)
	buffer_store_dword v134, off, s[0:3], 0 offset:24
	s_waitcnt vmcnt(62)
	buffer_store_dword v135, off, s[0:3], 0 offset:28
	s_waitcnt vmcnt(62)
	buffer_store_dword v136, off, s[0:3], 0 offset:32
	s_waitcnt vmcnt(62)
	buffer_store_dword v137, off, s[0:3], 0 offset:36
	s_waitcnt vmcnt(62)
	buffer_store_dword v138, off, s[0:3], 0 offset:40
	s_waitcnt vmcnt(62)
	buffer_store_dword v139, off, s[0:3], 0 offset:44
	s_waitcnt vmcnt(62)
	buffer_store_dword v140, off, s[0:3], 0 offset:48
	s_waitcnt vmcnt(62)
	buffer_store_dword v141, off, s[0:3], 0 offset:52
	s_waitcnt vmcnt(62)
	buffer_store_dword v142, off, s[0:3], 0 offset:56
	s_waitcnt vmcnt(62)
	buffer_store_dword v143, off, s[0:3], 0 offset:60
	s_waitcnt vmcnt(62)
	buffer_store_dword v144, off, s[0:3], 0 offset:64
	s_waitcnt vmcnt(62)
	buffer_store_dword v145, off, s[0:3], 0 offset:68
	s_waitcnt vmcnt(62)
	buffer_store_dword v146, off, s[0:3], 0 offset:72
	s_waitcnt vmcnt(62)
	buffer_store_dword v147, off, s[0:3], 0 offset:76
	s_waitcnt vmcnt(62)
	buffer_store_dword v148, off, s[0:3], 0 offset:80
	s_waitcnt vmcnt(62)
	buffer_store_dword v149, off, s[0:3], 0 offset:84
	s_waitcnt vmcnt(62)
	buffer_store_dword v150, off, s[0:3], 0 offset:88
	s_waitcnt vmcnt(62)
	buffer_store_dword v151, off, s[0:3], 0 offset:92
	s_waitcnt vmcnt(62)
	buffer_store_dword v152, off, s[0:3], 0 offset:96
	s_waitcnt vmcnt(62)
	buffer_store_dword v153, off, s[0:3], 0 offset:100
	s_waitcnt vmcnt(62)
	buffer_store_dword v154, off, s[0:3], 0 offset:104
	s_waitcnt vmcnt(62)
	buffer_store_dword v155, off, s[0:3], 0 offset:108
	s_waitcnt vmcnt(62)
	buffer_store_dword v156, off, s[0:3], 0 offset:112
	s_waitcnt vmcnt(62)
	buffer_store_dword v157, off, s[0:3], 0 offset:116
	s_waitcnt vmcnt(62)
	buffer_store_dword v158, off, s[0:3], 0 offset:120
	s_waitcnt vmcnt(62)
	buffer_store_dword v159, off, s[0:3], 0 offset:124
	s_waitcnt vmcnt(62)
	buffer_store_dword v160, off, s[0:3], 0 offset:128
	s_waitcnt vmcnt(62)
	buffer_store_dword v161, off, s[0:3], 0 offset:132
	s_waitcnt vmcnt(62)
	buffer_store_dword v162, off, s[0:3], 0 offset:136
	s_waitcnt vmcnt(62)
	buffer_store_dword v163, off, s[0:3], 0 offset:140
	s_waitcnt vmcnt(62)
	buffer_store_dword v164, off, s[0:3], 0 offset:144
	s_waitcnt vmcnt(62)
	buffer_store_dword v165, off, s[0:3], 0 offset:148
	s_waitcnt vmcnt(62)
	buffer_store_dword v166, off, s[0:3], 0 offset:152
	s_waitcnt vmcnt(62)
	buffer_store_dword v167, off, s[0:3], 0 offset:156
	s_waitcnt vmcnt(62)
	buffer_store_dword v168, off, s[0:3], 0 offset:160
	s_waitcnt vmcnt(62)
	buffer_store_dword v169, off, s[0:3], 0 offset:164
	s_waitcnt vmcnt(62)
	buffer_store_dword v170, off, s[0:3], 0 offset:168
	s_waitcnt vmcnt(62)
	buffer_store_dword v171, off, s[0:3], 0 offset:172
	s_waitcnt vmcnt(62)
	buffer_store_dword v172, off, s[0:3], 0 offset:176
	s_waitcnt vmcnt(62)
	buffer_store_dword v173, off, s[0:3], 0 offset:180
	s_waitcnt vmcnt(62)
	buffer_store_dword v174, off, s[0:3], 0 offset:184
	s_waitcnt vmcnt(62)
	buffer_store_dword v175, off, s[0:3], 0 offset:188
	s_waitcnt vmcnt(62)
	buffer_store_dword v176, off, s[0:3], 0 offset:192
	s_waitcnt vmcnt(62)
	buffer_store_dword v177, off, s[0:3], 0 offset:196
	s_waitcnt vmcnt(62)
	buffer_store_dword v178, off, s[0:3], 0 offset:200
	s_waitcnt vmcnt(62)
	buffer_store_dword v179, off, s[0:3], 0 offset:204
	s_waitcnt vmcnt(62)
	buffer_store_dword v180, off, s[0:3], 0 offset:208
	s_waitcnt vmcnt(62)
	buffer_store_dword v181, off, s[0:3], 0 offset:212
	s_waitcnt vmcnt(62)
	buffer_store_dword v182, off, s[0:3], 0 offset:216
	s_waitcnt vmcnt(62)
	buffer_store_dword v183, off, s[0:3], 0 offset:220
	s_waitcnt vmcnt(62)
	buffer_store_dword v184, off, s[0:3], 0 offset:224
	s_waitcnt vmcnt(62)
	buffer_store_dword v185, off, s[0:3], 0 offset:228
	s_waitcnt vmcnt(62)
	buffer_store_dword v186, off, s[0:3], 0 offset:232
	s_waitcnt vmcnt(62)
	buffer_store_dword v187, off, s[0:3], 0 offset:236
	s_waitcnt vmcnt(62)
	buffer_store_dword v188, off, s[0:3], 0 offset:240
	s_waitcnt vmcnt(62)
	buffer_store_dword v189, off, s[0:3], 0 offset:244
	s_waitcnt vmcnt(62)
	buffer_store_dword v190, off, s[0:3], 0 offset:248
	s_movk_i32 s12, 0x84
	s_cselect_b64 s[10:11], -1, 0
	s_cmpk_eq_i32 s9, 0x84
	v_mov_b32_e32 v128, -1.0
	s_cbranch_scc1 .LBB62_3
; %bb.2:
	v_mov_b32_e32 v128, 0
	v_lshl_add_u32 v128, v0, 2, v128
	buffer_load_dword v129, v128, s[0:3], 0 offen
	s_waitcnt vmcnt(0)
	v_div_scale_f32 v130, s[4:5], v129, v129, 1.0
	v_div_scale_f32 v131, vcc, 1.0, v129, 1.0
	v_rcp_f32_e32 v132, v130
	v_fma_f32 v133, -v130, v132, 1.0
	v_fmac_f32_e32 v132, v133, v132
	v_mul_f32_e32 v133, v131, v132
	v_fma_f32 v134, -v130, v133, v131
	v_fmac_f32_e32 v133, v134, v132
	v_fma_f32 v130, -v130, v133, v131
	v_div_fmas_f32 v130, v130, v132, v133
	v_div_fixup_f32 v129, v130, v129, 1.0
	buffer_store_dword v129, v128, s[0:3], 0 offen
	v_xor_b32_e32 v128, 0x80000000, v129
.LBB62_3:
	ds_write_b32 v127, v128
	s_cmpk_eq_i32 s8, 0x79
	v_or_b32_e32 v128, 0x100, v127
	v_mov_b32_e32 v129, v127
	s_mov_b64 s[4:5], -1
	s_cbranch_scc1 .LBB62_617
; %bb.4:
	buffer_load_dword v130, off, s[0:3], 0 offset:244
	s_movk_i32 s30, 0x44
	s_movk_i32 s31, 0x48
	;; [unrolled: 1-line block ×43, first 2 shown]
	v_cmp_eq_u32_e64 s[4:5], 62, v0
	s_waitcnt vmcnt(0)
	ds_write_b32 v128, v130
	s_waitcnt lgkmcnt(0)
	; wave barrier
	s_and_saveexec_b64 s[6:7], s[4:5]
	s_cbranch_execz .LBB62_10
; %bb.5:
	s_and_b64 vcc, exec, s[10:11]
	s_cbranch_vccz .LBB62_7
; %bb.6:
	buffer_load_dword v130, v129, s[0:3], 0 offen
	ds_read_b32 v131, v128
	s_waitcnt vmcnt(0) lgkmcnt(0)
	v_mul_f32_e32 v130, v130, v131
	s_cbranch_execz .LBB62_8
	s_branch .LBB62_9
.LBB62_7:
                                        ; implicit-def: $vgpr130
.LBB62_8:
	ds_read_b32 v130, v128
.LBB62_9:
	v_mov_b32_e32 v131, 0
	ds_read_b32 v131, v131 offset:244
	s_waitcnt lgkmcnt(0)
	v_mul_f32_e32 v130, v130, v131
	buffer_store_dword v130, off, s[0:3], 0 offset:244
.LBB62_10:
	s_or_b64 exec, exec, s[6:7]
	buffer_load_dword v130, off, s[0:3], 0 offset:240
	s_or_b32 s14, 0, 4
	s_or_b32 s15, 0, 8
	;; [unrolled: 1-line block ×3, first 2 shown]
	s_mov_b32 s17, 16
	s_mov_b32 s18, 20
	;; [unrolled: 1-line block ×15, first 2 shown]
	v_cmp_lt_u32_e64 s[6:7], 60, v0
	s_waitcnt vmcnt(0)
	ds_write_b32 v128, v130
	s_waitcnt lgkmcnt(0)
	; wave barrier
	s_and_saveexec_b64 s[8:9], s[6:7]
	s_cbranch_execz .LBB62_16
; %bb.11:
	s_andn2_b64 vcc, exec, s[10:11]
	s_cbranch_vccnz .LBB62_13
; %bb.12:
	buffer_load_dword v130, v129, s[0:3], 0 offen
	ds_read_b32 v131, v128
	s_waitcnt vmcnt(0) lgkmcnt(0)
	v_mul_f32_e32 v130, v130, v131
	s_cbranch_execz .LBB62_14
	s_branch .LBB62_15
.LBB62_13:
                                        ; implicit-def: $vgpr130
.LBB62_14:
	ds_read_b32 v130, v128
.LBB62_15:
	buffer_load_dword v133, off, s[0:3], 0 offset:244
	v_mov_b32_e32 v131, 0
	ds_read2_b32 v[131:132], v131 offset0:60 offset1:125
	s_waitcnt vmcnt(0) lgkmcnt(0)
	v_fma_f32 v132, v133, v132, v130
	v_cndmask_b32_e64 v130, v130, v132, s[4:5]
	v_mul_f32_e32 v130, v130, v131
	buffer_store_dword v130, off, s[0:3], 0 offset:240
.LBB62_16:
	s_or_b64 exec, exec, s[8:9]
	buffer_load_dword v130, off, s[0:3], 0 offset:236
	v_cmp_lt_u32_e64 s[4:5], 59, v0
	s_waitcnt vmcnt(0)
	ds_write_b32 v128, v130
	s_waitcnt lgkmcnt(0)
	; wave barrier
	s_and_saveexec_b64 s[8:9], s[4:5]
	s_cbranch_execz .LBB62_26
; %bb.17:
	s_andn2_b64 vcc, exec, s[10:11]
	s_cbranch_vccnz .LBB62_19
; %bb.18:
	buffer_load_dword v130, v129, s[0:3], 0 offen
	ds_read_b32 v131, v128
	s_waitcnt vmcnt(0) lgkmcnt(0)
	v_mul_f32_e32 v130, v130, v131
	s_cbranch_execz .LBB62_20
	s_branch .LBB62_21
.LBB62_19:
                                        ; implicit-def: $vgpr130
.LBB62_20:
	ds_read_b32 v130, v128
.LBB62_21:
	s_and_saveexec_b64 s[12:13], s[6:7]
	s_cbranch_execz .LBB62_25
; %bb.22:
	v_subrev_u32_e32 v131, 60, v0
	s_movk_i32 s75, 0x1f0
	s_mov_b64 s[6:7], 0
.LBB62_23:                              ; =>This Inner Loop Header: Depth=1
	v_mov_b32_e32 v132, s74
	buffer_load_dword v132, v132, s[0:3], 0 offen
	v_mov_b32_e32 v133, s75
	ds_read_b32 v133, v133
	v_add_u32_e32 v131, -1, v131
	s_add_i32 s75, s75, 4
	s_add_i32 s74, s74, 4
	v_cmp_eq_u32_e32 vcc, 0, v131
	s_or_b64 s[6:7], vcc, s[6:7]
	s_waitcnt vmcnt(0) lgkmcnt(0)
	v_fmac_f32_e32 v130, v132, v133
	s_andn2_b64 exec, exec, s[6:7]
	s_cbranch_execnz .LBB62_23
; %bb.24:
	s_or_b64 exec, exec, s[6:7]
.LBB62_25:
	s_or_b64 exec, exec, s[12:13]
	v_mov_b32_e32 v131, 0
	ds_read_b32 v131, v131 offset:236
	s_waitcnt lgkmcnt(0)
	v_mul_f32_e32 v130, v130, v131
	buffer_store_dword v130, off, s[0:3], 0 offset:236
.LBB62_26:
	s_or_b64 exec, exec, s[8:9]
	buffer_load_dword v130, off, s[0:3], 0 offset:232
	v_cmp_lt_u32_e64 s[6:7], 58, v0
	s_waitcnt vmcnt(0)
	ds_write_b32 v128, v130
	s_waitcnt lgkmcnt(0)
	; wave barrier
	s_and_saveexec_b64 s[8:9], s[6:7]
	s_cbranch_execz .LBB62_36
; %bb.27:
	s_andn2_b64 vcc, exec, s[10:11]
	s_cbranch_vccnz .LBB62_29
; %bb.28:
	buffer_load_dword v130, v129, s[0:3], 0 offen
	ds_read_b32 v131, v128
	s_waitcnt vmcnt(0) lgkmcnt(0)
	v_mul_f32_e32 v130, v130, v131
	s_cbranch_execz .LBB62_30
	s_branch .LBB62_31
.LBB62_29:
                                        ; implicit-def: $vgpr130
.LBB62_30:
	ds_read_b32 v130, v128
.LBB62_31:
	s_and_saveexec_b64 s[12:13], s[4:5]
	s_cbranch_execz .LBB62_35
; %bb.32:
	v_subrev_u32_e32 v131, 59, v0
	s_movk_i32 s74, 0x1ec
	s_mov_b64 s[4:5], 0
.LBB62_33:                              ; =>This Inner Loop Header: Depth=1
	v_mov_b32_e32 v132, s73
	buffer_load_dword v132, v132, s[0:3], 0 offen
	v_mov_b32_e32 v133, s74
	ds_read_b32 v133, v133
	v_add_u32_e32 v131, -1, v131
	s_add_i32 s74, s74, 4
	s_add_i32 s73, s73, 4
	v_cmp_eq_u32_e32 vcc, 0, v131
	s_or_b64 s[4:5], vcc, s[4:5]
	s_waitcnt vmcnt(0) lgkmcnt(0)
	v_fmac_f32_e32 v130, v132, v133
	s_andn2_b64 exec, exec, s[4:5]
	s_cbranch_execnz .LBB62_33
; %bb.34:
	s_or_b64 exec, exec, s[4:5]
.LBB62_35:
	s_or_b64 exec, exec, s[12:13]
	v_mov_b32_e32 v131, 0
	ds_read_b32 v131, v131 offset:232
	s_waitcnt lgkmcnt(0)
	v_mul_f32_e32 v130, v130, v131
	buffer_store_dword v130, off, s[0:3], 0 offset:232
.LBB62_36:
	;; [unrolled: 54-line block ×8, first 2 shown]
	s_or_b64 exec, exec, s[8:9]
	buffer_load_dword v130, off, s[0:3], 0 offset:204
	v_cmp_lt_u32_e64 s[4:5], 51, v0
	s_waitcnt vmcnt(0)
	ds_write_b32 v128, v130
	s_waitcnt lgkmcnt(0)
	; wave barrier
	s_and_saveexec_b64 s[8:9], s[4:5]
	s_cbranch_execz .LBB62_106
; %bb.97:
	s_andn2_b64 vcc, exec, s[10:11]
	s_cbranch_vccnz .LBB62_99
; %bb.98:
	buffer_load_dword v130, v129, s[0:3], 0 offen
	ds_read_b32 v131, v128
	s_waitcnt vmcnt(0) lgkmcnt(0)
	v_mul_f32_e32 v130, v130, v131
	s_cbranch_execz .LBB62_100
	s_branch .LBB62_101
.LBB62_99:
                                        ; implicit-def: $vgpr130
.LBB62_100:
	ds_read_b32 v130, v128
.LBB62_101:
	s_and_saveexec_b64 s[12:13], s[6:7]
	s_cbranch_execz .LBB62_105
; %bb.102:
	v_subrev_u32_e32 v131, 52, v0
	s_movk_i32 s67, 0x1d0
	s_mov_b64 s[6:7], 0
.LBB62_103:                             ; =>This Inner Loop Header: Depth=1
	v_mov_b32_e32 v132, s66
	buffer_load_dword v132, v132, s[0:3], 0 offen
	v_mov_b32_e32 v133, s67
	ds_read_b32 v133, v133
	v_add_u32_e32 v131, -1, v131
	s_add_i32 s67, s67, 4
	s_add_i32 s66, s66, 4
	v_cmp_eq_u32_e32 vcc, 0, v131
	s_or_b64 s[6:7], vcc, s[6:7]
	s_waitcnt vmcnt(0) lgkmcnt(0)
	v_fmac_f32_e32 v130, v132, v133
	s_andn2_b64 exec, exec, s[6:7]
	s_cbranch_execnz .LBB62_103
; %bb.104:
	s_or_b64 exec, exec, s[6:7]
.LBB62_105:
	s_or_b64 exec, exec, s[12:13]
	v_mov_b32_e32 v131, 0
	ds_read_b32 v131, v131 offset:204
	s_waitcnt lgkmcnt(0)
	v_mul_f32_e32 v130, v130, v131
	buffer_store_dword v130, off, s[0:3], 0 offset:204
.LBB62_106:
	s_or_b64 exec, exec, s[8:9]
	buffer_load_dword v130, off, s[0:3], 0 offset:200
	v_cmp_lt_u32_e64 s[6:7], 50, v0
	s_waitcnt vmcnt(0)
	ds_write_b32 v128, v130
	s_waitcnt lgkmcnt(0)
	; wave barrier
	s_and_saveexec_b64 s[8:9], s[6:7]
	s_cbranch_execz .LBB62_116
; %bb.107:
	s_andn2_b64 vcc, exec, s[10:11]
	s_cbranch_vccnz .LBB62_109
; %bb.108:
	buffer_load_dword v130, v129, s[0:3], 0 offen
	ds_read_b32 v131, v128
	s_waitcnt vmcnt(0) lgkmcnt(0)
	v_mul_f32_e32 v130, v130, v131
	s_cbranch_execz .LBB62_110
	s_branch .LBB62_111
.LBB62_109:
                                        ; implicit-def: $vgpr130
.LBB62_110:
	ds_read_b32 v130, v128
.LBB62_111:
	s_and_saveexec_b64 s[12:13], s[4:5]
	s_cbranch_execz .LBB62_115
; %bb.112:
	v_subrev_u32_e32 v131, 51, v0
	s_movk_i32 s66, 0x1cc
	s_mov_b64 s[4:5], 0
.LBB62_113:                             ; =>This Inner Loop Header: Depth=1
	v_mov_b32_e32 v132, s65
	buffer_load_dword v132, v132, s[0:3], 0 offen
	v_mov_b32_e32 v133, s66
	ds_read_b32 v133, v133
	v_add_u32_e32 v131, -1, v131
	s_add_i32 s66, s66, 4
	s_add_i32 s65, s65, 4
	v_cmp_eq_u32_e32 vcc, 0, v131
	s_or_b64 s[4:5], vcc, s[4:5]
	s_waitcnt vmcnt(0) lgkmcnt(0)
	v_fmac_f32_e32 v130, v132, v133
	s_andn2_b64 exec, exec, s[4:5]
	s_cbranch_execnz .LBB62_113
; %bb.114:
	s_or_b64 exec, exec, s[4:5]
.LBB62_115:
	s_or_b64 exec, exec, s[12:13]
	v_mov_b32_e32 v131, 0
	ds_read_b32 v131, v131 offset:200
	s_waitcnt lgkmcnt(0)
	v_mul_f32_e32 v130, v130, v131
	buffer_store_dword v130, off, s[0:3], 0 offset:200
.LBB62_116:
	;; [unrolled: 54-line block ×36, first 2 shown]
	s_or_b64 exec, exec, s[8:9]
	buffer_load_dword v130, off, s[0:3], 0 offset:60
	v_cmp_lt_u32_e64 s[4:5], 15, v0
	s_waitcnt vmcnt(0)
	ds_write_b32 v128, v130
	s_waitcnt lgkmcnt(0)
	; wave barrier
	s_and_saveexec_b64 s[8:9], s[4:5]
	s_cbranch_execz .LBB62_466
; %bb.457:
	s_andn2_b64 vcc, exec, s[10:11]
	s_cbranch_vccnz .LBB62_459
; %bb.458:
	buffer_load_dword v130, v129, s[0:3], 0 offen
	ds_read_b32 v131, v128
	s_waitcnt vmcnt(0) lgkmcnt(0)
	v_mul_f32_e32 v130, v130, v131
	s_cbranch_execz .LBB62_460
	s_branch .LBB62_461
.LBB62_459:
                                        ; implicit-def: $vgpr130
.LBB62_460:
	ds_read_b32 v130, v128
.LBB62_461:
	s_and_saveexec_b64 s[12:13], s[6:7]
	s_cbranch_execz .LBB62_465
; %bb.462:
	v_add_u32_e32 v131, -16, v0
	s_movk_i32 s30, 0x140
	s_mov_b64 s[6:7], 0
.LBB62_463:                             ; =>This Inner Loop Header: Depth=1
	v_mov_b32_e32 v132, s29
	buffer_load_dword v132, v132, s[0:3], 0 offen
	v_mov_b32_e32 v133, s30
	ds_read_b32 v133, v133
	v_add_u32_e32 v131, -1, v131
	s_add_i32 s30, s30, 4
	s_add_i32 s29, s29, 4
	v_cmp_eq_u32_e32 vcc, 0, v131
	s_or_b64 s[6:7], vcc, s[6:7]
	s_waitcnt vmcnt(0) lgkmcnt(0)
	v_fmac_f32_e32 v130, v132, v133
	s_andn2_b64 exec, exec, s[6:7]
	s_cbranch_execnz .LBB62_463
; %bb.464:
	s_or_b64 exec, exec, s[6:7]
.LBB62_465:
	s_or_b64 exec, exec, s[12:13]
	v_mov_b32_e32 v131, 0
	ds_read_b32 v131, v131 offset:60
	s_waitcnt lgkmcnt(0)
	v_mul_f32_e32 v130, v130, v131
	buffer_store_dword v130, off, s[0:3], 0 offset:60
.LBB62_466:
	s_or_b64 exec, exec, s[8:9]
	buffer_load_dword v130, off, s[0:3], 0 offset:56
	v_cmp_lt_u32_e64 s[6:7], 14, v0
	s_waitcnt vmcnt(0)
	ds_write_b32 v128, v130
	s_waitcnt lgkmcnt(0)
	; wave barrier
	s_and_saveexec_b64 s[8:9], s[6:7]
	s_cbranch_execz .LBB62_476
; %bb.467:
	s_andn2_b64 vcc, exec, s[10:11]
	s_cbranch_vccnz .LBB62_469
; %bb.468:
	buffer_load_dword v130, v129, s[0:3], 0 offen
	ds_read_b32 v131, v128
	s_waitcnt vmcnt(0) lgkmcnt(0)
	v_mul_f32_e32 v130, v130, v131
	s_cbranch_execz .LBB62_470
	s_branch .LBB62_471
.LBB62_469:
                                        ; implicit-def: $vgpr130
.LBB62_470:
	ds_read_b32 v130, v128
.LBB62_471:
	s_and_saveexec_b64 s[12:13], s[4:5]
	s_cbranch_execz .LBB62_475
; %bb.472:
	v_add_u32_e32 v131, -15, v0
	s_movk_i32 s29, 0x13c
	s_mov_b64 s[4:5], 0
.LBB62_473:                             ; =>This Inner Loop Header: Depth=1
	v_mov_b32_e32 v132, s28
	buffer_load_dword v132, v132, s[0:3], 0 offen
	v_mov_b32_e32 v133, s29
	ds_read_b32 v133, v133
	v_add_u32_e32 v131, -1, v131
	s_add_i32 s29, s29, 4
	s_add_i32 s28, s28, 4
	v_cmp_eq_u32_e32 vcc, 0, v131
	s_or_b64 s[4:5], vcc, s[4:5]
	s_waitcnt vmcnt(0) lgkmcnt(0)
	v_fmac_f32_e32 v130, v132, v133
	s_andn2_b64 exec, exec, s[4:5]
	s_cbranch_execnz .LBB62_473
; %bb.474:
	s_or_b64 exec, exec, s[4:5]
.LBB62_475:
	s_or_b64 exec, exec, s[12:13]
	v_mov_b32_e32 v131, 0
	ds_read_b32 v131, v131 offset:56
	s_waitcnt lgkmcnt(0)
	v_mul_f32_e32 v130, v130, v131
	buffer_store_dword v130, off, s[0:3], 0 offset:56
.LBB62_476:
	;; [unrolled: 54-line block ×15, first 2 shown]
	s_or_b64 exec, exec, s[8:9]
	buffer_load_dword v130, off, s[0:3], 0
	v_cmp_ne_u32_e32 vcc, 0, v0
	s_waitcnt vmcnt(0)
	ds_write_b32 v128, v130
	s_waitcnt lgkmcnt(0)
	; wave barrier
	s_and_saveexec_b64 s[6:7], vcc
	s_cbranch_execz .LBB62_616
; %bb.607:
	s_andn2_b64 vcc, exec, s[10:11]
	s_cbranch_vccnz .LBB62_609
; %bb.608:
	buffer_load_dword v130, v129, s[0:3], 0 offen
	ds_read_b32 v131, v128
	s_waitcnt vmcnt(0) lgkmcnt(0)
	v_mul_f32_e32 v130, v130, v131
	s_cbranch_execz .LBB62_610
	s_branch .LBB62_611
.LBB62_609:
                                        ; implicit-def: $vgpr130
.LBB62_610:
	ds_read_b32 v130, v128
.LBB62_611:
	s_and_saveexec_b64 s[8:9], s[4:5]
	s_cbranch_execz .LBB62_615
; %bb.612:
	v_add_u32_e32 v131, -1, v0
	s_movk_i32 s12, 0x104
	s_mov_b64 s[4:5], 0
.LBB62_613:                             ; =>This Inner Loop Header: Depth=1
	v_mov_b32_e32 v132, s14
	buffer_load_dword v132, v132, s[0:3], 0 offen
	v_mov_b32_e32 v133, s12
	ds_read_b32 v133, v133
	v_add_u32_e32 v131, -1, v131
	s_add_i32 s12, s12, 4
	s_add_i32 s14, s14, 4
	v_cmp_eq_u32_e32 vcc, 0, v131
	s_or_b64 s[4:5], vcc, s[4:5]
	s_waitcnt vmcnt(0) lgkmcnt(0)
	v_fmac_f32_e32 v130, v132, v133
	s_andn2_b64 exec, exec, s[4:5]
	s_cbranch_execnz .LBB62_613
; %bb.614:
	s_or_b64 exec, exec, s[4:5]
.LBB62_615:
	s_or_b64 exec, exec, s[8:9]
	v_mov_b32_e32 v131, 0
	ds_read_b32 v131, v131
	s_waitcnt lgkmcnt(0)
	v_mul_f32_e32 v130, v130, v131
	buffer_store_dword v130, off, s[0:3], 0
.LBB62_616:
	s_or_b64 exec, exec, s[6:7]
	s_mov_b64 s[4:5], 0
.LBB62_617:
	s_and_b64 vcc, exec, s[4:5]
	s_cbranch_vccz .LBB62_1229
; %bb.618:
	buffer_load_dword v130, off, s[0:3], 0 offset:4
	v_cmp_eq_u32_e64 s[6:7], 0, v0
	s_waitcnt vmcnt(0)
	ds_write_b32 v128, v130
	s_waitcnt lgkmcnt(0)
	; wave barrier
	s_and_saveexec_b64 s[4:5], s[6:7]
	s_cbranch_execz .LBB62_624
; %bb.619:
	s_and_b64 vcc, exec, s[10:11]
	s_cbranch_vccz .LBB62_621
; %bb.620:
	buffer_load_dword v130, v129, s[0:3], 0 offen
	ds_read_b32 v131, v128
	s_waitcnt vmcnt(0) lgkmcnt(0)
	v_mul_f32_e32 v130, v130, v131
	s_cbranch_execz .LBB62_622
	s_branch .LBB62_623
.LBB62_621:
                                        ; implicit-def: $vgpr130
.LBB62_622:
	ds_read_b32 v130, v128
.LBB62_623:
	v_mov_b32_e32 v131, 0
	ds_read_b32 v131, v131 offset:4
	s_waitcnt lgkmcnt(0)
	v_mul_f32_e32 v130, v130, v131
	buffer_store_dword v130, off, s[0:3], 0 offset:4
.LBB62_624:
	s_or_b64 exec, exec, s[4:5]
	buffer_load_dword v130, off, s[0:3], 0 offset:8
	v_cndmask_b32_e64 v131, 0, 1, s[10:11]
	v_cmp_gt_u32_e32 vcc, 2, v0
	v_cmp_ne_u32_e64 s[4:5], 1, v131
	s_waitcnt vmcnt(0)
	ds_write_b32 v128, v130
	s_waitcnt lgkmcnt(0)
	; wave barrier
	s_and_saveexec_b64 s[8:9], vcc
	s_cbranch_execz .LBB62_630
; %bb.625:
	s_and_b64 vcc, exec, s[4:5]
	s_cbranch_vccnz .LBB62_627
; %bb.626:
	buffer_load_dword v130, v129, s[0:3], 0 offen
	ds_read_b32 v131, v128
	s_waitcnt vmcnt(0) lgkmcnt(0)
	v_mul_f32_e32 v130, v130, v131
	s_cbranch_execz .LBB62_628
	s_branch .LBB62_629
.LBB62_627:
                                        ; implicit-def: $vgpr130
.LBB62_628:
	ds_read_b32 v130, v128
.LBB62_629:
	buffer_load_dword v133, off, s[0:3], 0 offset:4
	v_mov_b32_e32 v131, 0
	ds_read2_b32 v[131:132], v131 offset0:2 offset1:65
	s_waitcnt vmcnt(0) lgkmcnt(0)
	v_fma_f32 v132, v133, v132, v130
	v_cndmask_b32_e64 v130, v130, v132, s[6:7]
	v_mul_f32_e32 v130, v130, v131
	buffer_store_dword v130, off, s[0:3], 0 offset:8
.LBB62_630:
	s_or_b64 exec, exec, s[8:9]
	buffer_load_dword v130, off, s[0:3], 0 offset:12
	v_cmp_gt_u32_e32 vcc, 3, v0
	s_waitcnt vmcnt(0)
	ds_write_b32 v128, v130
	s_waitcnt lgkmcnt(0)
	; wave barrier
	s_and_saveexec_b64 s[8:9], vcc
	s_cbranch_execz .LBB62_638
; %bb.631:
	s_and_b64 vcc, exec, s[4:5]
	s_cbranch_vccnz .LBB62_633
; %bb.632:
	buffer_load_dword v130, v129, s[0:3], 0 offen
	ds_read_b32 v131, v128
	s_waitcnt vmcnt(0) lgkmcnt(0)
	v_mul_f32_e32 v130, v130, v131
	s_cbranch_execz .LBB62_634
	s_branch .LBB62_635
.LBB62_633:
                                        ; implicit-def: $vgpr130
.LBB62_634:
	ds_read_b32 v130, v128
.LBB62_635:
	v_cmp_ne_u32_e32 vcc, 2, v0
	s_and_saveexec_b64 s[10:11], vcc
	s_cbranch_execz .LBB62_637
; %bb.636:
	buffer_load_dword v131, v129, s[0:3], 0 offen offset:4
	buffer_load_dword v132, off, s[0:3], 0 offset:8
	v_mov_b32_e32 v133, 0
	ds_read_b32 v134, v128 offset:4
	ds_read_b32 v133, v133 offset:264
	s_waitcnt vmcnt(1) lgkmcnt(1)
	v_fmac_f32_e32 v130, v131, v134
	s_waitcnt vmcnt(0) lgkmcnt(0)
	v_fma_f32 v131, v132, v133, v130
	v_cndmask_b32_e64 v130, v130, v131, s[6:7]
.LBB62_637:
	s_or_b64 exec, exec, s[10:11]
	v_mov_b32_e32 v131, 0
	ds_read_b32 v131, v131 offset:12
	s_waitcnt lgkmcnt(0)
	v_mul_f32_e32 v130, v130, v131
	buffer_store_dword v130, off, s[0:3], 0 offset:12
.LBB62_638:
	s_or_b64 exec, exec, s[8:9]
	buffer_load_dword v130, off, s[0:3], 0 offset:16
	v_cmp_gt_u32_e32 vcc, 4, v0
	s_waitcnt vmcnt(0)
	ds_write_b32 v128, v130
	s_waitcnt lgkmcnt(0)
	; wave barrier
	s_and_saveexec_b64 s[6:7], vcc
	s_cbranch_execz .LBB62_648
; %bb.639:
	s_and_b64 vcc, exec, s[4:5]
	s_cbranch_vccnz .LBB62_641
; %bb.640:
	buffer_load_dword v130, v129, s[0:3], 0 offen
	ds_read_b32 v131, v128
	s_waitcnt vmcnt(0) lgkmcnt(0)
	v_mul_f32_e32 v130, v130, v131
	s_cbranch_execz .LBB62_642
	s_branch .LBB62_643
.LBB62_641:
                                        ; implicit-def: $vgpr130
.LBB62_642:
	ds_read_b32 v130, v128
.LBB62_643:
	v_cmp_ne_u32_e32 vcc, 3, v0
	s_and_saveexec_b64 s[8:9], vcc
	s_cbranch_execz .LBB62_647
; %bb.644:
	s_mov_b32 s10, 0
	v_add_u32_e32 v131, 0x104, v127
	v_add3_u32 v132, v127, s10, 4
	s_mov_b64 s[10:11], 0
	v_mov_b32_e32 v133, v0
.LBB62_645:                             ; =>This Inner Loop Header: Depth=1
	buffer_load_dword v134, v132, s[0:3], 0 offen
	ds_read_b32 v135, v131
	v_add_u32_e32 v133, 1, v133
	v_cmp_lt_u32_e32 vcc, 2, v133
	v_add_u32_e32 v131, 4, v131
	v_add_u32_e32 v132, 4, v132
	s_or_b64 s[10:11], vcc, s[10:11]
	s_waitcnt vmcnt(0) lgkmcnt(0)
	v_fmac_f32_e32 v130, v134, v135
	s_andn2_b64 exec, exec, s[10:11]
	s_cbranch_execnz .LBB62_645
; %bb.646:
	s_or_b64 exec, exec, s[10:11]
.LBB62_647:
	s_or_b64 exec, exec, s[8:9]
	v_mov_b32_e32 v131, 0
	ds_read_b32 v131, v131 offset:16
	s_waitcnt lgkmcnt(0)
	v_mul_f32_e32 v130, v130, v131
	buffer_store_dword v130, off, s[0:3], 0 offset:16
.LBB62_648:
	s_or_b64 exec, exec, s[6:7]
	buffer_load_dword v130, off, s[0:3], 0 offset:20
	v_cmp_gt_u32_e32 vcc, 5, v0
	s_waitcnt vmcnt(0)
	ds_write_b32 v128, v130
	s_waitcnt lgkmcnt(0)
	; wave barrier
	s_and_saveexec_b64 s[6:7], vcc
	s_cbranch_execz .LBB62_658
; %bb.649:
	s_and_b64 vcc, exec, s[4:5]
	s_cbranch_vccnz .LBB62_651
; %bb.650:
	buffer_load_dword v130, v129, s[0:3], 0 offen
	ds_read_b32 v131, v128
	s_waitcnt vmcnt(0) lgkmcnt(0)
	v_mul_f32_e32 v130, v130, v131
	s_cbranch_execz .LBB62_652
	s_branch .LBB62_653
.LBB62_651:
                                        ; implicit-def: $vgpr130
.LBB62_652:
	ds_read_b32 v130, v128
.LBB62_653:
	v_cmp_ne_u32_e32 vcc, 4, v0
	s_and_saveexec_b64 s[8:9], vcc
	s_cbranch_execz .LBB62_657
; %bb.654:
	s_mov_b32 s10, 0
	v_add_u32_e32 v131, 0x104, v127
	v_add3_u32 v132, v127, s10, 4
	s_mov_b64 s[10:11], 0
	v_mov_b32_e32 v133, v0
.LBB62_655:                             ; =>This Inner Loop Header: Depth=1
	buffer_load_dword v134, v132, s[0:3], 0 offen
	ds_read_b32 v135, v131
	v_add_u32_e32 v133, 1, v133
	v_cmp_lt_u32_e32 vcc, 3, v133
	v_add_u32_e32 v131, 4, v131
	v_add_u32_e32 v132, 4, v132
	s_or_b64 s[10:11], vcc, s[10:11]
	s_waitcnt vmcnt(0) lgkmcnt(0)
	v_fmac_f32_e32 v130, v134, v135
	s_andn2_b64 exec, exec, s[10:11]
	s_cbranch_execnz .LBB62_655
; %bb.656:
	s_or_b64 exec, exec, s[10:11]
.LBB62_657:
	s_or_b64 exec, exec, s[8:9]
	v_mov_b32_e32 v131, 0
	ds_read_b32 v131, v131 offset:20
	s_waitcnt lgkmcnt(0)
	v_mul_f32_e32 v130, v130, v131
	buffer_store_dword v130, off, s[0:3], 0 offset:20
.LBB62_658:
	;; [unrolled: 55-line block ×36, first 2 shown]
	s_or_b64 exec, exec, s[6:7]
	buffer_load_dword v130, off, s[0:3], 0 offset:160
	v_cmp_gt_u32_e32 vcc, 40, v0
	s_waitcnt vmcnt(0)
	ds_write_b32 v128, v130
	s_waitcnt lgkmcnt(0)
	; wave barrier
	s_and_saveexec_b64 s[6:7], vcc
	s_cbranch_execz .LBB62_1008
; %bb.999:
	s_and_b64 vcc, exec, s[4:5]
	s_cbranch_vccnz .LBB62_1001
; %bb.1000:
	buffer_load_dword v130, v129, s[0:3], 0 offen
	ds_read_b32 v131, v128
	s_waitcnt vmcnt(0) lgkmcnt(0)
	v_mul_f32_e32 v130, v130, v131
	s_cbranch_execz .LBB62_1002
	s_branch .LBB62_1003
.LBB62_1001:
                                        ; implicit-def: $vgpr130
.LBB62_1002:
	ds_read_b32 v130, v128
.LBB62_1003:
	v_cmp_ne_u32_e32 vcc, 39, v0
	s_and_saveexec_b64 s[8:9], vcc
	s_cbranch_execz .LBB62_1007
; %bb.1004:
	s_mov_b32 s10, 0
	v_add_u32_e32 v131, 0x104, v127
	v_add3_u32 v132, v127, s10, 4
	s_mov_b64 s[10:11], 0
	v_mov_b32_e32 v133, v0
.LBB62_1005:                            ; =>This Inner Loop Header: Depth=1
	buffer_load_dword v134, v132, s[0:3], 0 offen
	ds_read_b32 v135, v131
	v_add_u32_e32 v133, 1, v133
	v_cmp_lt_u32_e32 vcc, 38, v133
	v_add_u32_e32 v131, 4, v131
	v_add_u32_e32 v132, 4, v132
	s_or_b64 s[10:11], vcc, s[10:11]
	s_waitcnt vmcnt(0) lgkmcnt(0)
	v_fmac_f32_e32 v130, v134, v135
	s_andn2_b64 exec, exec, s[10:11]
	s_cbranch_execnz .LBB62_1005
; %bb.1006:
	s_or_b64 exec, exec, s[10:11]
.LBB62_1007:
	s_or_b64 exec, exec, s[8:9]
	v_mov_b32_e32 v131, 0
	ds_read_b32 v131, v131 offset:160
	s_waitcnt lgkmcnt(0)
	v_mul_f32_e32 v130, v130, v131
	buffer_store_dword v130, off, s[0:3], 0 offset:160
.LBB62_1008:
	s_or_b64 exec, exec, s[6:7]
	buffer_load_dword v130, off, s[0:3], 0 offset:164
	v_cmp_gt_u32_e32 vcc, 41, v0
	s_waitcnt vmcnt(0)
	ds_write_b32 v128, v130
	s_waitcnt lgkmcnt(0)
	; wave barrier
	s_and_saveexec_b64 s[6:7], vcc
	s_cbranch_execz .LBB62_1018
; %bb.1009:
	s_and_b64 vcc, exec, s[4:5]
	s_cbranch_vccnz .LBB62_1011
; %bb.1010:
	buffer_load_dword v130, v129, s[0:3], 0 offen
	ds_read_b32 v131, v128
	s_waitcnt vmcnt(0) lgkmcnt(0)
	v_mul_f32_e32 v130, v130, v131
	s_cbranch_execz .LBB62_1012
	s_branch .LBB62_1013
.LBB62_1011:
                                        ; implicit-def: $vgpr130
.LBB62_1012:
	ds_read_b32 v130, v128
.LBB62_1013:
	v_cmp_ne_u32_e32 vcc, 40, v0
	s_and_saveexec_b64 s[8:9], vcc
	s_cbranch_execz .LBB62_1017
; %bb.1014:
	s_mov_b32 s10, 0
	v_add_u32_e32 v131, 0x104, v127
	v_add3_u32 v132, v127, s10, 4
	s_mov_b64 s[10:11], 0
	v_mov_b32_e32 v133, v0
.LBB62_1015:                            ; =>This Inner Loop Header: Depth=1
	buffer_load_dword v134, v132, s[0:3], 0 offen
	ds_read_b32 v135, v131
	v_add_u32_e32 v133, 1, v133
	v_cmp_lt_u32_e32 vcc, 39, v133
	v_add_u32_e32 v131, 4, v131
	v_add_u32_e32 v132, 4, v132
	s_or_b64 s[10:11], vcc, s[10:11]
	s_waitcnt vmcnt(0) lgkmcnt(0)
	v_fmac_f32_e32 v130, v134, v135
	s_andn2_b64 exec, exec, s[10:11]
	s_cbranch_execnz .LBB62_1015
; %bb.1016:
	s_or_b64 exec, exec, s[10:11]
.LBB62_1017:
	s_or_b64 exec, exec, s[8:9]
	v_mov_b32_e32 v131, 0
	ds_read_b32 v131, v131 offset:164
	s_waitcnt lgkmcnt(0)
	v_mul_f32_e32 v130, v130, v131
	buffer_store_dword v130, off, s[0:3], 0 offset:164
.LBB62_1018:
	;; [unrolled: 55-line block ×21, first 2 shown]
	s_or_b64 exec, exec, s[6:7]
	buffer_load_dword v130, off, s[0:3], 0 offset:244
	v_cmp_gt_u32_e64 s[6:7], 61, v0
	s_waitcnt vmcnt(0)
	ds_write_b32 v128, v130
	s_waitcnt lgkmcnt(0)
	; wave barrier
	s_and_saveexec_b64 s[8:9], s[6:7]
	s_cbranch_execz .LBB62_1218
; %bb.1209:
	s_and_b64 vcc, exec, s[4:5]
	s_cbranch_vccnz .LBB62_1211
; %bb.1210:
	buffer_load_dword v130, v129, s[0:3], 0 offen
	ds_read_b32 v131, v128
	s_waitcnt vmcnt(0) lgkmcnt(0)
	v_mul_f32_e32 v130, v130, v131
	s_cbranch_execz .LBB62_1212
	s_branch .LBB62_1213
.LBB62_1211:
                                        ; implicit-def: $vgpr130
.LBB62_1212:
	ds_read_b32 v130, v128
.LBB62_1213:
	v_cmp_ne_u32_e32 vcc, 60, v0
	s_and_saveexec_b64 s[10:11], vcc
	s_cbranch_execz .LBB62_1217
; %bb.1214:
	s_mov_b32 s12, 0
	v_add_u32_e32 v131, 0x104, v127
	v_add3_u32 v132, v127, s12, 4
	s_mov_b64 s[12:13], 0
	v_mov_b32_e32 v133, v0
.LBB62_1215:                            ; =>This Inner Loop Header: Depth=1
	buffer_load_dword v134, v132, s[0:3], 0 offen
	ds_read_b32 v135, v131
	v_add_u32_e32 v133, 1, v133
	v_cmp_lt_u32_e32 vcc, 59, v133
	v_add_u32_e32 v131, 4, v131
	v_add_u32_e32 v132, 4, v132
	s_or_b64 s[12:13], vcc, s[12:13]
	s_waitcnt vmcnt(0) lgkmcnt(0)
	v_fmac_f32_e32 v130, v134, v135
	s_andn2_b64 exec, exec, s[12:13]
	s_cbranch_execnz .LBB62_1215
; %bb.1216:
	s_or_b64 exec, exec, s[12:13]
.LBB62_1217:
	s_or_b64 exec, exec, s[10:11]
	v_mov_b32_e32 v131, 0
	ds_read_b32 v131, v131 offset:244
	s_waitcnt lgkmcnt(0)
	v_mul_f32_e32 v130, v130, v131
	buffer_store_dword v130, off, s[0:3], 0 offset:244
.LBB62_1218:
	s_or_b64 exec, exec, s[8:9]
	buffer_load_dword v130, off, s[0:3], 0 offset:248
	v_cmp_ne_u32_e32 vcc, 62, v0
	s_waitcnt vmcnt(0)
	ds_write_b32 v128, v130
	s_waitcnt lgkmcnt(0)
	; wave barrier
	s_and_saveexec_b64 s[8:9], vcc
	s_cbranch_execz .LBB62_1228
; %bb.1219:
	s_and_b64 vcc, exec, s[4:5]
	s_cbranch_vccnz .LBB62_1221
; %bb.1220:
	buffer_load_dword v129, v129, s[0:3], 0 offen
	ds_read_b32 v130, v128
	s_waitcnt vmcnt(0) lgkmcnt(0)
	v_mul_f32_e32 v129, v129, v130
	s_cbranch_execz .LBB62_1222
	s_branch .LBB62_1223
.LBB62_1221:
                                        ; implicit-def: $vgpr129
.LBB62_1222:
	ds_read_b32 v129, v128
.LBB62_1223:
	s_and_saveexec_b64 s[4:5], s[6:7]
	s_cbranch_execz .LBB62_1227
; %bb.1224:
	s_mov_b32 s6, 0
	v_add_u32_e32 v128, 0x104, v127
	v_add3_u32 v127, v127, s6, 4
	s_mov_b64 s[6:7], 0
.LBB62_1225:                            ; =>This Inner Loop Header: Depth=1
	buffer_load_dword v130, v127, s[0:3], 0 offen
	ds_read_b32 v131, v128
	v_add_u32_e32 v0, 1, v0
	v_cmp_lt_u32_e32 vcc, 60, v0
	v_add_u32_e32 v128, 4, v128
	v_add_u32_e32 v127, 4, v127
	s_or_b64 s[6:7], vcc, s[6:7]
	s_waitcnt vmcnt(0) lgkmcnt(0)
	v_fmac_f32_e32 v129, v130, v131
	s_andn2_b64 exec, exec, s[6:7]
	s_cbranch_execnz .LBB62_1225
; %bb.1226:
	s_or_b64 exec, exec, s[6:7]
.LBB62_1227:
	s_or_b64 exec, exec, s[4:5]
	v_mov_b32_e32 v0, 0
	ds_read_b32 v0, v0 offset:248
	s_waitcnt lgkmcnt(0)
	v_mul_f32_e32 v0, v129, v0
	buffer_store_dword v0, off, s[0:3], 0 offset:248
.LBB62_1228:
	s_or_b64 exec, exec, s[8:9]
.LBB62_1229:
	buffer_load_dword v0, off, s[0:3], 0
	buffer_load_dword v127, off, s[0:3], 0 offset:4
	buffer_load_dword v128, off, s[0:3], 0 offset:8
	;; [unrolled: 1-line block ×62, first 2 shown]
	s_waitcnt vmcnt(62)
	global_store_dword v[123:124], v0, off
	s_waitcnt vmcnt(62)
	global_store_dword v[125:126], v127, off
	;; [unrolled: 2-line block ×63, first 2 shown]
.LBB62_1230:
	s_endpgm
	.section	.rodata,"a",@progbits
	.p2align	6, 0x0
	.amdhsa_kernel _ZN9rocsolver6v33100L18trti2_kernel_smallILi63EfPfEEv13rocblas_fill_17rocblas_diagonal_T1_iil
		.amdhsa_group_segment_fixed_size 508
		.amdhsa_private_segment_fixed_size 256
		.amdhsa_kernarg_size 32
		.amdhsa_user_sgpr_count 6
		.amdhsa_user_sgpr_private_segment_buffer 1
		.amdhsa_user_sgpr_dispatch_ptr 0
		.amdhsa_user_sgpr_queue_ptr 0
		.amdhsa_user_sgpr_kernarg_segment_ptr 1
		.amdhsa_user_sgpr_dispatch_id 0
		.amdhsa_user_sgpr_flat_scratch_init 0
		.amdhsa_user_sgpr_private_segment_size 0
		.amdhsa_uses_dynamic_stack 0
		.amdhsa_system_sgpr_private_segment_wavefront_offset 1
		.amdhsa_system_sgpr_workgroup_id_x 1
		.amdhsa_system_sgpr_workgroup_id_y 0
		.amdhsa_system_sgpr_workgroup_id_z 0
		.amdhsa_system_sgpr_workgroup_info 0
		.amdhsa_system_vgpr_workitem_id 0
		.amdhsa_next_free_vgpr 191
		.amdhsa_next_free_sgpr 76
		.amdhsa_reserve_vcc 1
		.amdhsa_reserve_flat_scratch 0
		.amdhsa_float_round_mode_32 0
		.amdhsa_float_round_mode_16_64 0
		.amdhsa_float_denorm_mode_32 3
		.amdhsa_float_denorm_mode_16_64 3
		.amdhsa_dx10_clamp 1
		.amdhsa_ieee_mode 1
		.amdhsa_fp16_overflow 0
		.amdhsa_exception_fp_ieee_invalid_op 0
		.amdhsa_exception_fp_denorm_src 0
		.amdhsa_exception_fp_ieee_div_zero 0
		.amdhsa_exception_fp_ieee_overflow 0
		.amdhsa_exception_fp_ieee_underflow 0
		.amdhsa_exception_fp_ieee_inexact 0
		.amdhsa_exception_int_div_zero 0
	.end_amdhsa_kernel
	.section	.text._ZN9rocsolver6v33100L18trti2_kernel_smallILi63EfPfEEv13rocblas_fill_17rocblas_diagonal_T1_iil,"axG",@progbits,_ZN9rocsolver6v33100L18trti2_kernel_smallILi63EfPfEEv13rocblas_fill_17rocblas_diagonal_T1_iil,comdat
.Lfunc_end62:
	.size	_ZN9rocsolver6v33100L18trti2_kernel_smallILi63EfPfEEv13rocblas_fill_17rocblas_diagonal_T1_iil, .Lfunc_end62-_ZN9rocsolver6v33100L18trti2_kernel_smallILi63EfPfEEv13rocblas_fill_17rocblas_diagonal_T1_iil
                                        ; -- End function
	.set _ZN9rocsolver6v33100L18trti2_kernel_smallILi63EfPfEEv13rocblas_fill_17rocblas_diagonal_T1_iil.num_vgpr, 191
	.set _ZN9rocsolver6v33100L18trti2_kernel_smallILi63EfPfEEv13rocblas_fill_17rocblas_diagonal_T1_iil.num_agpr, 0
	.set _ZN9rocsolver6v33100L18trti2_kernel_smallILi63EfPfEEv13rocblas_fill_17rocblas_diagonal_T1_iil.numbered_sgpr, 76
	.set _ZN9rocsolver6v33100L18trti2_kernel_smallILi63EfPfEEv13rocblas_fill_17rocblas_diagonal_T1_iil.num_named_barrier, 0
	.set _ZN9rocsolver6v33100L18trti2_kernel_smallILi63EfPfEEv13rocblas_fill_17rocblas_diagonal_T1_iil.private_seg_size, 256
	.set _ZN9rocsolver6v33100L18trti2_kernel_smallILi63EfPfEEv13rocblas_fill_17rocblas_diagonal_T1_iil.uses_vcc, 1
	.set _ZN9rocsolver6v33100L18trti2_kernel_smallILi63EfPfEEv13rocblas_fill_17rocblas_diagonal_T1_iil.uses_flat_scratch, 0
	.set _ZN9rocsolver6v33100L18trti2_kernel_smallILi63EfPfEEv13rocblas_fill_17rocblas_diagonal_T1_iil.has_dyn_sized_stack, 0
	.set _ZN9rocsolver6v33100L18trti2_kernel_smallILi63EfPfEEv13rocblas_fill_17rocblas_diagonal_T1_iil.has_recursion, 0
	.set _ZN9rocsolver6v33100L18trti2_kernel_smallILi63EfPfEEv13rocblas_fill_17rocblas_diagonal_T1_iil.has_indirect_call, 0
	.section	.AMDGPU.csdata,"",@progbits
; Kernel info:
; codeLenInByte = 30740
; TotalNumSgprs: 80
; NumVgprs: 191
; ScratchSize: 256
; MemoryBound: 0
; FloatMode: 240
; IeeeMode: 1
; LDSByteSize: 508 bytes/workgroup (compile time only)
; SGPRBlocks: 9
; VGPRBlocks: 47
; NumSGPRsForWavesPerEU: 80
; NumVGPRsForWavesPerEU: 191
; Occupancy: 1
; WaveLimiterHint : 0
; COMPUTE_PGM_RSRC2:SCRATCH_EN: 1
; COMPUTE_PGM_RSRC2:USER_SGPR: 6
; COMPUTE_PGM_RSRC2:TRAP_HANDLER: 0
; COMPUTE_PGM_RSRC2:TGID_X_EN: 1
; COMPUTE_PGM_RSRC2:TGID_Y_EN: 0
; COMPUTE_PGM_RSRC2:TGID_Z_EN: 0
; COMPUTE_PGM_RSRC2:TIDIG_COMP_CNT: 0
	.section	.text._ZN9rocsolver6v33100L18trti2_kernel_smallILi64EfPfEEv13rocblas_fill_17rocblas_diagonal_T1_iil,"axG",@progbits,_ZN9rocsolver6v33100L18trti2_kernel_smallILi64EfPfEEv13rocblas_fill_17rocblas_diagonal_T1_iil,comdat
	.globl	_ZN9rocsolver6v33100L18trti2_kernel_smallILi64EfPfEEv13rocblas_fill_17rocblas_diagonal_T1_iil ; -- Begin function _ZN9rocsolver6v33100L18trti2_kernel_smallILi64EfPfEEv13rocblas_fill_17rocblas_diagonal_T1_iil
	.p2align	8
	.type	_ZN9rocsolver6v33100L18trti2_kernel_smallILi64EfPfEEv13rocblas_fill_17rocblas_diagonal_T1_iil,@function
_ZN9rocsolver6v33100L18trti2_kernel_smallILi64EfPfEEv13rocblas_fill_17rocblas_diagonal_T1_iil: ; @_ZN9rocsolver6v33100L18trti2_kernel_smallILi64EfPfEEv13rocblas_fill_17rocblas_diagonal_T1_iil
; %bb.0:
	s_add_u32 s0, s0, s7
	s_addc_u32 s1, s1, 0
	v_cmp_gt_u32_e32 vcc, 64, v0
	s_and_saveexec_b64 s[8:9], vcc
	s_cbranch_execz .LBB63_1250
; %bb.1:
	s_load_dwordx8 s[8:15], s[4:5], 0x0
	s_ashr_i32 s7, s6, 31
	v_lshlrev_b32_e32 v129, 2, v0
	s_waitcnt lgkmcnt(0)
	s_ashr_i32 s5, s12, 31
	s_mov_b32 s4, s12
	s_mul_hi_u32 s12, s14, s6
	s_mul_i32 s7, s14, s7
	s_add_i32 s7, s12, s7
	s_mul_i32 s12, s15, s6
	s_add_i32 s7, s7, s12
	s_mul_i32 s6, s14, s6
	s_lshl_b64 s[6:7], s[6:7], 2
	s_add_u32 s6, s10, s6
	s_addc_u32 s7, s11, s7
	s_lshl_b64 s[4:5], s[4:5], 2
	s_add_u32 s4, s6, s4
	s_addc_u32 s5, s7, s5
	s_add_i32 s6, s13, s13
	v_add_u32_e32 v3, s6, v0
	v_ashrrev_i32_e32 v4, 31, v3
	v_lshlrev_b64 v[1:2], 2, v[3:4]
	v_add_u32_e32 v5, s13, v3
	v_mov_b32_e32 v4, s5
	v_add_co_u32_e32 v1, vcc, s4, v1
	v_ashrrev_i32_e32 v6, 31, v5
	v_addc_co_u32_e32 v2, vcc, v4, v2, vcc
	v_lshlrev_b64 v[3:4], 2, v[5:6]
	v_add_u32_e32 v7, s13, v5
	v_mov_b32_e32 v6, s5
	v_add_co_u32_e32 v3, vcc, s4, v3
	v_ashrrev_i32_e32 v8, 31, v7
	v_addc_co_u32_e32 v4, vcc, v6, v4, vcc
	;; [unrolled: 6-line block ×8, first 2 shown]
	v_lshlrev_b64 v[17:18], 2, v[19:20]
	v_mov_b32_e32 v21, s5
	v_add_co_u32_e32 v17, vcc, s4, v17
	v_addc_co_u32_e32 v18, vcc, v21, v18, vcc
	v_add_u32_e32 v21, s13, v19
	v_ashrrev_i32_e32 v22, 31, v21
	v_lshlrev_b64 v[19:20], 2, v[21:22]
	v_mov_b32_e32 v23, s5
	v_add_co_u32_e32 v19, vcc, s4, v19
	v_addc_co_u32_e32 v20, vcc, v23, v20, vcc
	v_add_u32_e32 v23, s13, v21
	v_ashrrev_i32_e32 v24, 31, v23
	;; [unrolled: 6-line block ×52, first 2 shown]
	v_lshlrev_b64 v[121:122], 2, v[123:124]
	v_add_u32_e32 v123, s13, v123
	v_ashrrev_i32_e32 v124, 31, v123
	v_mov_b32_e32 v125, s5
	v_add_co_u32_e32 v121, vcc, s4, v121
	v_lshlrev_b64 v[123:124], 2, v[123:124]
	v_addc_co_u32_e32 v122, vcc, v125, v122, vcc
	v_add_co_u32_e32 v123, vcc, s4, v123
	v_addc_co_u32_e32 v124, vcc, v125, v124, vcc
	v_mov_b32_e32 v126, s5
	v_add_co_u32_e32 v125, vcc, s4, v129
	global_load_dword v130, v129, s[4:5]
	s_ashr_i32 s5, s13, 31
	s_mov_b32 s4, s13
	v_addc_co_u32_e32 v126, vcc, 0, v126, vcc
	s_lshl_b64 s[4:5], s[4:5], 2
	v_mov_b32_e32 v128, s5
	v_add_co_u32_e32 v127, vcc, s4, v125
	v_addc_co_u32_e32 v128, vcc, v126, v128, vcc
	global_load_dword v131, v[127:128], off
	global_load_dword v132, v[1:2], off
	global_load_dword v133, v[3:4], off
	global_load_dword v134, v[5:6], off
	global_load_dword v135, v[7:8], off
	global_load_dword v136, v[9:10], off
	global_load_dword v137, v[11:12], off
	global_load_dword v138, v[13:14], off
	global_load_dword v139, v[15:16], off
	global_load_dword v140, v[17:18], off
	global_load_dword v141, v[19:20], off
	global_load_dword v142, v[21:22], off
	global_load_dword v143, v[23:24], off
	global_load_dword v144, v[25:26], off
	global_load_dword v145, v[27:28], off
	global_load_dword v146, v[29:30], off
	global_load_dword v147, v[31:32], off
	global_load_dword v148, v[33:34], off
	global_load_dword v149, v[35:36], off
	global_load_dword v150, v[37:38], off
	global_load_dword v151, v[39:40], off
	global_load_dword v152, v[41:42], off
	global_load_dword v153, v[43:44], off
	global_load_dword v154, v[45:46], off
	global_load_dword v155, v[47:48], off
	global_load_dword v156, v[49:50], off
	global_load_dword v157, v[51:52], off
	global_load_dword v158, v[53:54], off
	global_load_dword v159, v[55:56], off
	global_load_dword v160, v[57:58], off
	global_load_dword v161, v[59:60], off
	global_load_dword v162, v[61:62], off
	global_load_dword v163, v[63:64], off
	global_load_dword v164, v[65:66], off
	global_load_dword v165, v[67:68], off
	global_load_dword v166, v[69:70], off
	global_load_dword v167, v[71:72], off
	global_load_dword v168, v[73:74], off
	global_load_dword v169, v[75:76], off
	global_load_dword v170, v[77:78], off
	global_load_dword v171, v[79:80], off
	global_load_dword v172, v[81:82], off
	global_load_dword v173, v[83:84], off
	global_load_dword v174, v[85:86], off
	global_load_dword v175, v[87:88], off
	global_load_dword v176, v[89:90], off
	global_load_dword v177, v[91:92], off
	global_load_dword v178, v[93:94], off
	global_load_dword v179, v[95:96], off
	global_load_dword v180, v[97:98], off
	global_load_dword v181, v[99:100], off
	global_load_dword v182, v[101:102], off
	global_load_dword v183, v[103:104], off
	global_load_dword v184, v[105:106], off
	global_load_dword v185, v[107:108], off
	global_load_dword v186, v[109:110], off
	global_load_dword v187, v[111:112], off
	global_load_dword v188, v[113:114], off
	global_load_dword v189, v[115:116], off
	global_load_dword v190, v[117:118], off
	global_load_dword v191, v[119:120], off
	global_load_dword v192, v[121:122], off
	global_load_dword v193, v[123:124], off
	s_cmpk_lg_i32 s9, 0x84
	s_waitcnt vmcnt(62)
	buffer_store_dword v130, off, s[0:3], 0
	buffer_store_dword v131, off, s[0:3], 0 offset:4
	s_waitcnt vmcnt(62)
	buffer_store_dword v132, off, s[0:3], 0 offset:8
	buffer_store_dword v133, off, s[0:3], 0 offset:12
	s_waitcnt vmcnt(62)
	buffer_store_dword v134, off, s[0:3], 0 offset:16
	;; [unrolled: 3-line block ×31, first 2 shown]
	buffer_store_dword v193, off, s[0:3], 0 offset:252
	s_movk_i32 s12, 0x84
	s_cselect_b64 s[10:11], -1, 0
	s_cmpk_eq_i32 s9, 0x84
	v_mov_b32_e32 v130, -1.0
	s_cbranch_scc1 .LBB63_3
; %bb.2:
	v_mov_b32_e32 v130, 0
	v_lshl_add_u32 v130, v0, 2, v130
	buffer_load_dword v131, v130, s[0:3], 0 offen
	s_waitcnt vmcnt(0)
	v_div_scale_f32 v132, s[4:5], v131, v131, 1.0
	v_div_scale_f32 v133, vcc, 1.0, v131, 1.0
	v_rcp_f32_e32 v134, v132
	v_fma_f32 v135, -v132, v134, 1.0
	v_fmac_f32_e32 v134, v135, v134
	v_mul_f32_e32 v135, v133, v134
	v_fma_f32 v136, -v132, v135, v133
	v_fmac_f32_e32 v135, v136, v134
	v_fma_f32 v132, -v132, v135, v133
	v_div_fmas_f32 v132, v132, v134, v135
	v_div_fixup_f32 v131, v132, v131, 1.0
	buffer_store_dword v131, v130, s[0:3], 0 offen
	v_xor_b32_e32 v130, 0x80000000, v131
.LBB63_3:
	ds_write_b32 v129, v130
	s_cmpk_eq_i32 s8, 0x79
	v_or_b32_e32 v130, 0x100, v129
	v_mov_b32_e32 v131, v129
	s_mov_b64 s[4:5], -1
	s_cbranch_scc1 .LBB63_627
; %bb.4:
	buffer_load_dword v132, off, s[0:3], 0 offset:248
	s_movk_i32 s30, 0x44
	s_movk_i32 s31, 0x48
	;; [unrolled: 1-line block ×44, first 2 shown]
	v_cmp_eq_u32_e64 s[4:5], 63, v0
	s_waitcnt vmcnt(0)
	ds_write_b32 v130, v132
	s_waitcnt lgkmcnt(0)
	; wave barrier
	s_and_saveexec_b64 s[6:7], s[4:5]
	s_cbranch_execz .LBB63_10
; %bb.5:
	s_and_b64 vcc, exec, s[10:11]
	s_cbranch_vccz .LBB63_7
; %bb.6:
	buffer_load_dword v132, v131, s[0:3], 0 offen
	ds_read_b32 v133, v130
	s_waitcnt vmcnt(0) lgkmcnt(0)
	v_mul_f32_e32 v132, v132, v133
	s_cbranch_execz .LBB63_8
	s_branch .LBB63_9
.LBB63_7:
                                        ; implicit-def: $vgpr132
.LBB63_8:
	ds_read_b32 v132, v130
.LBB63_9:
	v_mov_b32_e32 v133, 0
	ds_read_b32 v133, v133 offset:248
	s_waitcnt lgkmcnt(0)
	v_mul_f32_e32 v132, v132, v133
	buffer_store_dword v132, off, s[0:3], 0 offset:248
.LBB63_10:
	s_or_b64 exec, exec, s[6:7]
	buffer_load_dword v132, off, s[0:3], 0 offset:244
	s_or_b32 s14, 0, 4
	s_or_b32 s15, 0, 8
	;; [unrolled: 1-line block ×3, first 2 shown]
	s_mov_b32 s17, 16
	s_mov_b32 s18, 20
	;; [unrolled: 1-line block ×15, first 2 shown]
	v_cmp_lt_u32_e64 s[6:7], 61, v0
	s_waitcnt vmcnt(0)
	ds_write_b32 v130, v132
	s_waitcnt lgkmcnt(0)
	; wave barrier
	s_and_saveexec_b64 s[8:9], s[6:7]
	s_cbranch_execz .LBB63_16
; %bb.11:
	s_andn2_b64 vcc, exec, s[10:11]
	s_cbranch_vccnz .LBB63_13
; %bb.12:
	buffer_load_dword v132, v131, s[0:3], 0 offen
	ds_read_b32 v133, v130
	s_waitcnt vmcnt(0) lgkmcnt(0)
	v_mul_f32_e32 v132, v132, v133
	s_cbranch_execz .LBB63_14
	s_branch .LBB63_15
.LBB63_13:
                                        ; implicit-def: $vgpr132
.LBB63_14:
	ds_read_b32 v132, v130
.LBB63_15:
	buffer_load_dword v135, off, s[0:3], 0 offset:248
	v_mov_b32_e32 v133, 0
	ds_read2_b32 v[133:134], v133 offset0:61 offset1:126
	s_waitcnt vmcnt(0) lgkmcnt(0)
	v_fma_f32 v134, v135, v134, v132
	v_cndmask_b32_e64 v132, v132, v134, s[4:5]
	v_mul_f32_e32 v132, v132, v133
	buffer_store_dword v132, off, s[0:3], 0 offset:244
.LBB63_16:
	s_or_b64 exec, exec, s[8:9]
	buffer_load_dword v132, off, s[0:3], 0 offset:240
	v_cmp_lt_u32_e64 s[4:5], 60, v0
	s_waitcnt vmcnt(0)
	ds_write_b32 v130, v132
	s_waitcnt lgkmcnt(0)
	; wave barrier
	s_and_saveexec_b64 s[8:9], s[4:5]
	s_cbranch_execz .LBB63_26
; %bb.17:
	s_andn2_b64 vcc, exec, s[10:11]
	s_cbranch_vccnz .LBB63_19
; %bb.18:
	buffer_load_dword v132, v131, s[0:3], 0 offen
	ds_read_b32 v133, v130
	s_waitcnt vmcnt(0) lgkmcnt(0)
	v_mul_f32_e32 v132, v132, v133
	s_cbranch_execz .LBB63_20
	s_branch .LBB63_21
.LBB63_19:
                                        ; implicit-def: $vgpr132
.LBB63_20:
	ds_read_b32 v132, v130
.LBB63_21:
	s_and_saveexec_b64 s[12:13], s[6:7]
	s_cbranch_execz .LBB63_25
; %bb.22:
	v_subrev_u32_e32 v133, 61, v0
	s_movk_i32 s76, 0x1f4
	s_mov_b64 s[6:7], 0
.LBB63_23:                              ; =>This Inner Loop Header: Depth=1
	v_mov_b32_e32 v134, s75
	buffer_load_dword v134, v134, s[0:3], 0 offen
	v_mov_b32_e32 v135, s76
	ds_read_b32 v135, v135
	v_add_u32_e32 v133, -1, v133
	s_add_i32 s76, s76, 4
	s_add_i32 s75, s75, 4
	v_cmp_eq_u32_e32 vcc, 0, v133
	s_or_b64 s[6:7], vcc, s[6:7]
	s_waitcnt vmcnt(0) lgkmcnt(0)
	v_fmac_f32_e32 v132, v134, v135
	s_andn2_b64 exec, exec, s[6:7]
	s_cbranch_execnz .LBB63_23
; %bb.24:
	s_or_b64 exec, exec, s[6:7]
.LBB63_25:
	s_or_b64 exec, exec, s[12:13]
	v_mov_b32_e32 v133, 0
	ds_read_b32 v133, v133 offset:240
	s_waitcnt lgkmcnt(0)
	v_mul_f32_e32 v132, v132, v133
	buffer_store_dword v132, off, s[0:3], 0 offset:240
.LBB63_26:
	s_or_b64 exec, exec, s[8:9]
	buffer_load_dword v132, off, s[0:3], 0 offset:236
	v_cmp_lt_u32_e64 s[6:7], 59, v0
	s_waitcnt vmcnt(0)
	ds_write_b32 v130, v132
	s_waitcnt lgkmcnt(0)
	; wave barrier
	s_and_saveexec_b64 s[8:9], s[6:7]
	s_cbranch_execz .LBB63_36
; %bb.27:
	s_andn2_b64 vcc, exec, s[10:11]
	s_cbranch_vccnz .LBB63_29
; %bb.28:
	buffer_load_dword v132, v131, s[0:3], 0 offen
	ds_read_b32 v133, v130
	s_waitcnt vmcnt(0) lgkmcnt(0)
	v_mul_f32_e32 v132, v132, v133
	s_cbranch_execz .LBB63_30
	s_branch .LBB63_31
.LBB63_29:
                                        ; implicit-def: $vgpr132
.LBB63_30:
	ds_read_b32 v132, v130
.LBB63_31:
	s_and_saveexec_b64 s[12:13], s[4:5]
	s_cbranch_execz .LBB63_35
; %bb.32:
	v_subrev_u32_e32 v133, 60, v0
	s_movk_i32 s75, 0x1f0
	s_mov_b64 s[4:5], 0
.LBB63_33:                              ; =>This Inner Loop Header: Depth=1
	v_mov_b32_e32 v134, s74
	buffer_load_dword v134, v134, s[0:3], 0 offen
	v_mov_b32_e32 v135, s75
	ds_read_b32 v135, v135
	v_add_u32_e32 v133, -1, v133
	s_add_i32 s75, s75, 4
	s_add_i32 s74, s74, 4
	v_cmp_eq_u32_e32 vcc, 0, v133
	s_or_b64 s[4:5], vcc, s[4:5]
	s_waitcnt vmcnt(0) lgkmcnt(0)
	v_fmac_f32_e32 v132, v134, v135
	s_andn2_b64 exec, exec, s[4:5]
	s_cbranch_execnz .LBB63_33
; %bb.34:
	s_or_b64 exec, exec, s[4:5]
.LBB63_35:
	s_or_b64 exec, exec, s[12:13]
	v_mov_b32_e32 v133, 0
	ds_read_b32 v133, v133 offset:236
	s_waitcnt lgkmcnt(0)
	v_mul_f32_e32 v132, v132, v133
	buffer_store_dword v132, off, s[0:3], 0 offset:236
.LBB63_36:
	;; [unrolled: 54-line block ×8, first 2 shown]
	s_or_b64 exec, exec, s[8:9]
	buffer_load_dword v132, off, s[0:3], 0 offset:208
	v_cmp_lt_u32_e64 s[4:5], 52, v0
	s_waitcnt vmcnt(0)
	ds_write_b32 v130, v132
	s_waitcnt lgkmcnt(0)
	; wave barrier
	s_and_saveexec_b64 s[8:9], s[4:5]
	s_cbranch_execz .LBB63_106
; %bb.97:
	s_andn2_b64 vcc, exec, s[10:11]
	s_cbranch_vccnz .LBB63_99
; %bb.98:
	buffer_load_dword v132, v131, s[0:3], 0 offen
	ds_read_b32 v133, v130
	s_waitcnt vmcnt(0) lgkmcnt(0)
	v_mul_f32_e32 v132, v132, v133
	s_cbranch_execz .LBB63_100
	s_branch .LBB63_101
.LBB63_99:
                                        ; implicit-def: $vgpr132
.LBB63_100:
	ds_read_b32 v132, v130
.LBB63_101:
	s_and_saveexec_b64 s[12:13], s[6:7]
	s_cbranch_execz .LBB63_105
; %bb.102:
	v_subrev_u32_e32 v133, 53, v0
	s_movk_i32 s68, 0x1d4
	s_mov_b64 s[6:7], 0
.LBB63_103:                             ; =>This Inner Loop Header: Depth=1
	v_mov_b32_e32 v134, s67
	buffer_load_dword v134, v134, s[0:3], 0 offen
	v_mov_b32_e32 v135, s68
	ds_read_b32 v135, v135
	v_add_u32_e32 v133, -1, v133
	s_add_i32 s68, s68, 4
	s_add_i32 s67, s67, 4
	v_cmp_eq_u32_e32 vcc, 0, v133
	s_or_b64 s[6:7], vcc, s[6:7]
	s_waitcnt vmcnt(0) lgkmcnt(0)
	v_fmac_f32_e32 v132, v134, v135
	s_andn2_b64 exec, exec, s[6:7]
	s_cbranch_execnz .LBB63_103
; %bb.104:
	s_or_b64 exec, exec, s[6:7]
.LBB63_105:
	s_or_b64 exec, exec, s[12:13]
	v_mov_b32_e32 v133, 0
	ds_read_b32 v133, v133 offset:208
	s_waitcnt lgkmcnt(0)
	v_mul_f32_e32 v132, v132, v133
	buffer_store_dword v132, off, s[0:3], 0 offset:208
.LBB63_106:
	s_or_b64 exec, exec, s[8:9]
	buffer_load_dword v132, off, s[0:3], 0 offset:204
	v_cmp_lt_u32_e64 s[6:7], 51, v0
	s_waitcnt vmcnt(0)
	ds_write_b32 v130, v132
	s_waitcnt lgkmcnt(0)
	; wave barrier
	s_and_saveexec_b64 s[8:9], s[6:7]
	s_cbranch_execz .LBB63_116
; %bb.107:
	s_andn2_b64 vcc, exec, s[10:11]
	s_cbranch_vccnz .LBB63_109
; %bb.108:
	buffer_load_dword v132, v131, s[0:3], 0 offen
	ds_read_b32 v133, v130
	s_waitcnt vmcnt(0) lgkmcnt(0)
	v_mul_f32_e32 v132, v132, v133
	s_cbranch_execz .LBB63_110
	s_branch .LBB63_111
.LBB63_109:
                                        ; implicit-def: $vgpr132
.LBB63_110:
	ds_read_b32 v132, v130
.LBB63_111:
	s_and_saveexec_b64 s[12:13], s[4:5]
	s_cbranch_execz .LBB63_115
; %bb.112:
	v_subrev_u32_e32 v133, 52, v0
	s_movk_i32 s67, 0x1d0
	s_mov_b64 s[4:5], 0
.LBB63_113:                             ; =>This Inner Loop Header: Depth=1
	v_mov_b32_e32 v134, s66
	buffer_load_dword v134, v134, s[0:3], 0 offen
	v_mov_b32_e32 v135, s67
	ds_read_b32 v135, v135
	v_add_u32_e32 v133, -1, v133
	s_add_i32 s67, s67, 4
	s_add_i32 s66, s66, 4
	v_cmp_eq_u32_e32 vcc, 0, v133
	s_or_b64 s[4:5], vcc, s[4:5]
	s_waitcnt vmcnt(0) lgkmcnt(0)
	v_fmac_f32_e32 v132, v134, v135
	s_andn2_b64 exec, exec, s[4:5]
	s_cbranch_execnz .LBB63_113
; %bb.114:
	s_or_b64 exec, exec, s[4:5]
.LBB63_115:
	s_or_b64 exec, exec, s[12:13]
	v_mov_b32_e32 v133, 0
	ds_read_b32 v133, v133 offset:204
	s_waitcnt lgkmcnt(0)
	v_mul_f32_e32 v132, v132, v133
	buffer_store_dword v132, off, s[0:3], 0 offset:204
.LBB63_116:
	;; [unrolled: 54-line block ×37, first 2 shown]
	s_or_b64 exec, exec, s[8:9]
	buffer_load_dword v132, off, s[0:3], 0 offset:60
	v_cmp_lt_u32_e64 s[6:7], 15, v0
	s_waitcnt vmcnt(0)
	ds_write_b32 v130, v132
	s_waitcnt lgkmcnt(0)
	; wave barrier
	s_and_saveexec_b64 s[8:9], s[6:7]
	s_cbranch_execz .LBB63_476
; %bb.467:
	s_andn2_b64 vcc, exec, s[10:11]
	s_cbranch_vccnz .LBB63_469
; %bb.468:
	buffer_load_dword v132, v131, s[0:3], 0 offen
	ds_read_b32 v133, v130
	s_waitcnt vmcnt(0) lgkmcnt(0)
	v_mul_f32_e32 v132, v132, v133
	s_cbranch_execz .LBB63_470
	s_branch .LBB63_471
.LBB63_469:
                                        ; implicit-def: $vgpr132
.LBB63_470:
	ds_read_b32 v132, v130
.LBB63_471:
	s_and_saveexec_b64 s[12:13], s[4:5]
	s_cbranch_execz .LBB63_475
; %bb.472:
	v_add_u32_e32 v133, -16, v0
	s_movk_i32 s30, 0x140
	s_mov_b64 s[4:5], 0
.LBB63_473:                             ; =>This Inner Loop Header: Depth=1
	v_mov_b32_e32 v134, s29
	buffer_load_dword v134, v134, s[0:3], 0 offen
	v_mov_b32_e32 v135, s30
	ds_read_b32 v135, v135
	v_add_u32_e32 v133, -1, v133
	s_add_i32 s30, s30, 4
	s_add_i32 s29, s29, 4
	v_cmp_eq_u32_e32 vcc, 0, v133
	s_or_b64 s[4:5], vcc, s[4:5]
	s_waitcnt vmcnt(0) lgkmcnt(0)
	v_fmac_f32_e32 v132, v134, v135
	s_andn2_b64 exec, exec, s[4:5]
	s_cbranch_execnz .LBB63_473
; %bb.474:
	s_or_b64 exec, exec, s[4:5]
.LBB63_475:
	s_or_b64 exec, exec, s[12:13]
	v_mov_b32_e32 v133, 0
	ds_read_b32 v133, v133 offset:60
	s_waitcnt lgkmcnt(0)
	v_mul_f32_e32 v132, v132, v133
	buffer_store_dword v132, off, s[0:3], 0 offset:60
.LBB63_476:
	s_or_b64 exec, exec, s[8:9]
	buffer_load_dword v132, off, s[0:3], 0 offset:56
	v_cmp_lt_u32_e64 s[4:5], 14, v0
	s_waitcnt vmcnt(0)
	ds_write_b32 v130, v132
	s_waitcnt lgkmcnt(0)
	; wave barrier
	s_and_saveexec_b64 s[8:9], s[4:5]
	s_cbranch_execz .LBB63_486
; %bb.477:
	s_andn2_b64 vcc, exec, s[10:11]
	s_cbranch_vccnz .LBB63_479
; %bb.478:
	buffer_load_dword v132, v131, s[0:3], 0 offen
	ds_read_b32 v133, v130
	s_waitcnt vmcnt(0) lgkmcnt(0)
	v_mul_f32_e32 v132, v132, v133
	s_cbranch_execz .LBB63_480
	s_branch .LBB63_481
.LBB63_479:
                                        ; implicit-def: $vgpr132
.LBB63_480:
	ds_read_b32 v132, v130
.LBB63_481:
	s_and_saveexec_b64 s[12:13], s[6:7]
	s_cbranch_execz .LBB63_485
; %bb.482:
	v_add_u32_e32 v133, -15, v0
	s_movk_i32 s29, 0x13c
	s_mov_b64 s[6:7], 0
.LBB63_483:                             ; =>This Inner Loop Header: Depth=1
	v_mov_b32_e32 v134, s28
	buffer_load_dword v134, v134, s[0:3], 0 offen
	v_mov_b32_e32 v135, s29
	ds_read_b32 v135, v135
	v_add_u32_e32 v133, -1, v133
	s_add_i32 s29, s29, 4
	s_add_i32 s28, s28, 4
	v_cmp_eq_u32_e32 vcc, 0, v133
	s_or_b64 s[6:7], vcc, s[6:7]
	s_waitcnt vmcnt(0) lgkmcnt(0)
	v_fmac_f32_e32 v132, v134, v135
	s_andn2_b64 exec, exec, s[6:7]
	s_cbranch_execnz .LBB63_483
; %bb.484:
	s_or_b64 exec, exec, s[6:7]
.LBB63_485:
	s_or_b64 exec, exec, s[12:13]
	v_mov_b32_e32 v133, 0
	ds_read_b32 v133, v133 offset:56
	s_waitcnt lgkmcnt(0)
	v_mul_f32_e32 v132, v132, v133
	buffer_store_dword v132, off, s[0:3], 0 offset:56
.LBB63_486:
	;; [unrolled: 54-line block ×15, first 2 shown]
	s_or_b64 exec, exec, s[8:9]
	buffer_load_dword v132, off, s[0:3], 0
	v_cmp_ne_u32_e32 vcc, 0, v0
	s_waitcnt vmcnt(0)
	ds_write_b32 v130, v132
	s_waitcnt lgkmcnt(0)
	; wave barrier
	s_and_saveexec_b64 s[4:5], vcc
	s_cbranch_execz .LBB63_626
; %bb.617:
	s_andn2_b64 vcc, exec, s[10:11]
	s_cbranch_vccnz .LBB63_619
; %bb.618:
	buffer_load_dword v132, v131, s[0:3], 0 offen
	ds_read_b32 v133, v130
	s_waitcnt vmcnt(0) lgkmcnt(0)
	v_mul_f32_e32 v132, v132, v133
	s_cbranch_execz .LBB63_620
	s_branch .LBB63_621
.LBB63_619:
                                        ; implicit-def: $vgpr132
.LBB63_620:
	ds_read_b32 v132, v130
.LBB63_621:
	s_and_saveexec_b64 s[8:9], s[6:7]
	s_cbranch_execz .LBB63_625
; %bb.622:
	v_add_u32_e32 v133, -1, v0
	s_movk_i32 s12, 0x104
	s_mov_b64 s[6:7], 0
.LBB63_623:                             ; =>This Inner Loop Header: Depth=1
	v_mov_b32_e32 v134, s14
	buffer_load_dword v134, v134, s[0:3], 0 offen
	v_mov_b32_e32 v135, s12
	ds_read_b32 v135, v135
	v_add_u32_e32 v133, -1, v133
	s_add_i32 s12, s12, 4
	s_add_i32 s14, s14, 4
	v_cmp_eq_u32_e32 vcc, 0, v133
	s_or_b64 s[6:7], vcc, s[6:7]
	s_waitcnt vmcnt(0) lgkmcnt(0)
	v_fmac_f32_e32 v132, v134, v135
	s_andn2_b64 exec, exec, s[6:7]
	s_cbranch_execnz .LBB63_623
; %bb.624:
	s_or_b64 exec, exec, s[6:7]
.LBB63_625:
	s_or_b64 exec, exec, s[8:9]
	v_mov_b32_e32 v133, 0
	ds_read_b32 v133, v133
	s_waitcnt lgkmcnt(0)
	v_mul_f32_e32 v132, v132, v133
	buffer_store_dword v132, off, s[0:3], 0
.LBB63_626:
	s_or_b64 exec, exec, s[4:5]
	s_mov_b64 s[4:5], 0
.LBB63_627:
	s_and_b64 vcc, exec, s[4:5]
	s_cbranch_vccz .LBB63_1249
; %bb.628:
	buffer_load_dword v132, off, s[0:3], 0 offset:4
	v_cmp_eq_u32_e64 s[6:7], 0, v0
	s_waitcnt vmcnt(0)
	ds_write_b32 v130, v132
	s_waitcnt lgkmcnt(0)
	; wave barrier
	s_and_saveexec_b64 s[4:5], s[6:7]
	s_cbranch_execz .LBB63_634
; %bb.629:
	s_and_b64 vcc, exec, s[10:11]
	s_cbranch_vccz .LBB63_631
; %bb.630:
	buffer_load_dword v132, v131, s[0:3], 0 offen
	ds_read_b32 v133, v130
	s_waitcnt vmcnt(0) lgkmcnt(0)
	v_mul_f32_e32 v132, v132, v133
	s_cbranch_execz .LBB63_632
	s_branch .LBB63_633
.LBB63_631:
                                        ; implicit-def: $vgpr132
.LBB63_632:
	ds_read_b32 v132, v130
.LBB63_633:
	v_mov_b32_e32 v133, 0
	ds_read_b32 v133, v133 offset:4
	s_waitcnt lgkmcnt(0)
	v_mul_f32_e32 v132, v132, v133
	buffer_store_dword v132, off, s[0:3], 0 offset:4
.LBB63_634:
	s_or_b64 exec, exec, s[4:5]
	buffer_load_dword v132, off, s[0:3], 0 offset:8
	v_cndmask_b32_e64 v133, 0, 1, s[10:11]
	v_cmp_gt_u32_e32 vcc, 2, v0
	v_cmp_ne_u32_e64 s[4:5], 1, v133
	s_waitcnt vmcnt(0)
	ds_write_b32 v130, v132
	s_waitcnt lgkmcnt(0)
	; wave barrier
	s_and_saveexec_b64 s[8:9], vcc
	s_cbranch_execz .LBB63_640
; %bb.635:
	s_and_b64 vcc, exec, s[4:5]
	s_cbranch_vccnz .LBB63_637
; %bb.636:
	buffer_load_dword v132, v131, s[0:3], 0 offen
	ds_read_b32 v133, v130
	s_waitcnt vmcnt(0) lgkmcnt(0)
	v_mul_f32_e32 v132, v132, v133
	s_cbranch_execz .LBB63_638
	s_branch .LBB63_639
.LBB63_637:
                                        ; implicit-def: $vgpr132
.LBB63_638:
	ds_read_b32 v132, v130
.LBB63_639:
	buffer_load_dword v135, off, s[0:3], 0 offset:4
	v_mov_b32_e32 v133, 0
	ds_read2_b32 v[133:134], v133 offset0:2 offset1:65
	s_waitcnt vmcnt(0) lgkmcnt(0)
	v_fma_f32 v134, v135, v134, v132
	v_cndmask_b32_e64 v132, v132, v134, s[6:7]
	v_mul_f32_e32 v132, v132, v133
	buffer_store_dword v132, off, s[0:3], 0 offset:8
.LBB63_640:
	s_or_b64 exec, exec, s[8:9]
	buffer_load_dword v132, off, s[0:3], 0 offset:12
	v_cmp_gt_u32_e32 vcc, 3, v0
	s_waitcnt vmcnt(0)
	ds_write_b32 v130, v132
	s_waitcnt lgkmcnt(0)
	; wave barrier
	s_and_saveexec_b64 s[8:9], vcc
	s_cbranch_execz .LBB63_648
; %bb.641:
	s_and_b64 vcc, exec, s[4:5]
	s_cbranch_vccnz .LBB63_643
; %bb.642:
	buffer_load_dword v132, v131, s[0:3], 0 offen
	ds_read_b32 v133, v130
	s_waitcnt vmcnt(0) lgkmcnt(0)
	v_mul_f32_e32 v132, v132, v133
	s_cbranch_execz .LBB63_644
	s_branch .LBB63_645
.LBB63_643:
                                        ; implicit-def: $vgpr132
.LBB63_644:
	ds_read_b32 v132, v130
.LBB63_645:
	v_cmp_ne_u32_e32 vcc, 2, v0
	s_and_saveexec_b64 s[10:11], vcc
	s_cbranch_execz .LBB63_647
; %bb.646:
	buffer_load_dword v133, v131, s[0:3], 0 offen offset:4
	buffer_load_dword v134, off, s[0:3], 0 offset:8
	v_mov_b32_e32 v135, 0
	ds_read_b32 v136, v130 offset:4
	ds_read_b32 v135, v135 offset:264
	s_waitcnt vmcnt(1) lgkmcnt(1)
	v_fmac_f32_e32 v132, v133, v136
	s_waitcnt vmcnt(0) lgkmcnt(0)
	v_fma_f32 v133, v134, v135, v132
	v_cndmask_b32_e64 v132, v132, v133, s[6:7]
.LBB63_647:
	s_or_b64 exec, exec, s[10:11]
	v_mov_b32_e32 v133, 0
	ds_read_b32 v133, v133 offset:12
	s_waitcnt lgkmcnt(0)
	v_mul_f32_e32 v132, v132, v133
	buffer_store_dword v132, off, s[0:3], 0 offset:12
.LBB63_648:
	s_or_b64 exec, exec, s[8:9]
	buffer_load_dword v132, off, s[0:3], 0 offset:16
	v_cmp_gt_u32_e32 vcc, 4, v0
	s_waitcnt vmcnt(0)
	ds_write_b32 v130, v132
	s_waitcnt lgkmcnt(0)
	; wave barrier
	s_and_saveexec_b64 s[6:7], vcc
	s_cbranch_execz .LBB63_658
; %bb.649:
	s_and_b64 vcc, exec, s[4:5]
	s_cbranch_vccnz .LBB63_651
; %bb.650:
	buffer_load_dword v132, v131, s[0:3], 0 offen
	ds_read_b32 v133, v130
	s_waitcnt vmcnt(0) lgkmcnt(0)
	v_mul_f32_e32 v132, v132, v133
	s_cbranch_execz .LBB63_652
	s_branch .LBB63_653
.LBB63_651:
                                        ; implicit-def: $vgpr132
.LBB63_652:
	ds_read_b32 v132, v130
.LBB63_653:
	v_cmp_ne_u32_e32 vcc, 3, v0
	s_and_saveexec_b64 s[8:9], vcc
	s_cbranch_execz .LBB63_657
; %bb.654:
	s_mov_b32 s10, 0
	v_add_u32_e32 v133, 0x104, v129
	v_add3_u32 v134, v129, s10, 4
	s_mov_b64 s[10:11], 0
	v_mov_b32_e32 v135, v0
.LBB63_655:                             ; =>This Inner Loop Header: Depth=1
	buffer_load_dword v136, v134, s[0:3], 0 offen
	ds_read_b32 v137, v133
	v_add_u32_e32 v135, 1, v135
	v_cmp_lt_u32_e32 vcc, 2, v135
	v_add_u32_e32 v133, 4, v133
	v_add_u32_e32 v134, 4, v134
	s_or_b64 s[10:11], vcc, s[10:11]
	s_waitcnt vmcnt(0) lgkmcnt(0)
	v_fmac_f32_e32 v132, v136, v137
	s_andn2_b64 exec, exec, s[10:11]
	s_cbranch_execnz .LBB63_655
; %bb.656:
	s_or_b64 exec, exec, s[10:11]
.LBB63_657:
	s_or_b64 exec, exec, s[8:9]
	v_mov_b32_e32 v133, 0
	ds_read_b32 v133, v133 offset:16
	s_waitcnt lgkmcnt(0)
	v_mul_f32_e32 v132, v132, v133
	buffer_store_dword v132, off, s[0:3], 0 offset:16
.LBB63_658:
	s_or_b64 exec, exec, s[6:7]
	buffer_load_dword v132, off, s[0:3], 0 offset:20
	v_cmp_gt_u32_e32 vcc, 5, v0
	s_waitcnt vmcnt(0)
	ds_write_b32 v130, v132
	s_waitcnt lgkmcnt(0)
	; wave barrier
	s_and_saveexec_b64 s[6:7], vcc
	s_cbranch_execz .LBB63_668
; %bb.659:
	s_and_b64 vcc, exec, s[4:5]
	s_cbranch_vccnz .LBB63_661
; %bb.660:
	buffer_load_dword v132, v131, s[0:3], 0 offen
	ds_read_b32 v133, v130
	s_waitcnt vmcnt(0) lgkmcnt(0)
	v_mul_f32_e32 v132, v132, v133
	s_cbranch_execz .LBB63_662
	s_branch .LBB63_663
.LBB63_661:
                                        ; implicit-def: $vgpr132
.LBB63_662:
	ds_read_b32 v132, v130
.LBB63_663:
	v_cmp_ne_u32_e32 vcc, 4, v0
	s_and_saveexec_b64 s[8:9], vcc
	s_cbranch_execz .LBB63_667
; %bb.664:
	s_mov_b32 s10, 0
	v_add_u32_e32 v133, 0x104, v129
	v_add3_u32 v134, v129, s10, 4
	s_mov_b64 s[10:11], 0
	v_mov_b32_e32 v135, v0
.LBB63_665:                             ; =>This Inner Loop Header: Depth=1
	buffer_load_dword v136, v134, s[0:3], 0 offen
	ds_read_b32 v137, v133
	v_add_u32_e32 v135, 1, v135
	v_cmp_lt_u32_e32 vcc, 3, v135
	v_add_u32_e32 v133, 4, v133
	v_add_u32_e32 v134, 4, v134
	s_or_b64 s[10:11], vcc, s[10:11]
	s_waitcnt vmcnt(0) lgkmcnt(0)
	v_fmac_f32_e32 v132, v136, v137
	s_andn2_b64 exec, exec, s[10:11]
	s_cbranch_execnz .LBB63_665
; %bb.666:
	s_or_b64 exec, exec, s[10:11]
.LBB63_667:
	s_or_b64 exec, exec, s[8:9]
	v_mov_b32_e32 v133, 0
	ds_read_b32 v133, v133 offset:20
	s_waitcnt lgkmcnt(0)
	v_mul_f32_e32 v132, v132, v133
	buffer_store_dword v132, off, s[0:3], 0 offset:20
.LBB63_668:
	;; [unrolled: 55-line block ×35, first 2 shown]
	s_or_b64 exec, exec, s[6:7]
	buffer_load_dword v132, off, s[0:3], 0 offset:156
	v_cmp_gt_u32_e32 vcc, 39, v0
	s_waitcnt vmcnt(0)
	ds_write_b32 v130, v132
	s_waitcnt lgkmcnt(0)
	; wave barrier
	s_and_saveexec_b64 s[6:7], vcc
	s_cbranch_execz .LBB63_1008
; %bb.999:
	s_and_b64 vcc, exec, s[4:5]
	s_cbranch_vccnz .LBB63_1001
; %bb.1000:
	buffer_load_dword v132, v131, s[0:3], 0 offen
	ds_read_b32 v133, v130
	s_waitcnt vmcnt(0) lgkmcnt(0)
	v_mul_f32_e32 v132, v132, v133
	s_cbranch_execz .LBB63_1002
	s_branch .LBB63_1003
.LBB63_1001:
                                        ; implicit-def: $vgpr132
.LBB63_1002:
	ds_read_b32 v132, v130
.LBB63_1003:
	v_cmp_ne_u32_e32 vcc, 38, v0
	s_and_saveexec_b64 s[8:9], vcc
	s_cbranch_execz .LBB63_1007
; %bb.1004:
	s_mov_b32 s10, 0
	v_add_u32_e32 v133, 0x104, v129
	v_add3_u32 v134, v129, s10, 4
	s_mov_b64 s[10:11], 0
	v_mov_b32_e32 v135, v0
.LBB63_1005:                            ; =>This Inner Loop Header: Depth=1
	buffer_load_dword v136, v134, s[0:3], 0 offen
	ds_read_b32 v137, v133
	v_add_u32_e32 v135, 1, v135
	v_cmp_lt_u32_e32 vcc, 37, v135
	v_add_u32_e32 v133, 4, v133
	v_add_u32_e32 v134, 4, v134
	s_or_b64 s[10:11], vcc, s[10:11]
	s_waitcnt vmcnt(0) lgkmcnt(0)
	v_fmac_f32_e32 v132, v136, v137
	s_andn2_b64 exec, exec, s[10:11]
	s_cbranch_execnz .LBB63_1005
; %bb.1006:
	s_or_b64 exec, exec, s[10:11]
.LBB63_1007:
	s_or_b64 exec, exec, s[8:9]
	v_mov_b32_e32 v133, 0
	ds_read_b32 v133, v133 offset:156
	s_waitcnt lgkmcnt(0)
	v_mul_f32_e32 v132, v132, v133
	buffer_store_dword v132, off, s[0:3], 0 offset:156
.LBB63_1008:
	s_or_b64 exec, exec, s[6:7]
	buffer_load_dword v132, off, s[0:3], 0 offset:160
	v_cmp_gt_u32_e32 vcc, 40, v0
	s_waitcnt vmcnt(0)
	ds_write_b32 v130, v132
	s_waitcnt lgkmcnt(0)
	; wave barrier
	s_and_saveexec_b64 s[6:7], vcc
	s_cbranch_execz .LBB63_1018
; %bb.1009:
	s_and_b64 vcc, exec, s[4:5]
	s_cbranch_vccnz .LBB63_1011
; %bb.1010:
	buffer_load_dword v132, v131, s[0:3], 0 offen
	ds_read_b32 v133, v130
	s_waitcnt vmcnt(0) lgkmcnt(0)
	v_mul_f32_e32 v132, v132, v133
	s_cbranch_execz .LBB63_1012
	s_branch .LBB63_1013
.LBB63_1011:
                                        ; implicit-def: $vgpr132
.LBB63_1012:
	ds_read_b32 v132, v130
.LBB63_1013:
	v_cmp_ne_u32_e32 vcc, 39, v0
	s_and_saveexec_b64 s[8:9], vcc
	s_cbranch_execz .LBB63_1017
; %bb.1014:
	s_mov_b32 s10, 0
	v_add_u32_e32 v133, 0x104, v129
	v_add3_u32 v134, v129, s10, 4
	s_mov_b64 s[10:11], 0
	v_mov_b32_e32 v135, v0
.LBB63_1015:                            ; =>This Inner Loop Header: Depth=1
	buffer_load_dword v136, v134, s[0:3], 0 offen
	ds_read_b32 v137, v133
	v_add_u32_e32 v135, 1, v135
	v_cmp_lt_u32_e32 vcc, 38, v135
	v_add_u32_e32 v133, 4, v133
	v_add_u32_e32 v134, 4, v134
	s_or_b64 s[10:11], vcc, s[10:11]
	s_waitcnt vmcnt(0) lgkmcnt(0)
	v_fmac_f32_e32 v132, v136, v137
	s_andn2_b64 exec, exec, s[10:11]
	s_cbranch_execnz .LBB63_1015
; %bb.1016:
	s_or_b64 exec, exec, s[10:11]
.LBB63_1017:
	s_or_b64 exec, exec, s[8:9]
	v_mov_b32_e32 v133, 0
	ds_read_b32 v133, v133 offset:160
	s_waitcnt lgkmcnt(0)
	v_mul_f32_e32 v132, v132, v133
	buffer_store_dword v132, off, s[0:3], 0 offset:160
.LBB63_1018:
	;; [unrolled: 55-line block ×23, first 2 shown]
	s_or_b64 exec, exec, s[6:7]
	buffer_load_dword v132, off, s[0:3], 0 offset:248
	v_cmp_gt_u32_e64 s[6:7], 62, v0
	s_waitcnt vmcnt(0)
	ds_write_b32 v130, v132
	s_waitcnt lgkmcnt(0)
	; wave barrier
	s_and_saveexec_b64 s[8:9], s[6:7]
	s_cbranch_execz .LBB63_1238
; %bb.1229:
	s_and_b64 vcc, exec, s[4:5]
	s_cbranch_vccnz .LBB63_1231
; %bb.1230:
	buffer_load_dword v132, v131, s[0:3], 0 offen
	ds_read_b32 v133, v130
	s_waitcnt vmcnt(0) lgkmcnt(0)
	v_mul_f32_e32 v132, v132, v133
	s_cbranch_execz .LBB63_1232
	s_branch .LBB63_1233
.LBB63_1231:
                                        ; implicit-def: $vgpr132
.LBB63_1232:
	ds_read_b32 v132, v130
.LBB63_1233:
	v_cmp_ne_u32_e32 vcc, 61, v0
	s_and_saveexec_b64 s[10:11], vcc
	s_cbranch_execz .LBB63_1237
; %bb.1234:
	s_mov_b32 s12, 0
	v_add_u32_e32 v133, 0x104, v129
	v_add3_u32 v134, v129, s12, 4
	s_mov_b64 s[12:13], 0
	v_mov_b32_e32 v135, v0
.LBB63_1235:                            ; =>This Inner Loop Header: Depth=1
	buffer_load_dword v136, v134, s[0:3], 0 offen
	ds_read_b32 v137, v133
	v_add_u32_e32 v135, 1, v135
	v_cmp_lt_u32_e32 vcc, 60, v135
	v_add_u32_e32 v133, 4, v133
	v_add_u32_e32 v134, 4, v134
	s_or_b64 s[12:13], vcc, s[12:13]
	s_waitcnt vmcnt(0) lgkmcnt(0)
	v_fmac_f32_e32 v132, v136, v137
	s_andn2_b64 exec, exec, s[12:13]
	s_cbranch_execnz .LBB63_1235
; %bb.1236:
	s_or_b64 exec, exec, s[12:13]
.LBB63_1237:
	s_or_b64 exec, exec, s[10:11]
	v_mov_b32_e32 v133, 0
	ds_read_b32 v133, v133 offset:248
	s_waitcnt lgkmcnt(0)
	v_mul_f32_e32 v132, v132, v133
	buffer_store_dword v132, off, s[0:3], 0 offset:248
.LBB63_1238:
	s_or_b64 exec, exec, s[8:9]
	buffer_load_dword v132, off, s[0:3], 0 offset:252
	v_cmp_ne_u32_e32 vcc, 63, v0
	s_waitcnt vmcnt(0)
	ds_write_b32 v130, v132
	s_waitcnt lgkmcnt(0)
	; wave barrier
	s_and_saveexec_b64 s[8:9], vcc
	s_cbranch_execz .LBB63_1248
; %bb.1239:
	s_and_b64 vcc, exec, s[4:5]
	s_cbranch_vccnz .LBB63_1241
; %bb.1240:
	buffer_load_dword v131, v131, s[0:3], 0 offen
	ds_read_b32 v132, v130
	s_waitcnt vmcnt(0) lgkmcnt(0)
	v_mul_f32_e32 v131, v131, v132
	s_cbranch_execz .LBB63_1242
	s_branch .LBB63_1243
.LBB63_1241:
                                        ; implicit-def: $vgpr131
.LBB63_1242:
	ds_read_b32 v131, v130
.LBB63_1243:
	s_and_saveexec_b64 s[4:5], s[6:7]
	s_cbranch_execz .LBB63_1247
; %bb.1244:
	s_mov_b32 s6, 0
	v_add_u32_e32 v130, 0x104, v129
	v_add3_u32 v129, v129, s6, 4
	s_mov_b64 s[6:7], 0
.LBB63_1245:                            ; =>This Inner Loop Header: Depth=1
	buffer_load_dword v132, v129, s[0:3], 0 offen
	ds_read_b32 v133, v130
	v_add_u32_e32 v0, 1, v0
	v_cmp_lt_u32_e32 vcc, 61, v0
	v_add_u32_e32 v130, 4, v130
	v_add_u32_e32 v129, 4, v129
	s_or_b64 s[6:7], vcc, s[6:7]
	s_waitcnt vmcnt(0) lgkmcnt(0)
	v_fmac_f32_e32 v131, v132, v133
	s_andn2_b64 exec, exec, s[6:7]
	s_cbranch_execnz .LBB63_1245
; %bb.1246:
	s_or_b64 exec, exec, s[6:7]
.LBB63_1247:
	s_or_b64 exec, exec, s[4:5]
	v_mov_b32_e32 v0, 0
	ds_read_b32 v0, v0 offset:252
	s_waitcnt lgkmcnt(0)
	v_mul_f32_e32 v0, v131, v0
	buffer_store_dword v0, off, s[0:3], 0 offset:252
.LBB63_1248:
	s_or_b64 exec, exec, s[8:9]
.LBB63_1249:
	buffer_load_dword v0, off, s[0:3], 0
	buffer_load_dword v129, off, s[0:3], 0 offset:4
	buffer_load_dword v130, off, s[0:3], 0 offset:8
	;; [unrolled: 1-line block ×63, first 2 shown]
	s_waitcnt vmcnt(62)
	global_store_dword v[125:126], v0, off
	global_store_dword v[127:128], v129, off
	s_waitcnt vmcnt(62)
	global_store_dword v[1:2], v130, off
	global_store_dword v[3:4], v131, off
	;; [unrolled: 3-line block ×32, first 2 shown]
.LBB63_1250:
	s_endpgm
	.section	.rodata,"a",@progbits
	.p2align	6, 0x0
	.amdhsa_kernel _ZN9rocsolver6v33100L18trti2_kernel_smallILi64EfPfEEv13rocblas_fill_17rocblas_diagonal_T1_iil
		.amdhsa_group_segment_fixed_size 512
		.amdhsa_private_segment_fixed_size 272
		.amdhsa_kernarg_size 32
		.amdhsa_user_sgpr_count 6
		.amdhsa_user_sgpr_private_segment_buffer 1
		.amdhsa_user_sgpr_dispatch_ptr 0
		.amdhsa_user_sgpr_queue_ptr 0
		.amdhsa_user_sgpr_kernarg_segment_ptr 1
		.amdhsa_user_sgpr_dispatch_id 0
		.amdhsa_user_sgpr_flat_scratch_init 0
		.amdhsa_user_sgpr_private_segment_size 0
		.amdhsa_uses_dynamic_stack 0
		.amdhsa_system_sgpr_private_segment_wavefront_offset 1
		.amdhsa_system_sgpr_workgroup_id_x 1
		.amdhsa_system_sgpr_workgroup_id_y 0
		.amdhsa_system_sgpr_workgroup_id_z 0
		.amdhsa_system_sgpr_workgroup_info 0
		.amdhsa_system_vgpr_workitem_id 0
		.amdhsa_next_free_vgpr 194
		.amdhsa_next_free_sgpr 77
		.amdhsa_reserve_vcc 1
		.amdhsa_reserve_flat_scratch 0
		.amdhsa_float_round_mode_32 0
		.amdhsa_float_round_mode_16_64 0
		.amdhsa_float_denorm_mode_32 3
		.amdhsa_float_denorm_mode_16_64 3
		.amdhsa_dx10_clamp 1
		.amdhsa_ieee_mode 1
		.amdhsa_fp16_overflow 0
		.amdhsa_exception_fp_ieee_invalid_op 0
		.amdhsa_exception_fp_denorm_src 0
		.amdhsa_exception_fp_ieee_div_zero 0
		.amdhsa_exception_fp_ieee_overflow 0
		.amdhsa_exception_fp_ieee_underflow 0
		.amdhsa_exception_fp_ieee_inexact 0
		.amdhsa_exception_int_div_zero 0
	.end_amdhsa_kernel
	.section	.text._ZN9rocsolver6v33100L18trti2_kernel_smallILi64EfPfEEv13rocblas_fill_17rocblas_diagonal_T1_iil,"axG",@progbits,_ZN9rocsolver6v33100L18trti2_kernel_smallILi64EfPfEEv13rocblas_fill_17rocblas_diagonal_T1_iil,comdat
.Lfunc_end63:
	.size	_ZN9rocsolver6v33100L18trti2_kernel_smallILi64EfPfEEv13rocblas_fill_17rocblas_diagonal_T1_iil, .Lfunc_end63-_ZN9rocsolver6v33100L18trti2_kernel_smallILi64EfPfEEv13rocblas_fill_17rocblas_diagonal_T1_iil
                                        ; -- End function
	.set _ZN9rocsolver6v33100L18trti2_kernel_smallILi64EfPfEEv13rocblas_fill_17rocblas_diagonal_T1_iil.num_vgpr, 194
	.set _ZN9rocsolver6v33100L18trti2_kernel_smallILi64EfPfEEv13rocblas_fill_17rocblas_diagonal_T1_iil.num_agpr, 0
	.set _ZN9rocsolver6v33100L18trti2_kernel_smallILi64EfPfEEv13rocblas_fill_17rocblas_diagonal_T1_iil.numbered_sgpr, 77
	.set _ZN9rocsolver6v33100L18trti2_kernel_smallILi64EfPfEEv13rocblas_fill_17rocblas_diagonal_T1_iil.num_named_barrier, 0
	.set _ZN9rocsolver6v33100L18trti2_kernel_smallILi64EfPfEEv13rocblas_fill_17rocblas_diagonal_T1_iil.private_seg_size, 272
	.set _ZN9rocsolver6v33100L18trti2_kernel_smallILi64EfPfEEv13rocblas_fill_17rocblas_diagonal_T1_iil.uses_vcc, 1
	.set _ZN9rocsolver6v33100L18trti2_kernel_smallILi64EfPfEEv13rocblas_fill_17rocblas_diagonal_T1_iil.uses_flat_scratch, 0
	.set _ZN9rocsolver6v33100L18trti2_kernel_smallILi64EfPfEEv13rocblas_fill_17rocblas_diagonal_T1_iil.has_dyn_sized_stack, 0
	.set _ZN9rocsolver6v33100L18trti2_kernel_smallILi64EfPfEEv13rocblas_fill_17rocblas_diagonal_T1_iil.has_recursion, 0
	.set _ZN9rocsolver6v33100L18trti2_kernel_smallILi64EfPfEEv13rocblas_fill_17rocblas_diagonal_T1_iil.has_indirect_call, 0
	.section	.AMDGPU.csdata,"",@progbits
; Kernel info:
; codeLenInByte = 30980
; TotalNumSgprs: 81
; NumVgprs: 194
; ScratchSize: 272
; MemoryBound: 0
; FloatMode: 240
; IeeeMode: 1
; LDSByteSize: 512 bytes/workgroup (compile time only)
; SGPRBlocks: 10
; VGPRBlocks: 48
; NumSGPRsForWavesPerEU: 81
; NumVGPRsForWavesPerEU: 194
; Occupancy: 1
; WaveLimiterHint : 0
; COMPUTE_PGM_RSRC2:SCRATCH_EN: 1
; COMPUTE_PGM_RSRC2:USER_SGPR: 6
; COMPUTE_PGM_RSRC2:TRAP_HANDLER: 0
; COMPUTE_PGM_RSRC2:TGID_X_EN: 1
; COMPUTE_PGM_RSRC2:TGID_Y_EN: 0
; COMPUTE_PGM_RSRC2:TGID_Z_EN: 0
; COMPUTE_PGM_RSRC2:TIDIG_COMP_CNT: 0
	.section	.text._ZN9rocsolver6v33100L18trti2_kernel_smallILi1EfPKPfEEv13rocblas_fill_17rocblas_diagonal_T1_iil,"axG",@progbits,_ZN9rocsolver6v33100L18trti2_kernel_smallILi1EfPKPfEEv13rocblas_fill_17rocblas_diagonal_T1_iil,comdat
	.globl	_ZN9rocsolver6v33100L18trti2_kernel_smallILi1EfPKPfEEv13rocblas_fill_17rocblas_diagonal_T1_iil ; -- Begin function _ZN9rocsolver6v33100L18trti2_kernel_smallILi1EfPKPfEEv13rocblas_fill_17rocblas_diagonal_T1_iil
	.p2align	8
	.type	_ZN9rocsolver6v33100L18trti2_kernel_smallILi1EfPKPfEEv13rocblas_fill_17rocblas_diagonal_T1_iil,@function
_ZN9rocsolver6v33100L18trti2_kernel_smallILi1EfPKPfEEv13rocblas_fill_17rocblas_diagonal_T1_iil: ; @_ZN9rocsolver6v33100L18trti2_kernel_smallILi1EfPKPfEEv13rocblas_fill_17rocblas_diagonal_T1_iil
; %bb.0:
	v_cmp_eq_u32_e32 vcc, 0, v0
	s_and_saveexec_b64 s[0:1], vcc
	s_cbranch_execz .LBB64_2
; %bb.1:
	s_load_dword s0, s[4:5], 0x10
	s_load_dwordx2 s[2:3], s[4:5], 0x8
	s_ashr_i32 s7, s6, 31
	s_lshl_b64 s[6:7], s[6:7], 3
	s_waitcnt lgkmcnt(0)
	s_ashr_i32 s1, s0, 31
	s_add_u32 s2, s2, s6
	s_addc_u32 s3, s3, s7
	s_load_dwordx2 s[2:3], s[2:3], 0x0
	s_lshl_b64 s[0:1], s[0:1], 2
	s_waitcnt lgkmcnt(0)
	s_add_u32 s0, s2, s0
	s_addc_u32 s1, s3, s1
	v_mov_b32_e32 v0, s0
	v_mov_b32_e32 v1, s1
	flat_load_dword v2, v[0:1]
	s_waitcnt vmcnt(0) lgkmcnt(0)
	v_div_scale_f32 v3, s[0:1], v2, v2, 1.0
	v_div_scale_f32 v4, vcc, 1.0, v2, 1.0
	s_load_dword s0, s[4:5], 0x4
	s_waitcnt lgkmcnt(0)
	s_cmpk_eq_i32 s0, 0x84
	v_rcp_f32_e32 v5, v3
	v_fma_f32 v6, -v3, v5, 1.0
	v_fmac_f32_e32 v5, v6, v5
	v_mul_f32_e32 v6, v4, v5
	v_fma_f32 v7, -v3, v6, v4
	v_fmac_f32_e32 v6, v7, v5
	v_fma_f32 v3, -v3, v6, v4
	v_div_fmas_f32 v3, v3, v5, v6
	s_cselect_b64 vcc, -1, 0
	v_div_fixup_f32 v3, v3, v2, 1.0
	v_cndmask_b32_e32 v2, v3, v2, vcc
	flat_store_dword v[0:1], v2
.LBB64_2:
	s_endpgm
	.section	.rodata,"a",@progbits
	.p2align	6, 0x0
	.amdhsa_kernel _ZN9rocsolver6v33100L18trti2_kernel_smallILi1EfPKPfEEv13rocblas_fill_17rocblas_diagonal_T1_iil
		.amdhsa_group_segment_fixed_size 0
		.amdhsa_private_segment_fixed_size 0
		.amdhsa_kernarg_size 32
		.amdhsa_user_sgpr_count 6
		.amdhsa_user_sgpr_private_segment_buffer 1
		.amdhsa_user_sgpr_dispatch_ptr 0
		.amdhsa_user_sgpr_queue_ptr 0
		.amdhsa_user_sgpr_kernarg_segment_ptr 1
		.amdhsa_user_sgpr_dispatch_id 0
		.amdhsa_user_sgpr_flat_scratch_init 0
		.amdhsa_user_sgpr_private_segment_size 0
		.amdhsa_uses_dynamic_stack 0
		.amdhsa_system_sgpr_private_segment_wavefront_offset 0
		.amdhsa_system_sgpr_workgroup_id_x 1
		.amdhsa_system_sgpr_workgroup_id_y 0
		.amdhsa_system_sgpr_workgroup_id_z 0
		.amdhsa_system_sgpr_workgroup_info 0
		.amdhsa_system_vgpr_workitem_id 0
		.amdhsa_next_free_vgpr 8
		.amdhsa_next_free_sgpr 8
		.amdhsa_reserve_vcc 1
		.amdhsa_reserve_flat_scratch 0
		.amdhsa_float_round_mode_32 0
		.amdhsa_float_round_mode_16_64 0
		.amdhsa_float_denorm_mode_32 3
		.amdhsa_float_denorm_mode_16_64 3
		.amdhsa_dx10_clamp 1
		.amdhsa_ieee_mode 1
		.amdhsa_fp16_overflow 0
		.amdhsa_exception_fp_ieee_invalid_op 0
		.amdhsa_exception_fp_denorm_src 0
		.amdhsa_exception_fp_ieee_div_zero 0
		.amdhsa_exception_fp_ieee_overflow 0
		.amdhsa_exception_fp_ieee_underflow 0
		.amdhsa_exception_fp_ieee_inexact 0
		.amdhsa_exception_int_div_zero 0
	.end_amdhsa_kernel
	.section	.text._ZN9rocsolver6v33100L18trti2_kernel_smallILi1EfPKPfEEv13rocblas_fill_17rocblas_diagonal_T1_iil,"axG",@progbits,_ZN9rocsolver6v33100L18trti2_kernel_smallILi1EfPKPfEEv13rocblas_fill_17rocblas_diagonal_T1_iil,comdat
.Lfunc_end64:
	.size	_ZN9rocsolver6v33100L18trti2_kernel_smallILi1EfPKPfEEv13rocblas_fill_17rocblas_diagonal_T1_iil, .Lfunc_end64-_ZN9rocsolver6v33100L18trti2_kernel_smallILi1EfPKPfEEv13rocblas_fill_17rocblas_diagonal_T1_iil
                                        ; -- End function
	.set _ZN9rocsolver6v33100L18trti2_kernel_smallILi1EfPKPfEEv13rocblas_fill_17rocblas_diagonal_T1_iil.num_vgpr, 8
	.set _ZN9rocsolver6v33100L18trti2_kernel_smallILi1EfPKPfEEv13rocblas_fill_17rocblas_diagonal_T1_iil.num_agpr, 0
	.set _ZN9rocsolver6v33100L18trti2_kernel_smallILi1EfPKPfEEv13rocblas_fill_17rocblas_diagonal_T1_iil.numbered_sgpr, 8
	.set _ZN9rocsolver6v33100L18trti2_kernel_smallILi1EfPKPfEEv13rocblas_fill_17rocblas_diagonal_T1_iil.num_named_barrier, 0
	.set _ZN9rocsolver6v33100L18trti2_kernel_smallILi1EfPKPfEEv13rocblas_fill_17rocblas_diagonal_T1_iil.private_seg_size, 0
	.set _ZN9rocsolver6v33100L18trti2_kernel_smallILi1EfPKPfEEv13rocblas_fill_17rocblas_diagonal_T1_iil.uses_vcc, 1
	.set _ZN9rocsolver6v33100L18trti2_kernel_smallILi1EfPKPfEEv13rocblas_fill_17rocblas_diagonal_T1_iil.uses_flat_scratch, 0
	.set _ZN9rocsolver6v33100L18trti2_kernel_smallILi1EfPKPfEEv13rocblas_fill_17rocblas_diagonal_T1_iil.has_dyn_sized_stack, 0
	.set _ZN9rocsolver6v33100L18trti2_kernel_smallILi1EfPKPfEEv13rocblas_fill_17rocblas_diagonal_T1_iil.has_recursion, 0
	.set _ZN9rocsolver6v33100L18trti2_kernel_smallILi1EfPKPfEEv13rocblas_fill_17rocblas_diagonal_T1_iil.has_indirect_call, 0
	.section	.AMDGPU.csdata,"",@progbits
; Kernel info:
; codeLenInByte = 204
; TotalNumSgprs: 12
; NumVgprs: 8
; ScratchSize: 0
; MemoryBound: 0
; FloatMode: 240
; IeeeMode: 1
; LDSByteSize: 0 bytes/workgroup (compile time only)
; SGPRBlocks: 1
; VGPRBlocks: 1
; NumSGPRsForWavesPerEU: 12
; NumVGPRsForWavesPerEU: 8
; Occupancy: 10
; WaveLimiterHint : 1
; COMPUTE_PGM_RSRC2:SCRATCH_EN: 0
; COMPUTE_PGM_RSRC2:USER_SGPR: 6
; COMPUTE_PGM_RSRC2:TRAP_HANDLER: 0
; COMPUTE_PGM_RSRC2:TGID_X_EN: 1
; COMPUTE_PGM_RSRC2:TGID_Y_EN: 0
; COMPUTE_PGM_RSRC2:TGID_Z_EN: 0
; COMPUTE_PGM_RSRC2:TIDIG_COMP_CNT: 0
	.section	.text._ZN9rocsolver6v33100L18trti2_kernel_smallILi2EfPKPfEEv13rocblas_fill_17rocblas_diagonal_T1_iil,"axG",@progbits,_ZN9rocsolver6v33100L18trti2_kernel_smallILi2EfPKPfEEv13rocblas_fill_17rocblas_diagonal_T1_iil,comdat
	.globl	_ZN9rocsolver6v33100L18trti2_kernel_smallILi2EfPKPfEEv13rocblas_fill_17rocblas_diagonal_T1_iil ; -- Begin function _ZN9rocsolver6v33100L18trti2_kernel_smallILi2EfPKPfEEv13rocblas_fill_17rocblas_diagonal_T1_iil
	.p2align	8
	.type	_ZN9rocsolver6v33100L18trti2_kernel_smallILi2EfPKPfEEv13rocblas_fill_17rocblas_diagonal_T1_iil,@function
_ZN9rocsolver6v33100L18trti2_kernel_smallILi2EfPKPfEEv13rocblas_fill_17rocblas_diagonal_T1_iil: ; @_ZN9rocsolver6v33100L18trti2_kernel_smallILi2EfPKPfEEv13rocblas_fill_17rocblas_diagonal_T1_iil
; %bb.0:
	v_cmp_gt_u32_e32 vcc, 2, v0
	s_and_saveexec_b64 s[0:1], vcc
	s_cbranch_execz .LBB65_20
; %bb.1:
	s_load_dwordx2 s[0:1], s[4:5], 0x10
	s_load_dwordx4 s[8:11], s[4:5], 0x0
	s_ashr_i32 s7, s6, 31
	s_lshl_b64 s[2:3], s[6:7], 3
	v_lshlrev_b32_e32 v7, 2, v0
	s_waitcnt lgkmcnt(0)
	s_ashr_i32 s5, s0, 31
	s_add_u32 s2, s10, s2
	s_addc_u32 s3, s11, s3
	s_load_dwordx2 s[2:3], s[2:3], 0x0
	s_mov_b32 s4, s0
	s_lshl_b64 s[4:5], s[4:5], 2
	v_mov_b32_e32 v8, -1.0
	s_waitcnt lgkmcnt(0)
	s_add_u32 s0, s2, s4
	s_addc_u32 s2, s3, s5
	v_mov_b32_e32 v2, s2
	v_add_co_u32_e32 v1, vcc, s0, v7
	s_ashr_i32 s3, s1, 31
	s_mov_b32 s2, s1
	v_addc_co_u32_e32 v2, vcc, 0, v2, vcc
	s_lshl_b64 s[0:1], s[2:3], 2
	v_mov_b32_e32 v4, s1
	v_add_co_u32_e32 v3, vcc, s0, v1
	v_addc_co_u32_e32 v4, vcc, v2, v4, vcc
	flat_load_dword v5, v[1:2]
	flat_load_dword v6, v[3:4]
	s_cmpk_lg_i32 s9, 0x84
	s_cselect_b64 s[4:5], -1, 0
	s_cmpk_eq_i32 s9, 0x84
	v_cmp_eq_u32_e64 s[0:1], 0, v0
	s_cbranch_scc1 .LBB65_3
; %bb.2:
	v_cmp_eq_u32_e64 s[2:3], 1, v0
	s_waitcnt vmcnt(0) lgkmcnt(0)
	v_cndmask_b32_e64 v8, v5, v6, s[2:3]
	v_div_scale_f32 v9, s[6:7], v8, v8, 1.0
	v_div_scale_f32 v10, vcc, 1.0, v8, 1.0
	v_rcp_f32_e32 v11, v9
	v_fma_f32 v12, -v9, v11, 1.0
	v_fmac_f32_e32 v11, v12, v11
	v_mul_f32_e32 v12, v10, v11
	v_fma_f32 v13, -v9, v12, v10
	v_fmac_f32_e32 v12, v13, v11
	v_fma_f32 v9, -v9, v12, v10
	v_div_fmas_f32 v9, v9, v11, v12
	v_div_fixup_f32 v8, v9, v8, 1.0
	v_cndmask_b32_e64 v6, v6, v8, s[2:3]
	v_cndmask_b32_e64 v5, v5, v8, s[0:1]
	v_xor_b32_e32 v8, 0x80000000, v8
.LBB65_3:
	s_cmpk_eq_i32 s8, 0x79
	v_add_u32_e32 v9, 8, v7
	ds_write_b32 v7, v8
	s_cbranch_scc1 .LBB65_7
; %bb.4:
	s_waitcnt vmcnt(0) lgkmcnt(0)
	v_mov_b32_e32 v8, v6
	v_cmp_eq_u32_e32 vcc, 1, v0
	v_mov_b32_e32 v7, v5
	ds_write_b32 v9, v5
	s_waitcnt lgkmcnt(0)
	; wave barrier
	s_and_saveexec_b64 s[0:1], vcc
	s_cbranch_execz .LBB65_11
; %bb.5:
	s_and_b64 vcc, exec, s[4:5]
	s_cbranch_vccz .LBB65_8
; %bb.6:
	ds_read_b32 v7, v9
	v_cmp_eq_u32_e32 vcc, 1, v0
	v_cndmask_b32_e32 v8, v5, v6, vcc
	s_waitcnt lgkmcnt(0)
	v_mul_f32_e32 v7, v8, v7
	s_cbranch_execz .LBB65_9
	s_branch .LBB65_10
.LBB65_7:
                                        ; implicit-def: $vgpr7_vgpr8
	s_branch .LBB65_12
.LBB65_8:
                                        ; implicit-def: $vgpr7
.LBB65_9:
	ds_read_b32 v7, v9
.LBB65_10:
	v_mov_b32_e32 v8, 0
	ds_read_b32 v8, v8
	s_waitcnt lgkmcnt(0)
	v_mul_f32_e32 v7, v7, v8
	v_mov_b32_e32 v8, v6
.LBB65_11:
	s_or_b64 exec, exec, s[0:1]
	s_cbranch_execnz .LBB65_19
.LBB65_12:
	v_cmp_eq_u32_e32 vcc, 0, v0
	s_waitcnt vmcnt(0) lgkmcnt(0)
	ds_write_b32 v9, v6
	s_waitcnt lgkmcnt(0)
	; wave barrier
	s_and_saveexec_b64 s[0:1], vcc
	s_cbranch_execz .LBB65_18
; %bb.13:
	s_and_b64 vcc, exec, s[4:5]
	s_cbranch_vccz .LBB65_15
; %bb.14:
	ds_read_b32 v7, v9
	v_cmp_eq_u32_e32 vcc, 1, v0
	v_cndmask_b32_e32 v0, v5, v6, vcc
	s_waitcnt lgkmcnt(0)
	v_mul_f32_e32 v0, v0, v7
	s_cbranch_execz .LBB65_16
	s_branch .LBB65_17
.LBB65_15:
                                        ; implicit-def: $vgpr0
.LBB65_16:
	ds_read_b32 v0, v9
.LBB65_17:
	v_mov_b32_e32 v6, 0
	ds_read_b32 v6, v6 offset:4
	s_waitcnt lgkmcnt(0)
	v_mul_f32_e32 v6, v0, v6
.LBB65_18:
	s_or_b64 exec, exec, s[0:1]
	v_mov_b32_e32 v8, v6
	v_mov_b32_e32 v7, v5
.LBB65_19:
	flat_store_dword v[1:2], v7
	flat_store_dword v[3:4], v8
.LBB65_20:
	s_endpgm
	.section	.rodata,"a",@progbits
	.p2align	6, 0x0
	.amdhsa_kernel _ZN9rocsolver6v33100L18trti2_kernel_smallILi2EfPKPfEEv13rocblas_fill_17rocblas_diagonal_T1_iil
		.amdhsa_group_segment_fixed_size 16
		.amdhsa_private_segment_fixed_size 0
		.amdhsa_kernarg_size 32
		.amdhsa_user_sgpr_count 6
		.amdhsa_user_sgpr_private_segment_buffer 1
		.amdhsa_user_sgpr_dispatch_ptr 0
		.amdhsa_user_sgpr_queue_ptr 0
		.amdhsa_user_sgpr_kernarg_segment_ptr 1
		.amdhsa_user_sgpr_dispatch_id 0
		.amdhsa_user_sgpr_flat_scratch_init 0
		.amdhsa_user_sgpr_private_segment_size 0
		.amdhsa_uses_dynamic_stack 0
		.amdhsa_system_sgpr_private_segment_wavefront_offset 0
		.amdhsa_system_sgpr_workgroup_id_x 1
		.amdhsa_system_sgpr_workgroup_id_y 0
		.amdhsa_system_sgpr_workgroup_id_z 0
		.amdhsa_system_sgpr_workgroup_info 0
		.amdhsa_system_vgpr_workitem_id 0
		.amdhsa_next_free_vgpr 14
		.amdhsa_next_free_sgpr 12
		.amdhsa_reserve_vcc 1
		.amdhsa_reserve_flat_scratch 0
		.amdhsa_float_round_mode_32 0
		.amdhsa_float_round_mode_16_64 0
		.amdhsa_float_denorm_mode_32 3
		.amdhsa_float_denorm_mode_16_64 3
		.amdhsa_dx10_clamp 1
		.amdhsa_ieee_mode 1
		.amdhsa_fp16_overflow 0
		.amdhsa_exception_fp_ieee_invalid_op 0
		.amdhsa_exception_fp_denorm_src 0
		.amdhsa_exception_fp_ieee_div_zero 0
		.amdhsa_exception_fp_ieee_overflow 0
		.amdhsa_exception_fp_ieee_underflow 0
		.amdhsa_exception_fp_ieee_inexact 0
		.amdhsa_exception_int_div_zero 0
	.end_amdhsa_kernel
	.section	.text._ZN9rocsolver6v33100L18trti2_kernel_smallILi2EfPKPfEEv13rocblas_fill_17rocblas_diagonal_T1_iil,"axG",@progbits,_ZN9rocsolver6v33100L18trti2_kernel_smallILi2EfPKPfEEv13rocblas_fill_17rocblas_diagonal_T1_iil,comdat
.Lfunc_end65:
	.size	_ZN9rocsolver6v33100L18trti2_kernel_smallILi2EfPKPfEEv13rocblas_fill_17rocblas_diagonal_T1_iil, .Lfunc_end65-_ZN9rocsolver6v33100L18trti2_kernel_smallILi2EfPKPfEEv13rocblas_fill_17rocblas_diagonal_T1_iil
                                        ; -- End function
	.set _ZN9rocsolver6v33100L18trti2_kernel_smallILi2EfPKPfEEv13rocblas_fill_17rocblas_diagonal_T1_iil.num_vgpr, 14
	.set _ZN9rocsolver6v33100L18trti2_kernel_smallILi2EfPKPfEEv13rocblas_fill_17rocblas_diagonal_T1_iil.num_agpr, 0
	.set _ZN9rocsolver6v33100L18trti2_kernel_smallILi2EfPKPfEEv13rocblas_fill_17rocblas_diagonal_T1_iil.numbered_sgpr, 12
	.set _ZN9rocsolver6v33100L18trti2_kernel_smallILi2EfPKPfEEv13rocblas_fill_17rocblas_diagonal_T1_iil.num_named_barrier, 0
	.set _ZN9rocsolver6v33100L18trti2_kernel_smallILi2EfPKPfEEv13rocblas_fill_17rocblas_diagonal_T1_iil.private_seg_size, 0
	.set _ZN9rocsolver6v33100L18trti2_kernel_smallILi2EfPKPfEEv13rocblas_fill_17rocblas_diagonal_T1_iil.uses_vcc, 1
	.set _ZN9rocsolver6v33100L18trti2_kernel_smallILi2EfPKPfEEv13rocblas_fill_17rocblas_diagonal_T1_iil.uses_flat_scratch, 0
	.set _ZN9rocsolver6v33100L18trti2_kernel_smallILi2EfPKPfEEv13rocblas_fill_17rocblas_diagonal_T1_iil.has_dyn_sized_stack, 0
	.set _ZN9rocsolver6v33100L18trti2_kernel_smallILi2EfPKPfEEv13rocblas_fill_17rocblas_diagonal_T1_iil.has_recursion, 0
	.set _ZN9rocsolver6v33100L18trti2_kernel_smallILi2EfPKPfEEv13rocblas_fill_17rocblas_diagonal_T1_iil.has_indirect_call, 0
	.section	.AMDGPU.csdata,"",@progbits
; Kernel info:
; codeLenInByte = 548
; TotalNumSgprs: 16
; NumVgprs: 14
; ScratchSize: 0
; MemoryBound: 0
; FloatMode: 240
; IeeeMode: 1
; LDSByteSize: 16 bytes/workgroup (compile time only)
; SGPRBlocks: 1
; VGPRBlocks: 3
; NumSGPRsForWavesPerEU: 16
; NumVGPRsForWavesPerEU: 14
; Occupancy: 10
; WaveLimiterHint : 1
; COMPUTE_PGM_RSRC2:SCRATCH_EN: 0
; COMPUTE_PGM_RSRC2:USER_SGPR: 6
; COMPUTE_PGM_RSRC2:TRAP_HANDLER: 0
; COMPUTE_PGM_RSRC2:TGID_X_EN: 1
; COMPUTE_PGM_RSRC2:TGID_Y_EN: 0
; COMPUTE_PGM_RSRC2:TGID_Z_EN: 0
; COMPUTE_PGM_RSRC2:TIDIG_COMP_CNT: 0
	.section	.text._ZN9rocsolver6v33100L18trti2_kernel_smallILi3EfPKPfEEv13rocblas_fill_17rocblas_diagonal_T1_iil,"axG",@progbits,_ZN9rocsolver6v33100L18trti2_kernel_smallILi3EfPKPfEEv13rocblas_fill_17rocblas_diagonal_T1_iil,comdat
	.globl	_ZN9rocsolver6v33100L18trti2_kernel_smallILi3EfPKPfEEv13rocblas_fill_17rocblas_diagonal_T1_iil ; -- Begin function _ZN9rocsolver6v33100L18trti2_kernel_smallILi3EfPKPfEEv13rocblas_fill_17rocblas_diagonal_T1_iil
	.p2align	8
	.type	_ZN9rocsolver6v33100L18trti2_kernel_smallILi3EfPKPfEEv13rocblas_fill_17rocblas_diagonal_T1_iil,@function
_ZN9rocsolver6v33100L18trti2_kernel_smallILi3EfPKPfEEv13rocblas_fill_17rocblas_diagonal_T1_iil: ; @_ZN9rocsolver6v33100L18trti2_kernel_smallILi3EfPKPfEEv13rocblas_fill_17rocblas_diagonal_T1_iil
; %bb.0:
	v_cmp_gt_u32_e32 vcc, 3, v0
	s_and_saveexec_b64 s[0:1], vcc
	s_cbranch_execz .LBB66_32
; %bb.1:
	s_load_dwordx2 s[0:1], s[4:5], 0x10
	s_load_dwordx4 s[8:11], s[4:5], 0x0
	s_ashr_i32 s7, s6, 31
	s_lshl_b64 s[2:3], s[6:7], 3
	v_lshlrev_b32_e32 v4, 2, v0
	s_waitcnt lgkmcnt(0)
	s_ashr_i32 s5, s0, 31
	s_add_u32 s2, s10, s2
	s_addc_u32 s3, s11, s3
	s_load_dwordx2 s[2:3], s[2:3], 0x0
	s_mov_b32 s4, s0
	s_lshl_b64 s[4:5], s[4:5], 2
	v_mov_b32_e32 v5, -1.0
	s_waitcnt lgkmcnt(0)
	s_add_u32 s0, s2, s4
	s_addc_u32 s4, s3, s5
	v_mov_b32_e32 v1, s4
	v_add_co_u32_e32 v7, vcc, s0, v4
	s_ashr_i32 s3, s1, 31
	s_mov_b32 s2, s1
	v_addc_co_u32_e32 v8, vcc, 0, v1, vcc
	s_lshl_b64 s[2:3], s[2:3], 2
	v_mov_b32_e32 v1, s3
	v_add_co_u32_e32 v9, vcc, s2, v7
	s_add_i32 s1, s1, s1
	v_addc_co_u32_e32 v10, vcc, v8, v1, vcc
	v_add_u32_e32 v1, s1, v0
	v_ashrrev_i32_e32 v2, 31, v1
	v_lshlrev_b64 v[1:2], 2, v[1:2]
	v_mov_b32_e32 v3, s4
	v_add_co_u32_e32 v11, vcc, s0, v1
	v_addc_co_u32_e32 v12, vcc, v3, v2, vcc
	flat_load_dword v1, v[7:8]
	flat_load_dword v2, v[9:10]
	;; [unrolled: 1-line block ×3, first 2 shown]
	s_cmpk_lg_i32 s9, 0x84
	s_cselect_b64 s[6:7], -1, 0
	s_cmpk_eq_i32 s9, 0x84
	v_cmp_eq_u32_e64 s[0:1], 0, v0
	s_cbranch_scc1 .LBB66_3
; %bb.2:
	v_cmp_eq_u32_e64 s[2:3], 1, v0
	s_waitcnt vmcnt(0) lgkmcnt(0)
	v_cndmask_b32_e64 v5, v1, v2, s[2:3]
	v_cmp_eq_u32_e64 s[4:5], 2, v0
	v_cndmask_b32_e64 v5, v5, v3, s[4:5]
	v_div_scale_f32 v6, s[10:11], v5, v5, 1.0
	v_div_scale_f32 v13, vcc, 1.0, v5, 1.0
	v_rcp_f32_e32 v14, v6
	v_fma_f32 v15, -v6, v14, 1.0
	v_fmac_f32_e32 v14, v15, v14
	v_mul_f32_e32 v15, v13, v14
	v_fma_f32 v16, -v6, v15, v13
	v_fmac_f32_e32 v15, v16, v14
	v_fma_f32 v6, -v6, v15, v13
	v_div_fmas_f32 v6, v6, v14, v15
	v_div_fixup_f32 v5, v6, v5, 1.0
	v_cndmask_b32_e64 v3, v3, v5, s[4:5]
	v_cndmask_b32_e64 v2, v2, v5, s[2:3]
	;; [unrolled: 1-line block ×3, first 2 shown]
	v_xor_b32_e32 v5, 0x80000000, v5
.LBB66_3:
	s_cmpk_eq_i32 s8, 0x79
	v_add_u32_e32 v13, 16, v4
	s_waitcnt vmcnt(0) lgkmcnt(0)
	ds_write2_b32 v4, v5, v2 offset1:4
	s_waitcnt lgkmcnt(0)
	s_cbranch_scc1 .LBB66_7
; %bb.4:
	v_mov_b32_e32 v6, v3
	v_cmp_eq_u32_e64 s[0:1], 2, v0
	v_mov_b32_e32 v5, v2
	v_mov_b32_e32 v4, v1
	; wave barrier
	s_and_saveexec_b64 s[2:3], s[0:1]
	s_cbranch_execz .LBB66_11
; %bb.5:
	s_and_b64 vcc, exec, s[6:7]
	s_cbranch_vccz .LBB66_8
; %bb.6:
	ds_read_b32 v4, v13
	v_cmp_eq_u32_e32 vcc, 1, v0
	v_cndmask_b32_e32 v5, v1, v2, vcc
	v_cmp_eq_u32_e32 vcc, 2, v0
	v_cndmask_b32_e32 v5, v5, v3, vcc
	s_waitcnt lgkmcnt(0)
	v_mul_f32_e32 v4, v5, v4
	s_cbranch_execz .LBB66_9
	s_branch .LBB66_10
.LBB66_7:
                                        ; implicit-def: $vgpr4_vgpr5_vgpr6
	s_cbranch_execnz .LBB66_18
	s_branch .LBB66_31
.LBB66_8:
                                        ; implicit-def: $vgpr4
.LBB66_9:
	ds_read_b32 v4, v13
.LBB66_10:
	v_mov_b32_e32 v5, 0
	ds_read_b32 v5, v5 offset:4
	s_waitcnt lgkmcnt(0)
	v_mul_f32_e32 v14, v4, v5
	v_mov_b32_e32 v6, v3
	v_mov_b32_e32 v5, v2
	;; [unrolled: 1-line block ×4, first 2 shown]
.LBB66_11:
	s_or_b64 exec, exec, s[2:3]
	v_cmp_ne_u32_e32 vcc, 0, v0
	ds_write_b32 v13, v4
	s_waitcnt lgkmcnt(0)
	; wave barrier
	s_and_saveexec_b64 s[2:3], vcc
	s_cbranch_execz .LBB66_17
; %bb.12:
	s_andn2_b64 vcc, exec, s[6:7]
	s_cbranch_vccnz .LBB66_14
; %bb.13:
	ds_read_b32 v14, v13
	v_cmp_eq_u32_e32 vcc, 1, v0
	v_cndmask_b32_e32 v4, v4, v5, vcc
	v_cmp_eq_u32_e32 vcc, 2, v0
	v_cndmask_b32_e32 v4, v4, v6, vcc
	s_waitcnt lgkmcnt(0)
	v_mul_f32_e32 v4, v4, v14
	s_cbranch_execz .LBB66_15
	s_branch .LBB66_16
.LBB66_14:
                                        ; implicit-def: $vgpr4
.LBB66_15:
	ds_read_b32 v4, v13
.LBB66_16:
	v_mov_b32_e32 v14, 0
	ds_read2_b32 v[14:15], v14 offset1:5
	s_waitcnt lgkmcnt(0)
	v_fma_f32 v15, v5, v15, v4
	v_cndmask_b32_e64 v4, v4, v15, s[0:1]
	v_mul_f32_e32 v4, v4, v14
.LBB66_17:
	s_or_b64 exec, exec, s[2:3]
	s_branch .LBB66_31
.LBB66_18:
	v_cmp_eq_u32_e64 s[0:1], 0, v0
	; wave barrier
	s_and_saveexec_b64 s[2:3], s[0:1]
	s_cbranch_execz .LBB66_24
; %bb.19:
	s_and_b64 vcc, exec, s[6:7]
	s_cbranch_vccz .LBB66_21
; %bb.20:
	ds_read_b32 v4, v13
	v_cmp_eq_u32_e32 vcc, 1, v0
	v_cndmask_b32_e32 v2, v1, v2, vcc
	v_cmp_eq_u32_e32 vcc, 2, v0
	v_cndmask_b32_e32 v2, v2, v3, vcc
	s_waitcnt lgkmcnt(0)
	v_mul_f32_e32 v2, v2, v4
	s_cbranch_execz .LBB66_22
	s_branch .LBB66_23
.LBB66_21:
                                        ; implicit-def: $vgpr2
.LBB66_22:
	ds_read_b32 v2, v13
.LBB66_23:
	v_mov_b32_e32 v4, 0
	ds_read_b32 v4, v4 offset:4
	s_waitcnt lgkmcnt(0)
	v_mul_f32_e32 v2, v2, v4
.LBB66_24:
	s_or_b64 exec, exec, s[2:3]
	v_cmp_ne_u32_e32 vcc, 2, v0
	ds_write_b32 v13, v3
	s_waitcnt lgkmcnt(0)
	; wave barrier
	s_and_saveexec_b64 s[2:3], vcc
	s_cbranch_execz .LBB66_30
; %bb.25:
	s_andn2_b64 vcc, exec, s[6:7]
	s_cbranch_vccnz .LBB66_27
; %bb.26:
	ds_read_b32 v4, v13
	v_cmp_eq_u32_e32 vcc, 1, v0
	v_cndmask_b32_e32 v5, v1, v2, vcc
	v_cmp_eq_u32_e32 vcc, 2, v0
	v_cndmask_b32_e32 v0, v5, v3, vcc
	s_waitcnt lgkmcnt(0)
	v_mul_f32_e32 v0, v0, v4
	s_cbranch_execz .LBB66_28
	s_branch .LBB66_29
.LBB66_27:
                                        ; implicit-def: $vgpr0
.LBB66_28:
	ds_read_b32 v0, v13
.LBB66_29:
	v_mov_b32_e32 v3, 0
	ds_read2_b32 v[3:4], v3 offset0:2 offset1:5
	s_waitcnt lgkmcnt(0)
	v_fma_f32 v4, v2, v4, v0
	v_cndmask_b32_e64 v0, v0, v4, s[0:1]
	v_mul_f32_e32 v3, v0, v3
.LBB66_30:
	s_or_b64 exec, exec, s[2:3]
	v_mov_b32_e32 v6, v3
	v_mov_b32_e32 v5, v2
	;; [unrolled: 1-line block ×3, first 2 shown]
.LBB66_31:
	flat_store_dword v[7:8], v4
	flat_store_dword v[9:10], v5
	;; [unrolled: 1-line block ×3, first 2 shown]
.LBB66_32:
	s_endpgm
	.section	.rodata,"a",@progbits
	.p2align	6, 0x0
	.amdhsa_kernel _ZN9rocsolver6v33100L18trti2_kernel_smallILi3EfPKPfEEv13rocblas_fill_17rocblas_diagonal_T1_iil
		.amdhsa_group_segment_fixed_size 28
		.amdhsa_private_segment_fixed_size 0
		.amdhsa_kernarg_size 32
		.amdhsa_user_sgpr_count 6
		.amdhsa_user_sgpr_private_segment_buffer 1
		.amdhsa_user_sgpr_dispatch_ptr 0
		.amdhsa_user_sgpr_queue_ptr 0
		.amdhsa_user_sgpr_kernarg_segment_ptr 1
		.amdhsa_user_sgpr_dispatch_id 0
		.amdhsa_user_sgpr_flat_scratch_init 0
		.amdhsa_user_sgpr_private_segment_size 0
		.amdhsa_uses_dynamic_stack 0
		.amdhsa_system_sgpr_private_segment_wavefront_offset 0
		.amdhsa_system_sgpr_workgroup_id_x 1
		.amdhsa_system_sgpr_workgroup_id_y 0
		.amdhsa_system_sgpr_workgroup_id_z 0
		.amdhsa_system_sgpr_workgroup_info 0
		.amdhsa_system_vgpr_workitem_id 0
		.amdhsa_next_free_vgpr 17
		.amdhsa_next_free_sgpr 12
		.amdhsa_reserve_vcc 1
		.amdhsa_reserve_flat_scratch 0
		.amdhsa_float_round_mode_32 0
		.amdhsa_float_round_mode_16_64 0
		.amdhsa_float_denorm_mode_32 3
		.amdhsa_float_denorm_mode_16_64 3
		.amdhsa_dx10_clamp 1
		.amdhsa_ieee_mode 1
		.amdhsa_fp16_overflow 0
		.amdhsa_exception_fp_ieee_invalid_op 0
		.amdhsa_exception_fp_denorm_src 0
		.amdhsa_exception_fp_ieee_div_zero 0
		.amdhsa_exception_fp_ieee_overflow 0
		.amdhsa_exception_fp_ieee_underflow 0
		.amdhsa_exception_fp_ieee_inexact 0
		.amdhsa_exception_int_div_zero 0
	.end_amdhsa_kernel
	.section	.text._ZN9rocsolver6v33100L18trti2_kernel_smallILi3EfPKPfEEv13rocblas_fill_17rocblas_diagonal_T1_iil,"axG",@progbits,_ZN9rocsolver6v33100L18trti2_kernel_smallILi3EfPKPfEEv13rocblas_fill_17rocblas_diagonal_T1_iil,comdat
.Lfunc_end66:
	.size	_ZN9rocsolver6v33100L18trti2_kernel_smallILi3EfPKPfEEv13rocblas_fill_17rocblas_diagonal_T1_iil, .Lfunc_end66-_ZN9rocsolver6v33100L18trti2_kernel_smallILi3EfPKPfEEv13rocblas_fill_17rocblas_diagonal_T1_iil
                                        ; -- End function
	.set _ZN9rocsolver6v33100L18trti2_kernel_smallILi3EfPKPfEEv13rocblas_fill_17rocblas_diagonal_T1_iil.num_vgpr, 17
	.set _ZN9rocsolver6v33100L18trti2_kernel_smallILi3EfPKPfEEv13rocblas_fill_17rocblas_diagonal_T1_iil.num_agpr, 0
	.set _ZN9rocsolver6v33100L18trti2_kernel_smallILi3EfPKPfEEv13rocblas_fill_17rocblas_diagonal_T1_iil.numbered_sgpr, 12
	.set _ZN9rocsolver6v33100L18trti2_kernel_smallILi3EfPKPfEEv13rocblas_fill_17rocblas_diagonal_T1_iil.num_named_barrier, 0
	.set _ZN9rocsolver6v33100L18trti2_kernel_smallILi3EfPKPfEEv13rocblas_fill_17rocblas_diagonal_T1_iil.private_seg_size, 0
	.set _ZN9rocsolver6v33100L18trti2_kernel_smallILi3EfPKPfEEv13rocblas_fill_17rocblas_diagonal_T1_iil.uses_vcc, 1
	.set _ZN9rocsolver6v33100L18trti2_kernel_smallILi3EfPKPfEEv13rocblas_fill_17rocblas_diagonal_T1_iil.uses_flat_scratch, 0
	.set _ZN9rocsolver6v33100L18trti2_kernel_smallILi3EfPKPfEEv13rocblas_fill_17rocblas_diagonal_T1_iil.has_dyn_sized_stack, 0
	.set _ZN9rocsolver6v33100L18trti2_kernel_smallILi3EfPKPfEEv13rocblas_fill_17rocblas_diagonal_T1_iil.has_recursion, 0
	.set _ZN9rocsolver6v33100L18trti2_kernel_smallILi3EfPKPfEEv13rocblas_fill_17rocblas_diagonal_T1_iil.has_indirect_call, 0
	.section	.AMDGPU.csdata,"",@progbits
; Kernel info:
; codeLenInByte = 884
; TotalNumSgprs: 16
; NumVgprs: 17
; ScratchSize: 0
; MemoryBound: 0
; FloatMode: 240
; IeeeMode: 1
; LDSByteSize: 28 bytes/workgroup (compile time only)
; SGPRBlocks: 1
; VGPRBlocks: 4
; NumSGPRsForWavesPerEU: 16
; NumVGPRsForWavesPerEU: 17
; Occupancy: 10
; WaveLimiterHint : 1
; COMPUTE_PGM_RSRC2:SCRATCH_EN: 0
; COMPUTE_PGM_RSRC2:USER_SGPR: 6
; COMPUTE_PGM_RSRC2:TRAP_HANDLER: 0
; COMPUTE_PGM_RSRC2:TGID_X_EN: 1
; COMPUTE_PGM_RSRC2:TGID_Y_EN: 0
; COMPUTE_PGM_RSRC2:TGID_Z_EN: 0
; COMPUTE_PGM_RSRC2:TIDIG_COMP_CNT: 0
	.section	.text._ZN9rocsolver6v33100L18trti2_kernel_smallILi4EfPKPfEEv13rocblas_fill_17rocblas_diagonal_T1_iil,"axG",@progbits,_ZN9rocsolver6v33100L18trti2_kernel_smallILi4EfPKPfEEv13rocblas_fill_17rocblas_diagonal_T1_iil,comdat
	.globl	_ZN9rocsolver6v33100L18trti2_kernel_smallILi4EfPKPfEEv13rocblas_fill_17rocblas_diagonal_T1_iil ; -- Begin function _ZN9rocsolver6v33100L18trti2_kernel_smallILi4EfPKPfEEv13rocblas_fill_17rocblas_diagonal_T1_iil
	.p2align	8
	.type	_ZN9rocsolver6v33100L18trti2_kernel_smallILi4EfPKPfEEv13rocblas_fill_17rocblas_diagonal_T1_iil,@function
_ZN9rocsolver6v33100L18trti2_kernel_smallILi4EfPKPfEEv13rocblas_fill_17rocblas_diagonal_T1_iil: ; @_ZN9rocsolver6v33100L18trti2_kernel_smallILi4EfPKPfEEv13rocblas_fill_17rocblas_diagonal_T1_iil
; %bb.0:
	v_cmp_gt_u32_e32 vcc, 4, v0
	s_and_saveexec_b64 s[0:1], vcc
	s_cbranch_execz .LBB67_56
; %bb.1:
	s_load_dwordx2 s[0:1], s[4:5], 0x10
	s_load_dwordx4 s[8:11], s[4:5], 0x0
	s_ashr_i32 s7, s6, 31
	s_lshl_b64 s[2:3], s[6:7], 3
	v_lshlrev_b32_e32 v5, 2, v0
	s_waitcnt lgkmcnt(0)
	s_ashr_i32 s5, s0, 31
	s_add_u32 s2, s10, s2
	s_addc_u32 s3, s11, s3
	s_load_dwordx2 s[2:3], s[2:3], 0x0
	s_mov_b32 s4, s0
	s_lshl_b64 s[4:5], s[4:5], 2
	v_mov_b32_e32 v6, -1.0
	s_waitcnt lgkmcnt(0)
	s_add_u32 s0, s2, s4
	s_addc_u32 s4, s3, s5
	v_mov_b32_e32 v1, s4
	v_add_co_u32_e32 v9, vcc, s0, v5
	s_ashr_i32 s3, s1, 31
	s_mov_b32 s2, s1
	v_addc_co_u32_e32 v10, vcc, 0, v1, vcc
	s_lshl_b64 s[2:3], s[2:3], 2
	v_mov_b32_e32 v1, s3
	v_add_co_u32_e32 v11, vcc, s2, v9
	s_add_i32 s2, s1, s1
	v_addc_co_u32_e32 v12, vcc, v10, v1, vcc
	v_add_u32_e32 v1, s2, v0
	v_ashrrev_i32_e32 v2, 31, v1
	v_lshlrev_b64 v[2:3], 2, v[1:2]
	v_add_u32_e32 v1, s1, v1
	v_add_co_u32_e32 v13, vcc, s0, v2
	v_ashrrev_i32_e32 v2, 31, v1
	v_mov_b32_e32 v4, s4
	v_lshlrev_b64 v[1:2], 2, v[1:2]
	v_addc_co_u32_e32 v14, vcc, v4, v3, vcc
	v_mov_b32_e32 v3, s4
	v_add_co_u32_e32 v15, vcc, s0, v1
	v_addc_co_u32_e32 v16, vcc, v3, v2, vcc
	flat_load_dword v1, v[9:10]
	flat_load_dword v2, v[11:12]
	;; [unrolled: 1-line block ×4, first 2 shown]
	s_cmpk_lg_i32 s9, 0x84
	s_cselect_b64 s[10:11], -1, 0
	s_cmpk_eq_i32 s9, 0x84
	v_cmp_eq_u32_e64 s[0:1], 0, v0
	s_cbranch_scc1 .LBB67_3
; %bb.2:
	v_cmp_eq_u32_e64 s[2:3], 1, v0
	s_waitcnt vmcnt(0) lgkmcnt(0)
	v_cndmask_b32_e64 v6, v1, v2, s[2:3]
	v_cmp_eq_u32_e64 s[4:5], 2, v0
	v_cndmask_b32_e64 v6, v6, v3, s[4:5]
	v_cmp_eq_u32_e64 s[6:7], 3, v0
	v_cndmask_b32_e64 v6, v6, v4, s[6:7]
	v_div_scale_f32 v7, s[12:13], v6, v6, 1.0
	v_div_scale_f32 v8, vcc, 1.0, v6, 1.0
	v_rcp_f32_e32 v17, v7
	v_fma_f32 v18, -v7, v17, 1.0
	v_fmac_f32_e32 v17, v18, v17
	v_mul_f32_e32 v18, v8, v17
	v_fma_f32 v19, -v7, v18, v8
	v_fmac_f32_e32 v18, v19, v17
	v_fma_f32 v7, -v7, v18, v8
	v_div_fmas_f32 v7, v7, v17, v18
	v_div_fixup_f32 v6, v7, v6, 1.0
	v_cndmask_b32_e64 v4, v4, v6, s[6:7]
	v_cndmask_b32_e64 v3, v3, v6, s[4:5]
	;; [unrolled: 1-line block ×4, first 2 shown]
	v_xor_b32_e32 v6, 0x80000000, v6
.LBB67_3:
	s_cmpk_eq_i32 s8, 0x79
	v_add_u32_e32 v17, 16, v5
	ds_write_b32 v5, v6
	s_cbranch_scc1 .LBB67_7
; %bb.4:
	s_waitcnt vmcnt(0) lgkmcnt(0)
	v_mov_b32_e32 v8, v4
	v_cmp_eq_u32_e64 s[2:3], 3, v0
	v_mov_b32_e32 v7, v3
	v_mov_b32_e32 v6, v2
	;; [unrolled: 1-line block ×3, first 2 shown]
	ds_write_b32 v17, v3
	s_waitcnt lgkmcnt(0)
	; wave barrier
	s_and_saveexec_b64 s[0:1], s[2:3]
	s_cbranch_execz .LBB67_11
; %bb.5:
	s_and_b64 vcc, exec, s[10:11]
	s_cbranch_vccz .LBB67_8
; %bb.6:
	ds_read_b32 v6, v17
	v_cmp_eq_u32_e32 vcc, 1, v0
	v_cndmask_b32_e32 v5, v1, v2, vcc
	v_cmp_eq_u32_e32 vcc, 2, v0
	v_cndmask_b32_e32 v5, v5, v3, vcc
	;; [unrolled: 2-line block ×3, first 2 shown]
	s_waitcnt lgkmcnt(0)
	v_mul_f32_e32 v5, v5, v6
	s_cbranch_execz .LBB67_9
	s_branch .LBB67_10
.LBB67_7:
                                        ; implicit-def: $vgpr5_vgpr6_vgpr7_vgpr8
	s_cbranch_execnz .LBB67_34
	s_branch .LBB67_55
.LBB67_8:
                                        ; implicit-def: $vgpr5
.LBB67_9:
	ds_read_b32 v5, v17
.LBB67_10:
	v_mov_b32_e32 v6, 0
	ds_read_b32 v6, v6 offset:8
	s_waitcnt lgkmcnt(0)
	v_mul_f32_e32 v18, v5, v6
	v_mov_b32_e32 v8, v4
	v_mov_b32_e32 v7, v3
	;; [unrolled: 1-line block ×5, first 2 shown]
.LBB67_11:
	s_or_b64 exec, exec, s[0:1]
	v_cmp_lt_u32_e64 s[0:1], 1, v0
	ds_write_b32 v17, v6
	s_waitcnt lgkmcnt(0)
	; wave barrier
	s_and_saveexec_b64 s[4:5], s[0:1]
	s_cbranch_execz .LBB67_17
; %bb.12:
	s_andn2_b64 vcc, exec, s[10:11]
	s_cbranch_vccnz .LBB67_14
; %bb.13:
	ds_read_b32 v18, v17
	v_cmp_eq_u32_e32 vcc, 1, v0
	v_cndmask_b32_e32 v6, v5, v6, vcc
	v_cmp_eq_u32_e32 vcc, 2, v0
	v_cndmask_b32_e32 v6, v6, v7, vcc
	;; [unrolled: 2-line block ×3, first 2 shown]
	s_waitcnt lgkmcnt(0)
	v_mul_f32_e32 v6, v6, v18
	s_cbranch_execz .LBB67_15
	s_branch .LBB67_16
.LBB67_14:
                                        ; implicit-def: $vgpr6
.LBB67_15:
	ds_read_b32 v6, v17
.LBB67_16:
	v_mov_b32_e32 v18, 0
	ds_read2_b32 v[18:19], v18 offset0:1 offset1:6
	s_waitcnt lgkmcnt(0)
	v_fma_f32 v19, v7, v19, v6
	v_cndmask_b32_e64 v6, v6, v19, s[2:3]
	v_mul_f32_e32 v6, v6, v18
.LBB67_17:
	s_or_b64 exec, exec, s[4:5]
	v_cmp_ne_u32_e32 vcc, 0, v0
	ds_write_b32 v17, v5
	s_waitcnt lgkmcnt(0)
	; wave barrier
	s_and_saveexec_b64 s[2:3], vcc
	s_cbranch_execz .LBB67_33
; %bb.18:
	s_andn2_b64 vcc, exec, s[10:11]
	s_cbranch_vccnz .LBB67_20
; %bb.19:
	ds_read_b32 v19, v17
	v_cmp_eq_u32_e32 vcc, 1, v0
	v_cndmask_b32_e32 v18, v5, v6, vcc
	v_cmp_eq_u32_e32 vcc, 2, v0
	v_cndmask_b32_e32 v18, v18, v7, vcc
	;; [unrolled: 2-line block ×3, first 2 shown]
	s_waitcnt lgkmcnt(0)
	v_mul_f32_e32 v18, v18, v19
	s_cbranch_execz .LBB67_21
	s_branch .LBB67_22
.LBB67_20:
                                        ; implicit-def: $vgpr18
.LBB67_21:
	ds_read_b32 v18, v17
.LBB67_22:
	s_and_saveexec_b64 s[4:5], s[0:1]
	s_cbranch_execz .LBB67_32
; %bb.23:
	v_add_u32_e32 v20, -2, v0
	v_add_u32_e32 v19, -1, v0
	v_cmp_lt_u32_e32 vcc, 6, v20
	v_mov_b32_e32 v21, 1
	s_and_saveexec_b64 s[0:1], vcc
	s_cbranch_execz .LBB67_27
; %bb.24:
	v_and_b32_e32 v20, -8, v19
	v_sub_u32_e32 v20, 0, v20
	s_mov_b64 s[6:7], 8
	s_mov_b32 s12, 20
	s_mov_b64 s[8:9], 0
.LBB67_25:                              ; =>This Inner Loop Header: Depth=1
	s_add_i32 s13, s6, -7
	s_cmp_eq_u32 s13, 1
	s_cselect_b64 vcc, -1, 0
	s_cmp_eq_u32 s13, 2
	v_cndmask_b32_e32 v29, v5, v6, vcc
	s_cselect_b64 vcc, -1, 0
	s_cmp_eq_u32 s13, 3
	v_mov_b32_e32 v27, s12
	v_cndmask_b32_e32 v29, v29, v7, vcc
	s_cselect_b64 vcc, -1, 0
	s_add_i32 s13, s6, -6
	ds_read2_b32 v[21:22], v27 offset1:1
	ds_read2_b32 v[23:24], v27 offset0:2 offset1:3
	ds_read2_b32 v[25:26], v27 offset0:4 offset1:5
	;; [unrolled: 1-line block ×3, first 2 shown]
	s_cmp_eq_u32 s13, 1
	v_cndmask_b32_e32 v29, v29, v8, vcc
	s_cselect_b64 vcc, -1, 0
	s_cmp_eq_u32 s13, 2
	s_waitcnt lgkmcnt(3)
	v_fmac_f32_e32 v18, v29, v21
	v_cndmask_b32_e32 v21, v5, v6, vcc
	s_cselect_b64 vcc, -1, 0
	s_cmp_eq_u32 s13, 3
	v_cndmask_b32_e32 v21, v21, v7, vcc
	s_cselect_b64 vcc, -1, 0
	s_add_i32 s13, s6, -5
	s_cmp_eq_u32 s13, 1
	v_cndmask_b32_e32 v21, v21, v8, vcc
	s_cselect_b64 vcc, -1, 0
	s_cmp_eq_u32 s13, 2
	v_fmac_f32_e32 v18, v21, v22
	v_cndmask_b32_e32 v21, v5, v6, vcc
	s_cselect_b64 vcc, -1, 0
	s_cmp_eq_u32 s13, 3
	v_cndmask_b32_e32 v21, v21, v7, vcc
	s_cselect_b64 vcc, -1, 0
	s_add_i32 s13, s6, -4
	s_cmp_eq_u32 s13, 1
	v_cndmask_b32_e32 v21, v21, v8, vcc
	s_cselect_b64 vcc, -1, 0
	s_cmp_eq_u32 s13, 2
	s_waitcnt lgkmcnt(2)
	v_fmac_f32_e32 v18, v21, v23
	v_cndmask_b32_e32 v21, v5, v6, vcc
	s_cselect_b64 vcc, -1, 0
	s_cmp_eq_u32 s13, 3
	v_cndmask_b32_e32 v21, v21, v7, vcc
	s_cselect_b64 vcc, -1, 0
	s_add_i32 s13, s6, -3
	s_cmp_eq_u32 s13, 1
	v_cndmask_b32_e32 v21, v21, v8, vcc
	s_cselect_b64 vcc, -1, 0
	s_cmp_eq_u32 s13, 2
	v_fmac_f32_e32 v18, v21, v24
	v_cndmask_b32_e32 v21, v5, v6, vcc
	s_cselect_b64 vcc, -1, 0
	s_cmp_eq_u32 s13, 3
	v_cndmask_b32_e32 v21, v21, v7, vcc
	s_cselect_b64 vcc, -1, 0
	s_add_i32 s13, s6, -2
	s_cmp_eq_u32 s13, 1
	v_cndmask_b32_e32 v21, v21, v8, vcc
	s_cselect_b64 vcc, -1, 0
	s_cmp_eq_u32 s13, 2
	s_waitcnt lgkmcnt(1)
	v_fmac_f32_e32 v18, v21, v25
	v_cndmask_b32_e32 v21, v5, v6, vcc
	s_cselect_b64 vcc, -1, 0
	s_cmp_eq_u32 s13, 3
	v_cndmask_b32_e32 v21, v21, v7, vcc
	s_cselect_b64 vcc, -1, 0
	s_add_i32 s13, s6, -1
	s_cmp_eq_u32 s13, 1
	v_cndmask_b32_e32 v21, v21, v8, vcc
	s_cselect_b64 vcc, -1, 0
	s_cmp_eq_u32 s13, 2
	v_fmac_f32_e32 v18, v21, v26
	v_cndmask_b32_e32 v21, v5, v6, vcc
	s_cselect_b64 vcc, -1, 0
	s_cmp_eq_u32 s13, 3
	v_cndmask_b32_e32 v21, v21, v7, vcc
	s_cselect_b64 vcc, -1, 0
	s_cmp_eq_u32 s6, 1
	;; [unrolled: 3-line block ×3, first 2 shown]
	s_waitcnt lgkmcnt(0)
	v_fmac_f32_e32 v18, v21, v27
	v_cndmask_b32_e32 v21, v5, v6, vcc
	s_cselect_b64 vcc, -1, 0
	s_cmp_eq_u32 s6, 3
	v_cndmask_b32_e32 v21, v21, v7, vcc
	s_cselect_b64 vcc, -1, 0
	v_cndmask_b32_e32 v21, v21, v8, vcc
	s_add_u32 s6, s6, 8
	v_fmac_f32_e32 v18, v21, v28
	v_add_u32_e32 v21, s6, v20
	s_addc_u32 s7, s7, 0
	s_add_i32 s12, s12, 32
	s_add_i32 s13, s6, -7
	v_cmp_eq_u32_e32 vcc, 8, v21
	s_or_b64 s[8:9], vcc, s[8:9]
	v_mov_b32_e32 v21, s13
	s_andn2_b64 exec, exec, s[8:9]
	s_cbranch_execnz .LBB67_25
; %bb.26:
	s_or_b64 exec, exec, s[8:9]
.LBB67_27:
	s_or_b64 exec, exec, s[0:1]
	v_and_b32_e32 v19, 7, v19
	v_cmp_ne_u32_e32 vcc, 0, v19
	s_and_saveexec_b64 s[6:7], vcc
	s_cbranch_execz .LBB67_31
; %bb.28:
	v_lshl_add_u32 v20, v21, 2, 16
	v_mov_b32_e32 v22, 0
	s_mov_b64 s[8:9], 0
.LBB67_29:                              ; =>This Inner Loop Header: Depth=1
	v_cmp_eq_u32_e32 vcc, 1, v21
	ds_read_b32 v24, v20
	v_cndmask_b32_e32 v23, v5, v6, vcc
	v_cmp_eq_u32_e32 vcc, 2, v21
	v_cndmask_b32_e32 v23, v23, v7, vcc
	v_cmp_eq_u32_e32 vcc, 3, v21
	v_add_co_u32_e64 v21, s[0:1], 1, v21
	v_add_u32_e32 v19, -1, v19
	v_addc_co_u32_e64 v22, s[0:1], 0, v22, s[0:1]
	v_cmp_eq_u32_e64 s[0:1], 0, v19
	v_cndmask_b32_e32 v23, v23, v8, vcc
	v_add_u32_e32 v20, 4, v20
	s_or_b64 s[8:9], s[0:1], s[8:9]
	s_waitcnt lgkmcnt(0)
	v_fmac_f32_e32 v18, v23, v24
	s_andn2_b64 exec, exec, s[8:9]
	s_cbranch_execnz .LBB67_29
; %bb.30:
	s_or_b64 exec, exec, s[8:9]
.LBB67_31:
	s_or_b64 exec, exec, s[6:7]
.LBB67_32:
	s_or_b64 exec, exec, s[4:5]
	v_mov_b32_e32 v5, 0
	ds_read_b32 v5, v5
	s_waitcnt lgkmcnt(0)
	v_mul_f32_e32 v5, v18, v5
.LBB67_33:
	s_or_b64 exec, exec, s[2:3]
	s_branch .LBB67_55
.LBB67_34:
	v_cmp_eq_u32_e64 s[0:1], 0, v0
	s_waitcnt vmcnt(0) lgkmcnt(0)
	ds_write_b32 v17, v2
	s_waitcnt lgkmcnt(0)
	; wave barrier
	s_and_saveexec_b64 s[2:3], s[0:1]
	s_cbranch_execz .LBB67_40
; %bb.35:
	s_and_b64 vcc, exec, s[10:11]
	s_cbranch_vccz .LBB67_37
; %bb.36:
	ds_read_b32 v5, v17
	v_cmp_eq_u32_e32 vcc, 1, v0
	v_cndmask_b32_e32 v2, v1, v2, vcc
	v_cmp_eq_u32_e32 vcc, 2, v0
	v_cndmask_b32_e32 v2, v2, v3, vcc
	;; [unrolled: 2-line block ×3, first 2 shown]
	s_waitcnt lgkmcnt(0)
	v_mul_f32_e32 v2, v2, v5
	s_cbranch_execz .LBB67_38
	s_branch .LBB67_39
.LBB67_37:
                                        ; implicit-def: $vgpr2
.LBB67_38:
	ds_read_b32 v2, v17
.LBB67_39:
	v_mov_b32_e32 v5, 0
	ds_read_b32 v5, v5 offset:4
	s_waitcnt lgkmcnt(0)
	v_mul_f32_e32 v2, v2, v5
.LBB67_40:
	s_or_b64 exec, exec, s[2:3]
	v_cndmask_b32_e64 v5, 0, 1, s[10:11]
	v_cmp_gt_u32_e64 s[2:3], 2, v0
	v_cmp_ne_u32_e64 s[4:5], 1, v5
	ds_write_b32 v17, v3
	s_waitcnt lgkmcnt(0)
	; wave barrier
	s_and_saveexec_b64 s[6:7], s[2:3]
	s_cbranch_execz .LBB67_46
; %bb.41:
	s_and_b64 vcc, exec, s[4:5]
	s_cbranch_vccnz .LBB67_43
; %bb.42:
	ds_read_b32 v6, v17
	v_cmp_eq_u32_e32 vcc, 1, v0
	v_cndmask_b32_e32 v5, v1, v2, vcc
	v_cmp_eq_u32_e32 vcc, 2, v0
	v_cndmask_b32_e32 v3, v5, v3, vcc
	;; [unrolled: 2-line block ×3, first 2 shown]
	s_waitcnt lgkmcnt(0)
	v_mul_f32_e32 v3, v3, v6
	s_cbranch_execz .LBB67_44
	s_branch .LBB67_45
.LBB67_43:
                                        ; implicit-def: $vgpr3
.LBB67_44:
	ds_read_b32 v3, v17
.LBB67_45:
	v_mov_b32_e32 v5, 0
	ds_read2_b32 v[5:6], v5 offset0:2 offset1:5
	s_waitcnt lgkmcnt(0)
	v_fma_f32 v6, v2, v6, v3
	v_cndmask_b32_e64 v3, v3, v6, s[0:1]
	v_mul_f32_e32 v3, v3, v5
.LBB67_46:
	s_or_b64 exec, exec, s[6:7]
	v_cmp_ne_u32_e32 vcc, 3, v0
	ds_write_b32 v17, v4
	s_waitcnt lgkmcnt(0)
	; wave barrier
	s_and_saveexec_b64 s[6:7], vcc
	s_cbranch_execz .LBB67_54
; %bb.47:
	s_and_b64 vcc, exec, s[4:5]
	s_cbranch_vccnz .LBB67_49
; %bb.48:
	ds_read_b32 v6, v17
	v_cmp_eq_u32_e32 vcc, 1, v0
	v_cndmask_b32_e32 v5, v1, v2, vcc
	v_cmp_eq_u32_e32 vcc, 2, v0
	v_cndmask_b32_e32 v5, v5, v3, vcc
	;; [unrolled: 2-line block ×3, first 2 shown]
	s_waitcnt lgkmcnt(0)
	v_mul_f32_e32 v5, v5, v6
	s_cbranch_execz .LBB67_50
	s_branch .LBB67_51
.LBB67_49:
                                        ; implicit-def: $vgpr5
.LBB67_50:
	ds_read_b32 v5, v17
.LBB67_51:
	s_and_saveexec_b64 s[4:5], s[2:3]
	s_cbranch_execz .LBB67_53
; %bb.52:
	v_add_u32_e32 v0, 1, v0
	v_mov_b32_e32 v7, 0
	v_cmp_eq_u32_e32 vcc, 1, v0
	ds_read_b32 v8, v17 offset:4
	ds_read_b32 v7, v7 offset:24
	v_cndmask_b32_e32 v6, v1, v2, vcc
	v_cmp_eq_u32_e32 vcc, 2, v0
	v_cndmask_b32_e32 v6, v6, v3, vcc
	v_cmp_eq_u32_e32 vcc, 3, v0
	v_cndmask_b32_e32 v0, v6, v4, vcc
	s_waitcnt lgkmcnt(1)
	v_fmac_f32_e32 v5, v0, v8
	s_waitcnt lgkmcnt(0)
	v_fma_f32 v0, v3, v7, v5
	v_cndmask_b32_e64 v5, v5, v0, s[0:1]
.LBB67_53:
	s_or_b64 exec, exec, s[4:5]
	v_mov_b32_e32 v0, 0
	ds_read_b32 v0, v0 offset:12
	s_waitcnt lgkmcnt(0)
	v_mul_f32_e32 v4, v5, v0
.LBB67_54:
	s_or_b64 exec, exec, s[6:7]
	v_mov_b32_e32 v8, v4
	v_mov_b32_e32 v7, v3
	;; [unrolled: 1-line block ×4, first 2 shown]
.LBB67_55:
	flat_store_dword v[9:10], v5
	flat_store_dword v[11:12], v6
	flat_store_dword v[13:14], v7
	flat_store_dword v[15:16], v8
.LBB67_56:
	s_endpgm
	.section	.rodata,"a",@progbits
	.p2align	6, 0x0
	.amdhsa_kernel _ZN9rocsolver6v33100L18trti2_kernel_smallILi4EfPKPfEEv13rocblas_fill_17rocblas_diagonal_T1_iil
		.amdhsa_group_segment_fixed_size 32
		.amdhsa_private_segment_fixed_size 0
		.amdhsa_kernarg_size 32
		.amdhsa_user_sgpr_count 6
		.amdhsa_user_sgpr_private_segment_buffer 1
		.amdhsa_user_sgpr_dispatch_ptr 0
		.amdhsa_user_sgpr_queue_ptr 0
		.amdhsa_user_sgpr_kernarg_segment_ptr 1
		.amdhsa_user_sgpr_dispatch_id 0
		.amdhsa_user_sgpr_flat_scratch_init 0
		.amdhsa_user_sgpr_private_segment_size 0
		.amdhsa_uses_dynamic_stack 0
		.amdhsa_system_sgpr_private_segment_wavefront_offset 0
		.amdhsa_system_sgpr_workgroup_id_x 1
		.amdhsa_system_sgpr_workgroup_id_y 0
		.amdhsa_system_sgpr_workgroup_id_z 0
		.amdhsa_system_sgpr_workgroup_info 0
		.amdhsa_system_vgpr_workitem_id 0
		.amdhsa_next_free_vgpr 30
		.amdhsa_next_free_sgpr 14
		.amdhsa_reserve_vcc 1
		.amdhsa_reserve_flat_scratch 0
		.amdhsa_float_round_mode_32 0
		.amdhsa_float_round_mode_16_64 0
		.amdhsa_float_denorm_mode_32 3
		.amdhsa_float_denorm_mode_16_64 3
		.amdhsa_dx10_clamp 1
		.amdhsa_ieee_mode 1
		.amdhsa_fp16_overflow 0
		.amdhsa_exception_fp_ieee_invalid_op 0
		.amdhsa_exception_fp_denorm_src 0
		.amdhsa_exception_fp_ieee_div_zero 0
		.amdhsa_exception_fp_ieee_overflow 0
		.amdhsa_exception_fp_ieee_underflow 0
		.amdhsa_exception_fp_ieee_inexact 0
		.amdhsa_exception_int_div_zero 0
	.end_amdhsa_kernel
	.section	.text._ZN9rocsolver6v33100L18trti2_kernel_smallILi4EfPKPfEEv13rocblas_fill_17rocblas_diagonal_T1_iil,"axG",@progbits,_ZN9rocsolver6v33100L18trti2_kernel_smallILi4EfPKPfEEv13rocblas_fill_17rocblas_diagonal_T1_iil,comdat
.Lfunc_end67:
	.size	_ZN9rocsolver6v33100L18trti2_kernel_smallILi4EfPKPfEEv13rocblas_fill_17rocblas_diagonal_T1_iil, .Lfunc_end67-_ZN9rocsolver6v33100L18trti2_kernel_smallILi4EfPKPfEEv13rocblas_fill_17rocblas_diagonal_T1_iil
                                        ; -- End function
	.set _ZN9rocsolver6v33100L18trti2_kernel_smallILi4EfPKPfEEv13rocblas_fill_17rocblas_diagonal_T1_iil.num_vgpr, 30
	.set _ZN9rocsolver6v33100L18trti2_kernel_smallILi4EfPKPfEEv13rocblas_fill_17rocblas_diagonal_T1_iil.num_agpr, 0
	.set _ZN9rocsolver6v33100L18trti2_kernel_smallILi4EfPKPfEEv13rocblas_fill_17rocblas_diagonal_T1_iil.numbered_sgpr, 14
	.set _ZN9rocsolver6v33100L18trti2_kernel_smallILi4EfPKPfEEv13rocblas_fill_17rocblas_diagonal_T1_iil.num_named_barrier, 0
	.set _ZN9rocsolver6v33100L18trti2_kernel_smallILi4EfPKPfEEv13rocblas_fill_17rocblas_diagonal_T1_iil.private_seg_size, 0
	.set _ZN9rocsolver6v33100L18trti2_kernel_smallILi4EfPKPfEEv13rocblas_fill_17rocblas_diagonal_T1_iil.uses_vcc, 1
	.set _ZN9rocsolver6v33100L18trti2_kernel_smallILi4EfPKPfEEv13rocblas_fill_17rocblas_diagonal_T1_iil.uses_flat_scratch, 0
	.set _ZN9rocsolver6v33100L18trti2_kernel_smallILi4EfPKPfEEv13rocblas_fill_17rocblas_diagonal_T1_iil.has_dyn_sized_stack, 0
	.set _ZN9rocsolver6v33100L18trti2_kernel_smallILi4EfPKPfEEv13rocblas_fill_17rocblas_diagonal_T1_iil.has_recursion, 0
	.set _ZN9rocsolver6v33100L18trti2_kernel_smallILi4EfPKPfEEv13rocblas_fill_17rocblas_diagonal_T1_iil.has_indirect_call, 0
	.section	.AMDGPU.csdata,"",@progbits
; Kernel info:
; codeLenInByte = 1984
; TotalNumSgprs: 18
; NumVgprs: 30
; ScratchSize: 0
; MemoryBound: 0
; FloatMode: 240
; IeeeMode: 1
; LDSByteSize: 32 bytes/workgroup (compile time only)
; SGPRBlocks: 2
; VGPRBlocks: 7
; NumSGPRsForWavesPerEU: 18
; NumVGPRsForWavesPerEU: 30
; Occupancy: 8
; WaveLimiterHint : 1
; COMPUTE_PGM_RSRC2:SCRATCH_EN: 0
; COMPUTE_PGM_RSRC2:USER_SGPR: 6
; COMPUTE_PGM_RSRC2:TRAP_HANDLER: 0
; COMPUTE_PGM_RSRC2:TGID_X_EN: 1
; COMPUTE_PGM_RSRC2:TGID_Y_EN: 0
; COMPUTE_PGM_RSRC2:TGID_Z_EN: 0
; COMPUTE_PGM_RSRC2:TIDIG_COMP_CNT: 0
	.section	.text._ZN9rocsolver6v33100L18trti2_kernel_smallILi5EfPKPfEEv13rocblas_fill_17rocblas_diagonal_T1_iil,"axG",@progbits,_ZN9rocsolver6v33100L18trti2_kernel_smallILi5EfPKPfEEv13rocblas_fill_17rocblas_diagonal_T1_iil,comdat
	.globl	_ZN9rocsolver6v33100L18trti2_kernel_smallILi5EfPKPfEEv13rocblas_fill_17rocblas_diagonal_T1_iil ; -- Begin function _ZN9rocsolver6v33100L18trti2_kernel_smallILi5EfPKPfEEv13rocblas_fill_17rocblas_diagonal_T1_iil
	.p2align	8
	.type	_ZN9rocsolver6v33100L18trti2_kernel_smallILi5EfPKPfEEv13rocblas_fill_17rocblas_diagonal_T1_iil,@function
_ZN9rocsolver6v33100L18trti2_kernel_smallILi5EfPKPfEEv13rocblas_fill_17rocblas_diagonal_T1_iil: ; @_ZN9rocsolver6v33100L18trti2_kernel_smallILi5EfPKPfEEv13rocblas_fill_17rocblas_diagonal_T1_iil
; %bb.0:
	v_cmp_gt_u32_e32 vcc, 5, v0
	s_and_saveexec_b64 s[0:1], vcc
	s_cbranch_execz .LBB68_82
; %bb.1:
	s_load_dwordx2 s[0:1], s[4:5], 0x10
	s_load_dwordx4 s[12:15], s[4:5], 0x0
	s_ashr_i32 s7, s6, 31
	s_lshl_b64 s[2:3], s[6:7], 3
	v_lshlrev_b32_e32 v6, 2, v0
	s_waitcnt lgkmcnt(0)
	s_ashr_i32 s5, s0, 31
	s_add_u32 s2, s14, s2
	s_addc_u32 s3, s15, s3
	s_load_dwordx2 s[2:3], s[2:3], 0x0
	s_mov_b32 s4, s0
	s_lshl_b64 s[4:5], s[4:5], 2
	v_mov_b32_e32 v21, 0
	v_mov_b32_e32 v7, -1.0
	s_waitcnt lgkmcnt(0)
	s_add_u32 s0, s2, s4
	s_addc_u32 s4, s3, s5
	v_mov_b32_e32 v1, s4
	v_add_co_u32_e32 v11, vcc, s0, v6
	s_ashr_i32 s3, s1, 31
	s_mov_b32 s2, s1
	v_addc_co_u32_e32 v12, vcc, 0, v1, vcc
	s_lshl_b64 s[2:3], s[2:3], 2
	v_mov_b32_e32 v1, s3
	v_add_co_u32_e32 v13, vcc, s2, v11
	s_add_i32 s2, s1, s1
	v_addc_co_u32_e32 v14, vcc, v12, v1, vcc
	v_add_u32_e32 v1, s2, v0
	v_ashrrev_i32_e32 v2, 31, v1
	v_lshlrev_b64 v[2:3], 2, v[1:2]
	v_add_u32_e32 v1, s1, v1
	v_mov_b32_e32 v4, s4
	v_add_co_u32_e32 v15, vcc, s0, v2
	v_ashrrev_i32_e32 v2, 31, v1
	v_addc_co_u32_e32 v16, vcc, v4, v3, vcc
	v_lshlrev_b64 v[2:3], 2, v[1:2]
	v_add_u32_e32 v1, s1, v1
	v_add_co_u32_e32 v17, vcc, s0, v2
	v_ashrrev_i32_e32 v2, 31, v1
	v_lshlrev_b64 v[1:2], 2, v[1:2]
	v_addc_co_u32_e32 v18, vcc, v4, v3, vcc
	v_mov_b32_e32 v3, s4
	v_add_co_u32_e32 v19, vcc, s0, v1
	v_addc_co_u32_e32 v20, vcc, v3, v2, vcc
	flat_load_dword v1, v[11:12]
	flat_load_dword v2, v[13:14]
	;; [unrolled: 1-line block ×5, first 2 shown]
	s_cmpk_lg_i32 s13, 0x84
	s_cselect_b64 s[10:11], -1, 0
	s_cmpk_eq_i32 s13, 0x84
	v_cmp_eq_u32_e64 s[0:1], 0, v0
	s_cbranch_scc1 .LBB68_3
; %bb.2:
	v_cmp_eq_u32_e64 s[2:3], 1, v0
	s_waitcnt vmcnt(0) lgkmcnt(0)
	v_cndmask_b32_e64 v7, v1, v2, s[2:3]
	v_cmp_eq_u32_e64 s[4:5], 2, v0
	v_cndmask_b32_e64 v7, v7, v3, s[4:5]
	v_cmp_eq_u32_e64 s[6:7], 3, v0
	;; [unrolled: 2-line block ×3, first 2 shown]
	v_cndmask_b32_e64 v7, v7, v5, s[8:9]
	v_div_scale_f32 v8, s[14:15], v7, v7, 1.0
	v_div_scale_f32 v9, vcc, 1.0, v7, 1.0
	v_rcp_f32_e32 v10, v8
	v_fma_f32 v22, -v8, v10, 1.0
	v_fmac_f32_e32 v10, v22, v10
	v_mul_f32_e32 v22, v9, v10
	v_fma_f32 v23, -v8, v22, v9
	v_fmac_f32_e32 v22, v23, v10
	v_fma_f32 v8, -v8, v22, v9
	v_div_fmas_f32 v8, v8, v10, v22
	v_div_fixup_f32 v7, v8, v7, 1.0
	v_cndmask_b32_e64 v5, v5, v7, s[8:9]
	v_cndmask_b32_e64 v4, v4, v7, s[6:7]
	;; [unrolled: 1-line block ×5, first 2 shown]
	v_xor_b32_e32 v7, 0x80000000, v7
.LBB68_3:
	s_cmpk_eq_i32 s12, 0x79
	v_add_u32_e32 v22, 32, v6
	ds_write_b32 v6, v7
	s_cbranch_scc1 .LBB68_7
; %bb.4:
	s_waitcnt vmcnt(0) lgkmcnt(0)
	v_mov_b32_e32 v10, v5
	v_cmp_eq_u32_e64 s[0:1], 4, v0
	v_mov_b32_e32 v9, v4
	v_mov_b32_e32 v8, v3
	;; [unrolled: 1-line block ×4, first 2 shown]
	ds_write_b32 v22, v4
	s_waitcnt lgkmcnt(0)
	; wave barrier
	s_and_saveexec_b64 s[2:3], s[0:1]
	s_cbranch_execz .LBB68_11
; %bb.5:
	s_and_b64 vcc, exec, s[10:11]
	s_cbranch_vccz .LBB68_8
; %bb.6:
	v_cmp_eq_u32_e32 vcc, 1, v0
	ds_read_b32 v7, v22
	v_cndmask_b32_e32 v6, v1, v2, vcc
	v_cmp_eq_u32_e32 vcc, 2, v0
	v_cndmask_b32_e32 v6, v6, v3, vcc
	v_cmp_eq_u32_e32 vcc, 3, v0
	;; [unrolled: 2-line block ×3, first 2 shown]
	v_cndmask_b32_e32 v6, v6, v5, vcc
	s_waitcnt lgkmcnt(0)
	v_mul_f32_e32 v6, v6, v7
	s_cbranch_execz .LBB68_9
	s_branch .LBB68_10
.LBB68_7:
                                        ; implicit-def: $vgpr6_vgpr7_vgpr8_vgpr9_vgpr10
	s_cbranch_execnz .LBB68_50
	s_branch .LBB68_81
.LBB68_8:
                                        ; implicit-def: $vgpr6
.LBB68_9:
	ds_read_b32 v6, v22
.LBB68_10:
	v_mov_b32_e32 v7, 0
	ds_read_b32 v7, v7 offset:12
	s_waitcnt lgkmcnt(0)
	v_mul_f32_e32 v23, v6, v7
	v_mov_b32_e32 v10, v5
	v_mov_b32_e32 v9, v4
	;; [unrolled: 1-line block ×6, first 2 shown]
.LBB68_11:
	s_or_b64 exec, exec, s[2:3]
	v_cmp_lt_u32_e64 s[2:3], 2, v0
	ds_write_b32 v22, v8
	s_waitcnt lgkmcnt(0)
	; wave barrier
	s_and_saveexec_b64 s[4:5], s[2:3]
	s_cbranch_execz .LBB68_17
; %bb.12:
	s_andn2_b64 vcc, exec, s[10:11]
	s_cbranch_vccnz .LBB68_14
; %bb.13:
	v_cmp_eq_u32_e32 vcc, 1, v0
	v_cndmask_b32_e32 v23, v6, v7, vcc
	v_cmp_eq_u32_e32 vcc, 2, v0
	v_cndmask_b32_e32 v8, v23, v8, vcc
	ds_read_b32 v23, v22
	v_cmp_eq_u32_e32 vcc, 3, v0
	v_cndmask_b32_e32 v8, v8, v9, vcc
	v_cmp_eq_u32_e32 vcc, 4, v0
	v_cndmask_b32_e32 v8, v8, v10, vcc
	s_waitcnt lgkmcnt(0)
	v_mul_f32_e32 v8, v8, v23
	s_cbranch_execz .LBB68_15
	s_branch .LBB68_16
.LBB68_14:
                                        ; implicit-def: $vgpr8
.LBB68_15:
	ds_read_b32 v8, v22
.LBB68_16:
	v_mov_b32_e32 v23, 0
	ds_read2_b32 v[23:24], v23 offset0:2 offset1:11
	s_waitcnt lgkmcnt(0)
	v_fma_f32 v24, v9, v24, v8
	v_cndmask_b32_e64 v8, v8, v24, s[0:1]
	v_mul_f32_e32 v8, v8, v23
.LBB68_17:
	s_or_b64 exec, exec, s[4:5]
	v_cmp_lt_u32_e64 s[0:1], 1, v0
	ds_write_b32 v22, v7
	s_waitcnt lgkmcnt(0)
	; wave barrier
	s_and_saveexec_b64 s[6:7], s[0:1]
	s_cbranch_execz .LBB68_33
; %bb.18:
	s_andn2_b64 vcc, exec, s[10:11]
	s_cbranch_vccnz .LBB68_20
; %bb.19:
	v_cmp_eq_u32_e32 vcc, 1, v0
	ds_read_b32 v24, v22
	v_cndmask_b32_e32 v23, v6, v7, vcc
	v_cmp_eq_u32_e32 vcc, 2, v0
	v_cndmask_b32_e32 v23, v23, v8, vcc
	v_cmp_eq_u32_e32 vcc, 3, v0
	;; [unrolled: 2-line block ×3, first 2 shown]
	v_cndmask_b32_e32 v23, v23, v10, vcc
	s_waitcnt lgkmcnt(0)
	v_mul_f32_e32 v23, v23, v24
	s_cbranch_execz .LBB68_21
	s_branch .LBB68_22
.LBB68_20:
                                        ; implicit-def: $vgpr23
.LBB68_21:
	ds_read_b32 v23, v22
.LBB68_22:
	s_and_saveexec_b64 s[8:9], s[2:3]
	s_cbranch_execz .LBB68_32
; %bb.23:
	v_add_u32_e32 v25, -3, v0
	v_add_u32_e32 v24, -2, v0
	v_cmp_lt_u32_e32 vcc, 6, v25
	v_mov_b32_e32 v26, 2
	s_and_saveexec_b64 s[2:3], vcc
	s_cbranch_execz .LBB68_27
; %bb.24:
	v_and_b32_e32 v25, -8, v24
	v_sub_u32_e32 v25, 0, v25
	s_mov_b64 s[4:5], 9
	s_mov_b32 s14, 40
	s_mov_b64 s[12:13], 0
.LBB68_25:                              ; =>This Inner Loop Header: Depth=1
	s_add_i32 s15, s4, -7
	s_cmp_eq_u32 s15, 1
	s_cselect_b64 vcc, -1, 0
	s_cmp_eq_u32 s15, 2
	v_mov_b32_e32 v30, s14
	v_cndmask_b32_e32 v34, v6, v7, vcc
	s_cselect_b64 vcc, -1, 0
	s_cmp_eq_u32 s15, 3
	ds_read2_b64 v[26:29], v30 offset1:1
	ds_read2_b64 v[30:33], v30 offset0:2 offset1:3
	v_cndmask_b32_e32 v34, v34, v8, vcc
	s_cselect_b64 vcc, -1, 0
	s_cmp_eq_u32 s15, 4
	v_cndmask_b32_e32 v34, v34, v9, vcc
	s_cselect_b64 vcc, -1, 0
	s_add_i32 s15, s4, -6
	s_cmp_eq_u32 s15, 1
	v_cndmask_b32_e32 v34, v34, v10, vcc
	s_cselect_b64 vcc, -1, 0
	s_cmp_eq_u32 s15, 2
	s_waitcnt lgkmcnt(1)
	v_fmac_f32_e32 v23, v34, v26
	v_cndmask_b32_e32 v26, v6, v7, vcc
	s_cselect_b64 vcc, -1, 0
	s_cmp_eq_u32 s15, 3
	v_cndmask_b32_e32 v26, v26, v8, vcc
	s_cselect_b64 vcc, -1, 0
	s_cmp_eq_u32 s15, 4
	v_cndmask_b32_e32 v26, v26, v9, vcc
	s_cselect_b64 vcc, -1, 0
	s_add_i32 s15, s4, -5
	s_cmp_eq_u32 s15, 1
	v_cndmask_b32_e32 v26, v26, v10, vcc
	s_cselect_b64 vcc, -1, 0
	s_cmp_eq_u32 s15, 2
	v_fmac_f32_e32 v23, v26, v27
	v_cndmask_b32_e32 v26, v6, v7, vcc
	s_cselect_b64 vcc, -1, 0
	s_cmp_eq_u32 s15, 3
	v_cndmask_b32_e32 v26, v26, v8, vcc
	s_cselect_b64 vcc, -1, 0
	s_cmp_eq_u32 s15, 4
	v_cndmask_b32_e32 v26, v26, v9, vcc
	s_cselect_b64 vcc, -1, 0
	s_add_i32 s15, s4, -4
	s_cmp_eq_u32 s15, 1
	v_cndmask_b32_e32 v26, v26, v10, vcc
	s_cselect_b64 vcc, -1, 0
	s_cmp_eq_u32 s15, 2
	;; [unrolled: 14-line block ×4, first 2 shown]
	s_waitcnt lgkmcnt(0)
	v_fmac_f32_e32 v23, v26, v30
	v_cndmask_b32_e32 v26, v6, v7, vcc
	s_cselect_b64 vcc, -1, 0
	s_cmp_eq_u32 s15, 3
	v_cndmask_b32_e32 v26, v26, v8, vcc
	s_cselect_b64 vcc, -1, 0
	s_cmp_eq_u32 s15, 4
	v_cndmask_b32_e32 v26, v26, v9, vcc
	s_cselect_b64 vcc, -1, 0
	s_add_i32 s15, s4, -1
	s_cmp_eq_u32 s15, 1
	v_cndmask_b32_e32 v26, v26, v10, vcc
	s_cselect_b64 vcc, -1, 0
	s_cmp_eq_u32 s15, 2
	v_fmac_f32_e32 v23, v26, v31
	v_cndmask_b32_e32 v26, v6, v7, vcc
	s_cselect_b64 vcc, -1, 0
	s_cmp_eq_u32 s15, 3
	v_cndmask_b32_e32 v26, v26, v8, vcc
	s_cselect_b64 vcc, -1, 0
	s_cmp_eq_u32 s15, 4
	;; [unrolled: 3-line block ×4, first 2 shown]
	v_fmac_f32_e32 v23, v26, v32
	v_cndmask_b32_e32 v26, v6, v7, vcc
	s_cselect_b64 vcc, -1, 0
	s_cmp_eq_u32 s4, 3
	v_cndmask_b32_e32 v26, v26, v8, vcc
	s_cselect_b64 vcc, -1, 0
	s_cmp_eq_u32 s4, 4
	v_cndmask_b32_e32 v26, v26, v9, vcc
	s_cselect_b64 vcc, -1, 0
	v_cndmask_b32_e32 v26, v26, v10, vcc
	s_add_u32 s4, s4, 8
	v_fmac_f32_e32 v23, v26, v33
	v_add_u32_e32 v26, s4, v25
	s_addc_u32 s5, s5, 0
	s_add_i32 s14, s14, 32
	s_add_i32 s15, s4, -7
	v_cmp_eq_u32_e32 vcc, 9, v26
	s_or_b64 s[12:13], vcc, s[12:13]
	v_mov_b32_e32 v26, s15
	s_andn2_b64 exec, exec, s[12:13]
	s_cbranch_execnz .LBB68_25
; %bb.26:
	s_or_b64 exec, exec, s[12:13]
.LBB68_27:
	s_or_b64 exec, exec, s[2:3]
	v_and_b32_e32 v24, 7, v24
	v_cmp_ne_u32_e32 vcc, 0, v24
	s_and_saveexec_b64 s[12:13], vcc
	s_cbranch_execz .LBB68_31
; %bb.28:
	v_lshl_add_u32 v25, v26, 2, 32
	v_mov_b32_e32 v27, 0
	s_mov_b64 s[14:15], 0
.LBB68_29:                              ; =>This Inner Loop Header: Depth=1
	v_cmp_eq_u32_e32 vcc, 1, v26
	ds_read_b32 v29, v25
	v_cndmask_b32_e32 v28, v6, v7, vcc
	v_cmp_eq_u32_e32 vcc, 2, v26
	v_cndmask_b32_e32 v28, v28, v8, vcc
	v_cmp_eq_u32_e64 s[2:3], 3, v26
	v_add_u32_e32 v24, -1, v24
	v_cndmask_b32_e64 v28, v28, v9, s[2:3]
	v_cmp_eq_u32_e64 s[2:3], 4, v26
	v_cmp_eq_u32_e32 vcc, 0, v24
	v_add_co_u32_e64 v26, s[4:5], 1, v26
	v_cndmask_b32_e64 v28, v28, v10, s[2:3]
	v_add_u32_e32 v25, 4, v25
	v_addc_co_u32_e64 v27, s[4:5], 0, v27, s[4:5]
	s_or_b64 s[14:15], vcc, s[14:15]
	s_waitcnt lgkmcnt(0)
	v_fmac_f32_e32 v23, v28, v29
	s_andn2_b64 exec, exec, s[14:15]
	s_cbranch_execnz .LBB68_29
; %bb.30:
	s_or_b64 exec, exec, s[14:15]
.LBB68_31:
	s_or_b64 exec, exec, s[12:13]
.LBB68_32:
	s_or_b64 exec, exec, s[8:9]
	v_mov_b32_e32 v7, 0
	ds_read_b32 v7, v7 offset:4
	s_waitcnt lgkmcnt(0)
	v_mul_f32_e32 v7, v23, v7
.LBB68_33:
	s_or_b64 exec, exec, s[6:7]
	v_cmp_ne_u32_e32 vcc, 0, v0
	ds_write_b32 v22, v6
	s_waitcnt lgkmcnt(0)
	; wave barrier
	s_and_saveexec_b64 s[4:5], vcc
	s_cbranch_execz .LBB68_49
; %bb.34:
	s_andn2_b64 vcc, exec, s[10:11]
	s_cbranch_vccnz .LBB68_36
; %bb.35:
	v_cmp_eq_u32_e32 vcc, 1, v0
	ds_read_b32 v24, v22
	v_cndmask_b32_e32 v23, v6, v7, vcc
	v_cmp_eq_u32_e32 vcc, 2, v0
	v_cndmask_b32_e32 v23, v23, v8, vcc
	v_cmp_eq_u32_e32 vcc, 3, v0
	;; [unrolled: 2-line block ×3, first 2 shown]
	v_cndmask_b32_e32 v23, v23, v10, vcc
	s_waitcnt lgkmcnt(0)
	v_mul_f32_e32 v23, v23, v24
	s_cbranch_execz .LBB68_37
	s_branch .LBB68_38
.LBB68_36:
                                        ; implicit-def: $vgpr23
.LBB68_37:
	ds_read_b32 v23, v22
.LBB68_38:
	s_and_saveexec_b64 s[6:7], s[0:1]
	s_cbranch_execz .LBB68_48
; %bb.39:
	v_add_u32_e32 v25, -2, v0
	v_add_u32_e32 v24, -1, v0
	v_cmp_lt_u32_e32 vcc, 6, v25
	v_mov_b32_e32 v26, 1
	s_and_saveexec_b64 s[0:1], vcc
	s_cbranch_execz .LBB68_43
; %bb.40:
	v_and_b32_e32 v25, -8, v24
	v_sub_u32_e32 v25, 0, v25
	s_mov_b64 s[2:3], 8
	s_mov_b32 s12, 36
	s_mov_b64 s[8:9], 0
.LBB68_41:                              ; =>This Inner Loop Header: Depth=1
	s_add_i32 s13, s2, -7
	s_cmp_eq_u32 s13, 1
	s_cselect_b64 vcc, -1, 0
	s_cmp_eq_u32 s13, 2
	v_cndmask_b32_e32 v34, v6, v7, vcc
	s_cselect_b64 vcc, -1, 0
	s_cmp_eq_u32 s13, 3
	v_cndmask_b32_e32 v34, v34, v8, vcc
	s_cselect_b64 vcc, -1, 0
	s_cmp_eq_u32 s13, 4
	v_mov_b32_e32 v32, s12
	v_cndmask_b32_e32 v34, v34, v9, vcc
	s_cselect_b64 vcc, -1, 0
	s_add_i32 s13, s2, -6
	ds_read2_b32 v[26:27], v32 offset1:1
	ds_read2_b32 v[28:29], v32 offset0:2 offset1:3
	ds_read2_b32 v[30:31], v32 offset0:4 offset1:5
	;; [unrolled: 1-line block ×3, first 2 shown]
	s_cmp_eq_u32 s13, 1
	v_cndmask_b32_e32 v34, v34, v10, vcc
	s_cselect_b64 vcc, -1, 0
	s_cmp_eq_u32 s13, 2
	s_waitcnt lgkmcnt(3)
	v_fmac_f32_e32 v23, v34, v26
	v_cndmask_b32_e32 v26, v6, v7, vcc
	s_cselect_b64 vcc, -1, 0
	s_cmp_eq_u32 s13, 3
	v_cndmask_b32_e32 v26, v26, v8, vcc
	s_cselect_b64 vcc, -1, 0
	s_cmp_eq_u32 s13, 4
	v_cndmask_b32_e32 v26, v26, v9, vcc
	s_cselect_b64 vcc, -1, 0
	s_add_i32 s13, s2, -5
	s_cmp_eq_u32 s13, 1
	v_cndmask_b32_e32 v26, v26, v10, vcc
	s_cselect_b64 vcc, -1, 0
	s_cmp_eq_u32 s13, 2
	v_fmac_f32_e32 v23, v26, v27
	v_cndmask_b32_e32 v26, v6, v7, vcc
	s_cselect_b64 vcc, -1, 0
	s_cmp_eq_u32 s13, 3
	v_cndmask_b32_e32 v26, v26, v8, vcc
	s_cselect_b64 vcc, -1, 0
	s_cmp_eq_u32 s13, 4
	v_cndmask_b32_e32 v26, v26, v9, vcc
	s_cselect_b64 vcc, -1, 0
	s_add_i32 s13, s2, -4
	s_cmp_eq_u32 s13, 1
	v_cndmask_b32_e32 v26, v26, v10, vcc
	s_cselect_b64 vcc, -1, 0
	s_cmp_eq_u32 s13, 2
	s_waitcnt lgkmcnt(2)
	v_fmac_f32_e32 v23, v26, v28
	v_cndmask_b32_e32 v26, v6, v7, vcc
	s_cselect_b64 vcc, -1, 0
	s_cmp_eq_u32 s13, 3
	v_cndmask_b32_e32 v26, v26, v8, vcc
	s_cselect_b64 vcc, -1, 0
	s_cmp_eq_u32 s13, 4
	v_cndmask_b32_e32 v26, v26, v9, vcc
	s_cselect_b64 vcc, -1, 0
	s_add_i32 s13, s2, -3
	s_cmp_eq_u32 s13, 1
	v_cndmask_b32_e32 v26, v26, v10, vcc
	s_cselect_b64 vcc, -1, 0
	s_cmp_eq_u32 s13, 2
	v_fmac_f32_e32 v23, v26, v29
	v_cndmask_b32_e32 v26, v6, v7, vcc
	s_cselect_b64 vcc, -1, 0
	s_cmp_eq_u32 s13, 3
	v_cndmask_b32_e32 v26, v26, v8, vcc
	s_cselect_b64 vcc, -1, 0
	s_cmp_eq_u32 s13, 4
	v_cndmask_b32_e32 v26, v26, v9, vcc
	s_cselect_b64 vcc, -1, 0
	s_add_i32 s13, s2, -2
	s_cmp_eq_u32 s13, 1
	v_cndmask_b32_e32 v26, v26, v10, vcc
	s_cselect_b64 vcc, -1, 0
	s_cmp_eq_u32 s13, 2
	s_waitcnt lgkmcnt(1)
	v_fmac_f32_e32 v23, v26, v30
	v_cndmask_b32_e32 v26, v6, v7, vcc
	s_cselect_b64 vcc, -1, 0
	s_cmp_eq_u32 s13, 3
	v_cndmask_b32_e32 v26, v26, v8, vcc
	s_cselect_b64 vcc, -1, 0
	s_cmp_eq_u32 s13, 4
	v_cndmask_b32_e32 v26, v26, v9, vcc
	s_cselect_b64 vcc, -1, 0
	s_add_i32 s13, s2, -1
	s_cmp_eq_u32 s13, 1
	v_cndmask_b32_e32 v26, v26, v10, vcc
	s_cselect_b64 vcc, -1, 0
	s_cmp_eq_u32 s13, 2
	v_fmac_f32_e32 v23, v26, v31
	v_cndmask_b32_e32 v26, v6, v7, vcc
	s_cselect_b64 vcc, -1, 0
	s_cmp_eq_u32 s13, 3
	v_cndmask_b32_e32 v26, v26, v8, vcc
	s_cselect_b64 vcc, -1, 0
	s_cmp_eq_u32 s13, 4
	;; [unrolled: 3-line block ×4, first 2 shown]
	s_waitcnt lgkmcnt(0)
	v_fmac_f32_e32 v23, v26, v32
	v_cndmask_b32_e32 v26, v6, v7, vcc
	s_cselect_b64 vcc, -1, 0
	s_cmp_eq_u32 s2, 3
	v_cndmask_b32_e32 v26, v26, v8, vcc
	s_cselect_b64 vcc, -1, 0
	s_cmp_eq_u32 s2, 4
	v_cndmask_b32_e32 v26, v26, v9, vcc
	s_cselect_b64 vcc, -1, 0
	v_cndmask_b32_e32 v26, v26, v10, vcc
	s_add_u32 s2, s2, 8
	v_fmac_f32_e32 v23, v26, v33
	v_add_u32_e32 v26, s2, v25
	s_addc_u32 s3, s3, 0
	s_add_i32 s12, s12, 32
	s_add_i32 s13, s2, -7
	v_cmp_eq_u32_e32 vcc, 8, v26
	s_or_b64 s[8:9], vcc, s[8:9]
	v_mov_b32_e32 v26, s13
	s_andn2_b64 exec, exec, s[8:9]
	s_cbranch_execnz .LBB68_41
; %bb.42:
	s_or_b64 exec, exec, s[8:9]
.LBB68_43:
	s_or_b64 exec, exec, s[0:1]
	v_and_b32_e32 v24, 7, v24
	v_cmp_ne_u32_e32 vcc, 0, v24
	s_and_saveexec_b64 s[8:9], vcc
	s_cbranch_execz .LBB68_47
; %bb.44:
	v_lshl_add_u32 v25, v26, 2, 32
	v_mov_b32_e32 v27, 0
	s_mov_b64 s[12:13], 0
.LBB68_45:                              ; =>This Inner Loop Header: Depth=1
	v_cmp_eq_u32_e32 vcc, 1, v26
	ds_read_b32 v29, v25
	v_cndmask_b32_e32 v28, v6, v7, vcc
	v_cmp_eq_u32_e32 vcc, 2, v26
	v_cndmask_b32_e32 v28, v28, v8, vcc
	v_cmp_eq_u32_e64 s[0:1], 3, v26
	v_add_u32_e32 v24, -1, v24
	v_cndmask_b32_e64 v28, v28, v9, s[0:1]
	v_cmp_eq_u32_e64 s[0:1], 4, v26
	v_cmp_eq_u32_e32 vcc, 0, v24
	v_add_co_u32_e64 v26, s[2:3], 1, v26
	v_cndmask_b32_e64 v28, v28, v10, s[0:1]
	v_add_u32_e32 v25, 4, v25
	v_addc_co_u32_e64 v27, s[2:3], 0, v27, s[2:3]
	s_or_b64 s[12:13], vcc, s[12:13]
	s_waitcnt lgkmcnt(0)
	v_fmac_f32_e32 v23, v28, v29
	s_andn2_b64 exec, exec, s[12:13]
	s_cbranch_execnz .LBB68_45
; %bb.46:
	s_or_b64 exec, exec, s[12:13]
.LBB68_47:
	s_or_b64 exec, exec, s[8:9]
.LBB68_48:
	s_or_b64 exec, exec, s[6:7]
	v_mov_b32_e32 v6, 0
	ds_read_b32 v6, v6
	s_waitcnt lgkmcnt(0)
	v_mul_f32_e32 v6, v23, v6
.LBB68_49:
	s_or_b64 exec, exec, s[4:5]
	s_branch .LBB68_81
.LBB68_50:
	v_cmp_eq_u32_e64 s[0:1], 0, v0
	s_waitcnt vmcnt(0) lgkmcnt(0)
	ds_write_b32 v22, v2
	s_waitcnt lgkmcnt(0)
	; wave barrier
	s_and_saveexec_b64 s[2:3], s[0:1]
	s_cbranch_execz .LBB68_56
; %bb.51:
	s_and_b64 vcc, exec, s[10:11]
	s_cbranch_vccz .LBB68_53
; %bb.52:
	v_cmp_eq_u32_e32 vcc, 1, v0
	ds_read_b32 v6, v22
	v_cndmask_b32_e32 v2, v1, v2, vcc
	v_cmp_eq_u32_e32 vcc, 2, v0
	v_cndmask_b32_e32 v2, v2, v3, vcc
	v_cmp_eq_u32_e32 vcc, 3, v0
	;; [unrolled: 2-line block ×3, first 2 shown]
	v_cndmask_b32_e32 v2, v2, v5, vcc
	s_waitcnt lgkmcnt(0)
	v_mul_f32_e32 v2, v2, v6
	s_cbranch_execz .LBB68_54
	s_branch .LBB68_55
.LBB68_53:
                                        ; implicit-def: $vgpr2
.LBB68_54:
	ds_read_b32 v2, v22
.LBB68_55:
	v_mov_b32_e32 v6, 0
	ds_read_b32 v6, v6 offset:4
	s_waitcnt lgkmcnt(0)
	v_mul_f32_e32 v2, v2, v6
.LBB68_56:
	s_or_b64 exec, exec, s[2:3]
	v_cndmask_b32_e64 v6, 0, 1, s[10:11]
	v_cmp_gt_u32_e32 vcc, 2, v0
	v_cmp_ne_u32_e64 s[2:3], 1, v6
	ds_write_b32 v22, v3
	s_waitcnt lgkmcnt(0)
	; wave barrier
	s_and_saveexec_b64 s[4:5], vcc
	s_cbranch_execz .LBB68_62
; %bb.57:
	s_and_b64 vcc, exec, s[2:3]
	s_cbranch_vccnz .LBB68_59
; %bb.58:
	v_cmp_eq_u32_e32 vcc, 1, v0
	v_cndmask_b32_e32 v6, v1, v2, vcc
	v_cmp_eq_u32_e32 vcc, 2, v0
	v_cndmask_b32_e32 v3, v6, v3, vcc
	ds_read_b32 v6, v22
	v_cmp_eq_u32_e32 vcc, 3, v0
	v_cndmask_b32_e32 v3, v3, v4, vcc
	v_cmp_eq_u32_e32 vcc, 4, v0
	v_cndmask_b32_e32 v3, v3, v5, vcc
	s_waitcnt lgkmcnt(0)
	v_mul_f32_e32 v3, v3, v6
	s_cbranch_execz .LBB68_60
	s_branch .LBB68_61
.LBB68_59:
                                        ; implicit-def: $vgpr3
.LBB68_60:
	ds_read_b32 v3, v22
.LBB68_61:
	v_mov_b32_e32 v6, 0
	ds_read2_b32 v[6:7], v6 offset0:2 offset1:9
	s_waitcnt lgkmcnt(0)
	v_fma_f32 v7, v2, v7, v3
	v_cndmask_b32_e64 v3, v3, v7, s[0:1]
	v_mul_f32_e32 v3, v3, v6
.LBB68_62:
	s_or_b64 exec, exec, s[4:5]
	v_cmp_gt_u32_e64 s[4:5], 3, v0
	ds_write_b32 v22, v4
	s_waitcnt lgkmcnt(0)
	; wave barrier
	s_and_saveexec_b64 s[6:7], s[4:5]
	s_cbranch_execz .LBB68_70
; %bb.63:
	s_and_b64 vcc, exec, s[2:3]
	s_cbranch_vccnz .LBB68_65
; %bb.64:
	v_cmp_eq_u32_e32 vcc, 1, v0
	ds_read_b32 v7, v22
	v_cndmask_b32_e32 v6, v1, v2, vcc
	v_cmp_eq_u32_e32 vcc, 2, v0
	v_cndmask_b32_e32 v6, v6, v3, vcc
	v_cmp_eq_u32_e32 vcc, 3, v0
	;; [unrolled: 2-line block ×3, first 2 shown]
	v_cndmask_b32_e32 v6, v6, v5, vcc
	s_waitcnt lgkmcnt(0)
	v_mul_f32_e32 v6, v6, v7
	s_cbranch_execz .LBB68_66
	s_branch .LBB68_67
.LBB68_65:
                                        ; implicit-def: $vgpr6
.LBB68_66:
	ds_read_b32 v6, v22
.LBB68_67:
	v_cmp_ne_u32_e32 vcc, 2, v0
	s_and_saveexec_b64 s[8:9], vcc
	s_cbranch_execz .LBB68_69
; %bb.68:
	v_add_u32_e32 v7, 1, v0
	v_cmp_eq_u32_e32 vcc, 1, v7
	v_mov_b32_e32 v9, 0
	v_cndmask_b32_e32 v8, v1, v2, vcc
	v_cmp_eq_u32_e32 vcc, 2, v7
	ds_read_b32 v10, v22 offset:4
	ds_read_b32 v9, v9 offset:40
	v_cndmask_b32_e32 v8, v8, v3, vcc
	v_cmp_eq_u32_e32 vcc, 3, v7
	v_cndmask_b32_e32 v4, v8, v4, vcc
	v_cmp_eq_u32_e32 vcc, 4, v7
	v_cndmask_b32_e32 v4, v4, v5, vcc
	s_waitcnt lgkmcnt(1)
	v_fmac_f32_e32 v6, v4, v10
	s_waitcnt lgkmcnt(0)
	v_fma_f32 v4, v3, v9, v6
	v_cndmask_b32_e64 v6, v6, v4, s[0:1]
.LBB68_69:
	s_or_b64 exec, exec, s[8:9]
	v_mov_b32_e32 v4, 0
	ds_read_b32 v4, v4 offset:12
	s_waitcnt lgkmcnt(0)
	v_mul_f32_e32 v4, v6, v4
.LBB68_70:
	s_or_b64 exec, exec, s[6:7]
	v_cmp_ne_u32_e32 vcc, 4, v0
	ds_write_b32 v22, v5
	s_waitcnt lgkmcnt(0)
	; wave barrier
	s_and_saveexec_b64 s[6:7], vcc
	s_cbranch_execz .LBB68_80
; %bb.71:
	s_and_b64 vcc, exec, s[2:3]
	s_cbranch_vccnz .LBB68_73
; %bb.72:
	v_cmp_eq_u32_e32 vcc, 1, v0
	ds_read_b32 v7, v22
	v_cndmask_b32_e32 v6, v1, v2, vcc
	v_cmp_eq_u32_e32 vcc, 2, v0
	v_cndmask_b32_e32 v6, v6, v3, vcc
	v_cmp_eq_u32_e32 vcc, 3, v0
	;; [unrolled: 2-line block ×3, first 2 shown]
	v_cndmask_b32_e32 v6, v6, v5, vcc
	s_waitcnt lgkmcnt(0)
	v_mul_f32_e32 v6, v6, v7
	s_cbranch_execz .LBB68_74
	s_branch .LBB68_75
.LBB68_73:
                                        ; implicit-def: $vgpr6
.LBB68_74:
	ds_read_b32 v6, v22
.LBB68_75:
	s_and_saveexec_b64 s[2:3], s[4:5]
	s_cbranch_execz .LBB68_79
; %bb.76:
	v_lshl_add_u32 v7, v0, 2, 36
	s_mov_b64 s[4:5], 0
.LBB68_77:                              ; =>This Inner Loop Header: Depth=1
	v_add_co_u32_e32 v0, vcc, 1, v0
	v_addc_co_u32_e32 v21, vcc, 0, v21, vcc
	ds_read_b32 v8, v7
	v_cmp_eq_u32_e32 vcc, 1, v0
	v_cndmask_b32_e32 v9, v1, v2, vcc
	v_cmp_lt_u32_e32 vcc, 2, v0
	v_cmp_eq_u32_e64 s[0:1], 2, v0
	v_cndmask_b32_e64 v9, v9, v3, s[0:1]
	s_or_b64 s[4:5], vcc, s[4:5]
	v_cmp_eq_u32_e32 vcc, 3, v0
	v_cndmask_b32_e32 v9, v9, v4, vcc
	v_cmp_eq_u32_e32 vcc, 4, v0
	v_cndmask_b32_e32 v9, v9, v5, vcc
	v_add_u32_e32 v7, 4, v7
	s_waitcnt lgkmcnt(0)
	v_fmac_f32_e32 v6, v9, v8
	s_andn2_b64 exec, exec, s[4:5]
	s_cbranch_execnz .LBB68_77
; %bb.78:
	s_or_b64 exec, exec, s[4:5]
.LBB68_79:
	s_or_b64 exec, exec, s[2:3]
	v_mov_b32_e32 v0, 0
	ds_read_b32 v0, v0 offset:16
	s_waitcnt lgkmcnt(0)
	v_mul_f32_e32 v5, v6, v0
.LBB68_80:
	s_or_b64 exec, exec, s[6:7]
	v_mov_b32_e32 v10, v5
	v_mov_b32_e32 v9, v4
	;; [unrolled: 1-line block ×5, first 2 shown]
.LBB68_81:
	flat_store_dword v[11:12], v6
	flat_store_dword v[13:14], v7
	;; [unrolled: 1-line block ×5, first 2 shown]
.LBB68_82:
	s_endpgm
	.section	.rodata,"a",@progbits
	.p2align	6, 0x0
	.amdhsa_kernel _ZN9rocsolver6v33100L18trti2_kernel_smallILi5EfPKPfEEv13rocblas_fill_17rocblas_diagonal_T1_iil
		.amdhsa_group_segment_fixed_size 52
		.amdhsa_private_segment_fixed_size 0
		.amdhsa_kernarg_size 32
		.amdhsa_user_sgpr_count 6
		.amdhsa_user_sgpr_private_segment_buffer 1
		.amdhsa_user_sgpr_dispatch_ptr 0
		.amdhsa_user_sgpr_queue_ptr 0
		.amdhsa_user_sgpr_kernarg_segment_ptr 1
		.amdhsa_user_sgpr_dispatch_id 0
		.amdhsa_user_sgpr_flat_scratch_init 0
		.amdhsa_user_sgpr_private_segment_size 0
		.amdhsa_uses_dynamic_stack 0
		.amdhsa_system_sgpr_private_segment_wavefront_offset 0
		.amdhsa_system_sgpr_workgroup_id_x 1
		.amdhsa_system_sgpr_workgroup_id_y 0
		.amdhsa_system_sgpr_workgroup_id_z 0
		.amdhsa_system_sgpr_workgroup_info 0
		.amdhsa_system_vgpr_workitem_id 0
		.amdhsa_next_free_vgpr 35
		.amdhsa_next_free_sgpr 16
		.amdhsa_reserve_vcc 1
		.amdhsa_reserve_flat_scratch 0
		.amdhsa_float_round_mode_32 0
		.amdhsa_float_round_mode_16_64 0
		.amdhsa_float_denorm_mode_32 3
		.amdhsa_float_denorm_mode_16_64 3
		.amdhsa_dx10_clamp 1
		.amdhsa_ieee_mode 1
		.amdhsa_fp16_overflow 0
		.amdhsa_exception_fp_ieee_invalid_op 0
		.amdhsa_exception_fp_denorm_src 0
		.amdhsa_exception_fp_ieee_div_zero 0
		.amdhsa_exception_fp_ieee_overflow 0
		.amdhsa_exception_fp_ieee_underflow 0
		.amdhsa_exception_fp_ieee_inexact 0
		.amdhsa_exception_int_div_zero 0
	.end_amdhsa_kernel
	.section	.text._ZN9rocsolver6v33100L18trti2_kernel_smallILi5EfPKPfEEv13rocblas_fill_17rocblas_diagonal_T1_iil,"axG",@progbits,_ZN9rocsolver6v33100L18trti2_kernel_smallILi5EfPKPfEEv13rocblas_fill_17rocblas_diagonal_T1_iil,comdat
.Lfunc_end68:
	.size	_ZN9rocsolver6v33100L18trti2_kernel_smallILi5EfPKPfEEv13rocblas_fill_17rocblas_diagonal_T1_iil, .Lfunc_end68-_ZN9rocsolver6v33100L18trti2_kernel_smallILi5EfPKPfEEv13rocblas_fill_17rocblas_diagonal_T1_iil
                                        ; -- End function
	.set _ZN9rocsolver6v33100L18trti2_kernel_smallILi5EfPKPfEEv13rocblas_fill_17rocblas_diagonal_T1_iil.num_vgpr, 35
	.set _ZN9rocsolver6v33100L18trti2_kernel_smallILi5EfPKPfEEv13rocblas_fill_17rocblas_diagonal_T1_iil.num_agpr, 0
	.set _ZN9rocsolver6v33100L18trti2_kernel_smallILi5EfPKPfEEv13rocblas_fill_17rocblas_diagonal_T1_iil.numbered_sgpr, 16
	.set _ZN9rocsolver6v33100L18trti2_kernel_smallILi5EfPKPfEEv13rocblas_fill_17rocblas_diagonal_T1_iil.num_named_barrier, 0
	.set _ZN9rocsolver6v33100L18trti2_kernel_smallILi5EfPKPfEEv13rocblas_fill_17rocblas_diagonal_T1_iil.private_seg_size, 0
	.set _ZN9rocsolver6v33100L18trti2_kernel_smallILi5EfPKPfEEv13rocblas_fill_17rocblas_diagonal_T1_iil.uses_vcc, 1
	.set _ZN9rocsolver6v33100L18trti2_kernel_smallILi5EfPKPfEEv13rocblas_fill_17rocblas_diagonal_T1_iil.uses_flat_scratch, 0
	.set _ZN9rocsolver6v33100L18trti2_kernel_smallILi5EfPKPfEEv13rocblas_fill_17rocblas_diagonal_T1_iil.has_dyn_sized_stack, 0
	.set _ZN9rocsolver6v33100L18trti2_kernel_smallILi5EfPKPfEEv13rocblas_fill_17rocblas_diagonal_T1_iil.has_recursion, 0
	.set _ZN9rocsolver6v33100L18trti2_kernel_smallILi5EfPKPfEEv13rocblas_fill_17rocblas_diagonal_T1_iil.has_indirect_call, 0
	.section	.AMDGPU.csdata,"",@progbits
; Kernel info:
; codeLenInByte = 3316
; TotalNumSgprs: 20
; NumVgprs: 35
; ScratchSize: 0
; MemoryBound: 0
; FloatMode: 240
; IeeeMode: 1
; LDSByteSize: 52 bytes/workgroup (compile time only)
; SGPRBlocks: 2
; VGPRBlocks: 8
; NumSGPRsForWavesPerEU: 20
; NumVGPRsForWavesPerEU: 35
; Occupancy: 7
; WaveLimiterHint : 1
; COMPUTE_PGM_RSRC2:SCRATCH_EN: 0
; COMPUTE_PGM_RSRC2:USER_SGPR: 6
; COMPUTE_PGM_RSRC2:TRAP_HANDLER: 0
; COMPUTE_PGM_RSRC2:TGID_X_EN: 1
; COMPUTE_PGM_RSRC2:TGID_Y_EN: 0
; COMPUTE_PGM_RSRC2:TGID_Z_EN: 0
; COMPUTE_PGM_RSRC2:TIDIG_COMP_CNT: 0
	.section	.text._ZN9rocsolver6v33100L18trti2_kernel_smallILi6EfPKPfEEv13rocblas_fill_17rocblas_diagonal_T1_iil,"axG",@progbits,_ZN9rocsolver6v33100L18trti2_kernel_smallILi6EfPKPfEEv13rocblas_fill_17rocblas_diagonal_T1_iil,comdat
	.globl	_ZN9rocsolver6v33100L18trti2_kernel_smallILi6EfPKPfEEv13rocblas_fill_17rocblas_diagonal_T1_iil ; -- Begin function _ZN9rocsolver6v33100L18trti2_kernel_smallILi6EfPKPfEEv13rocblas_fill_17rocblas_diagonal_T1_iil
	.p2align	8
	.type	_ZN9rocsolver6v33100L18trti2_kernel_smallILi6EfPKPfEEv13rocblas_fill_17rocblas_diagonal_T1_iil,@function
_ZN9rocsolver6v33100L18trti2_kernel_smallILi6EfPKPfEEv13rocblas_fill_17rocblas_diagonal_T1_iil: ; @_ZN9rocsolver6v33100L18trti2_kernel_smallILi6EfPKPfEEv13rocblas_fill_17rocblas_diagonal_T1_iil
; %bb.0:
	v_cmp_gt_u32_e32 vcc, 6, v0
	s_and_saveexec_b64 s[0:1], vcc
	s_cbranch_execz .LBB69_108
; %bb.1:
	s_load_dwordx2 s[0:1], s[4:5], 0x10
	s_load_dwordx4 s[12:15], s[4:5], 0x0
	s_ashr_i32 s7, s6, 31
	s_lshl_b64 s[2:3], s[6:7], 3
	v_lshlrev_b32_e32 v8, 2, v0
	s_waitcnt lgkmcnt(0)
	s_ashr_i32 s5, s0, 31
	s_add_u32 s2, s14, s2
	s_addc_u32 s3, s15, s3
	s_load_dwordx2 s[2:3], s[2:3], 0x0
	s_mov_b32 s4, s0
	s_lshl_b64 s[4:5], s[4:5], 2
	v_mov_b32_e32 v9, -1.0
	s_waitcnt lgkmcnt(0)
	s_add_u32 s0, s2, s4
	s_addc_u32 s4, s3, s5
	v_mov_b32_e32 v1, s4
	v_add_co_u32_e32 v14, vcc, s0, v8
	s_ashr_i32 s3, s1, 31
	s_mov_b32 s2, s1
	v_addc_co_u32_e32 v15, vcc, 0, v1, vcc
	s_lshl_b64 s[2:3], s[2:3], 2
	v_mov_b32_e32 v1, s3
	v_add_co_u32_e32 v16, vcc, s2, v14
	s_add_i32 s2, s1, s1
	v_addc_co_u32_e32 v17, vcc, v15, v1, vcc
	v_add_u32_e32 v1, s2, v0
	v_ashrrev_i32_e32 v2, 31, v1
	v_lshlrev_b64 v[2:3], 2, v[1:2]
	v_add_u32_e32 v1, s1, v1
	v_mov_b32_e32 v4, s4
	v_add_co_u32_e32 v18, vcc, s0, v2
	v_ashrrev_i32_e32 v2, 31, v1
	v_addc_co_u32_e32 v19, vcc, v4, v3, vcc
	v_lshlrev_b64 v[2:3], 2, v[1:2]
	v_add_u32_e32 v1, s1, v1
	v_add_co_u32_e32 v20, vcc, s0, v2
	v_ashrrev_i32_e32 v2, 31, v1
	v_addc_co_u32_e32 v21, vcc, v4, v3, vcc
	v_lshlrev_b64 v[2:3], 2, v[1:2]
	v_add_u32_e32 v1, s1, v1
	v_add_co_u32_e32 v22, vcc, s0, v2
	v_ashrrev_i32_e32 v2, 31, v1
	v_lshlrev_b64 v[1:2], 2, v[1:2]
	v_addc_co_u32_e32 v23, vcc, v4, v3, vcc
	v_mov_b32_e32 v3, s4
	v_add_co_u32_e32 v24, vcc, s0, v1
	v_addc_co_u32_e32 v25, vcc, v3, v2, vcc
	flat_load_dword v2, v[14:15]
	flat_load_dword v3, v[16:17]
	;; [unrolled: 1-line block ×6, first 2 shown]
	s_cmpk_lg_i32 s13, 0x84
	v_mov_b32_e32 v1, 0
	s_cselect_b64 s[14:15], -1, 0
	s_cmpk_eq_i32 s13, 0x84
	v_cmp_eq_u32_e64 s[0:1], 0, v0
	s_cbranch_scc1 .LBB69_3
; %bb.2:
	v_cmp_eq_u32_e64 s[2:3], 1, v0
	s_waitcnt vmcnt(0) lgkmcnt(0)
	v_cndmask_b32_e64 v9, v2, v3, s[2:3]
	v_cmp_eq_u32_e64 s[4:5], 2, v0
	v_cndmask_b32_e64 v9, v9, v4, s[4:5]
	v_cmp_eq_u32_e64 s[6:7], 3, v0
	v_cndmask_b32_e64 v9, v9, v5, s[6:7]
	v_cmp_eq_u32_e64 s[8:9], 4, v0
	v_cndmask_b32_e64 v9, v9, v6, s[8:9]
	v_cmp_eq_u32_e64 s[10:11], 5, v0
	v_cndmask_b32_e64 v9, v9, v7, s[10:11]
	v_div_scale_f32 v10, s[16:17], v9, v9, 1.0
	v_div_scale_f32 v11, vcc, 1.0, v9, 1.0
	v_rcp_f32_e32 v12, v10
	v_fma_f32 v13, -v10, v12, 1.0
	v_fmac_f32_e32 v12, v13, v12
	v_mul_f32_e32 v13, v11, v12
	v_fma_f32 v26, -v10, v13, v11
	v_fmac_f32_e32 v13, v26, v12
	v_fma_f32 v10, -v10, v13, v11
	v_div_fmas_f32 v10, v10, v12, v13
	v_div_fixup_f32 v9, v10, v9, 1.0
	v_cndmask_b32_e64 v7, v7, v9, s[10:11]
	v_cndmask_b32_e64 v6, v6, v9, s[8:9]
	;; [unrolled: 1-line block ×6, first 2 shown]
	v_xor_b32_e32 v9, 0x80000000, v9
.LBB69_3:
	s_cmpk_eq_i32 s12, 0x79
	v_add_u32_e32 v26, 32, v8
	ds_write_b32 v8, v9
	s_cbranch_scc1 .LBB69_7
; %bb.4:
	s_waitcnt vmcnt(0) lgkmcnt(0)
	v_mov_b32_e32 v13, v7
	v_cmp_eq_u32_e64 s[0:1], 5, v0
	v_mov_b32_e32 v12, v6
	v_mov_b32_e32 v11, v5
	;; [unrolled: 1-line block ×5, first 2 shown]
	ds_write_b32 v26, v6
	s_waitcnt lgkmcnt(0)
	; wave barrier
	s_and_saveexec_b64 s[2:3], s[0:1]
	s_cbranch_execz .LBB69_11
; %bb.5:
	s_and_b64 vcc, exec, s[14:15]
	s_cbranch_vccz .LBB69_8
; %bb.6:
	v_cmp_eq_u32_e32 vcc, 1, v0
	v_cndmask_b32_e32 v8, v2, v3, vcc
	v_cmp_eq_u32_e32 vcc, 2, v0
	ds_read_b32 v9, v26
	v_cndmask_b32_e32 v8, v8, v4, vcc
	v_cmp_eq_u32_e32 vcc, 3, v0
	v_cndmask_b32_e32 v8, v8, v5, vcc
	v_cmp_eq_u32_e32 vcc, 4, v0
	;; [unrolled: 2-line block ×3, first 2 shown]
	v_cndmask_b32_e32 v8, v8, v7, vcc
	s_waitcnt lgkmcnt(0)
	v_mul_f32_e32 v8, v8, v9
	s_cbranch_execz .LBB69_9
	s_branch .LBB69_10
.LBB69_7:
                                        ; implicit-def: $vgpr8_vgpr9_vgpr10_vgpr11_vgpr12_vgpr13
	s_cbranch_execnz .LBB69_66
	s_branch .LBB69_107
.LBB69_8:
                                        ; implicit-def: $vgpr8
.LBB69_9:
	ds_read_b32 v8, v26
.LBB69_10:
	v_mov_b32_e32 v9, 0
	ds_read_b32 v9, v9 offset:16
	s_waitcnt lgkmcnt(0)
	v_mul_f32_e32 v27, v8, v9
	v_mov_b32_e32 v13, v7
	v_mov_b32_e32 v12, v6
	;; [unrolled: 1-line block ×7, first 2 shown]
.LBB69_11:
	s_or_b64 exec, exec, s[2:3]
	v_cmp_lt_u32_e64 s[2:3], 3, v0
	ds_write_b32 v26, v11
	s_waitcnt lgkmcnt(0)
	; wave barrier
	s_and_saveexec_b64 s[4:5], s[2:3]
	s_cbranch_execz .LBB69_17
; %bb.12:
	s_andn2_b64 vcc, exec, s[14:15]
	s_cbranch_vccnz .LBB69_14
; %bb.13:
	v_cmp_eq_u32_e32 vcc, 1, v0
	v_cndmask_b32_e32 v27, v8, v9, vcc
	v_cmp_eq_u32_e32 vcc, 2, v0
	v_cndmask_b32_e32 v27, v27, v10, vcc
	;; [unrolled: 2-line block ×3, first 2 shown]
	ds_read_b32 v27, v26
	v_cmp_eq_u32_e32 vcc, 4, v0
	v_cndmask_b32_e32 v11, v11, v12, vcc
	v_cmp_eq_u32_e32 vcc, 5, v0
	v_cndmask_b32_e32 v11, v11, v13, vcc
	s_waitcnt lgkmcnt(0)
	v_mul_f32_e32 v11, v11, v27
	s_cbranch_execz .LBB69_15
	s_branch .LBB69_16
.LBB69_14:
                                        ; implicit-def: $vgpr11
.LBB69_15:
	ds_read_b32 v11, v26
.LBB69_16:
	v_mov_b32_e32 v27, 0
	ds_read2_b32 v[27:28], v27 offset0:3 offset1:12
	s_waitcnt lgkmcnt(0)
	v_fma_f32 v28, v12, v28, v11
	v_cndmask_b32_e64 v11, v11, v28, s[0:1]
	v_mul_f32_e32 v11, v11, v27
.LBB69_17:
	s_or_b64 exec, exec, s[4:5]
	v_cmp_lt_u32_e64 s[0:1], 2, v0
	ds_write_b32 v26, v10
	s_waitcnt lgkmcnt(0)
	; wave barrier
	s_and_saveexec_b64 s[4:5], s[0:1]
	s_cbranch_execz .LBB69_33
; %bb.18:
	s_andn2_b64 vcc, exec, s[14:15]
	s_cbranch_vccnz .LBB69_20
; %bb.19:
	v_cmp_eq_u32_e32 vcc, 1, v0
	v_cndmask_b32_e32 v27, v8, v9, vcc
	v_cmp_eq_u32_e32 vcc, 2, v0
	ds_read_b32 v28, v26
	v_cndmask_b32_e32 v27, v27, v10, vcc
	v_cmp_eq_u32_e32 vcc, 3, v0
	v_cndmask_b32_e32 v27, v27, v11, vcc
	v_cmp_eq_u32_e32 vcc, 4, v0
	v_cndmask_b32_e32 v27, v27, v12, vcc
	v_cmp_eq_u32_e32 vcc, 5, v0
	v_cndmask_b32_e32 v27, v27, v13, vcc
	s_waitcnt lgkmcnt(0)
	v_mul_f32_e32 v27, v27, v28
	s_cbranch_execz .LBB69_21
	s_branch .LBB69_22
.LBB69_20:
                                        ; implicit-def: $vgpr27
.LBB69_21:
	ds_read_b32 v27, v26
.LBB69_22:
	s_and_saveexec_b64 s[6:7], s[2:3]
	s_cbranch_execz .LBB69_32
; %bb.23:
	v_add_u32_e32 v29, -4, v0
	v_add_u32_e32 v28, -3, v0
	v_cmp_lt_u32_e32 vcc, 6, v29
	v_mov_b32_e32 v30, 3
	s_and_saveexec_b64 s[2:3], vcc
	s_cbranch_execz .LBB69_27
; %bb.24:
	v_and_b32_e32 v29, -8, v28
	v_sub_u32_e32 v29, 0, v29
	s_mov_b64 s[8:9], 10
	s_mov_b32 s12, 44
	s_mov_b64 s[10:11], 0
.LBB69_25:                              ; =>This Inner Loop Header: Depth=1
	s_add_i32 s13, s8, -7
	s_cmp_eq_u32 s13, 1
	s_cselect_b64 vcc, -1, 0
	s_cmp_eq_u32 s13, 2
	v_cndmask_b32_e32 v38, v8, v9, vcc
	s_cselect_b64 vcc, -1, 0
	s_cmp_eq_u32 s13, 3
	v_cndmask_b32_e32 v38, v38, v10, vcc
	;; [unrolled: 3-line block ×3, first 2 shown]
	s_cselect_b64 vcc, -1, 0
	s_cmp_eq_u32 s13, 5
	v_mov_b32_e32 v36, s12
	v_cndmask_b32_e32 v38, v38, v12, vcc
	s_cselect_b64 vcc, -1, 0
	s_add_i32 s13, s8, -6
	ds_read2_b32 v[30:31], v36 offset1:1
	ds_read2_b32 v[32:33], v36 offset0:2 offset1:3
	ds_read2_b32 v[34:35], v36 offset0:4 offset1:5
	;; [unrolled: 1-line block ×3, first 2 shown]
	s_cmp_eq_u32 s13, 1
	v_cndmask_b32_e32 v38, v38, v13, vcc
	s_cselect_b64 vcc, -1, 0
	s_cmp_eq_u32 s13, 2
	s_waitcnt lgkmcnt(3)
	v_fmac_f32_e32 v27, v38, v30
	v_cndmask_b32_e32 v30, v8, v9, vcc
	s_cselect_b64 vcc, -1, 0
	s_cmp_eq_u32 s13, 3
	v_cndmask_b32_e32 v30, v30, v10, vcc
	s_cselect_b64 vcc, -1, 0
	s_cmp_eq_u32 s13, 4
	;; [unrolled: 3-line block ×3, first 2 shown]
	v_cndmask_b32_e32 v30, v30, v12, vcc
	s_cselect_b64 vcc, -1, 0
	s_add_i32 s13, s8, -5
	s_cmp_eq_u32 s13, 1
	v_cndmask_b32_e32 v30, v30, v13, vcc
	s_cselect_b64 vcc, -1, 0
	s_cmp_eq_u32 s13, 2
	v_fmac_f32_e32 v27, v30, v31
	v_cndmask_b32_e32 v30, v8, v9, vcc
	s_cselect_b64 vcc, -1, 0
	s_cmp_eq_u32 s13, 3
	v_cndmask_b32_e32 v30, v30, v10, vcc
	s_cselect_b64 vcc, -1, 0
	s_cmp_eq_u32 s13, 4
	;; [unrolled: 3-line block ×3, first 2 shown]
	v_cndmask_b32_e32 v30, v30, v12, vcc
	s_cselect_b64 vcc, -1, 0
	s_add_i32 s13, s8, -4
	s_cmp_eq_u32 s13, 1
	v_cndmask_b32_e32 v30, v30, v13, vcc
	s_cselect_b64 vcc, -1, 0
	s_cmp_eq_u32 s13, 2
	s_waitcnt lgkmcnt(2)
	v_fmac_f32_e32 v27, v30, v32
	v_cndmask_b32_e32 v30, v8, v9, vcc
	s_cselect_b64 vcc, -1, 0
	s_cmp_eq_u32 s13, 3
	v_cndmask_b32_e32 v30, v30, v10, vcc
	s_cselect_b64 vcc, -1, 0
	s_cmp_eq_u32 s13, 4
	;; [unrolled: 3-line block ×3, first 2 shown]
	v_cndmask_b32_e32 v30, v30, v12, vcc
	s_cselect_b64 vcc, -1, 0
	s_add_i32 s13, s8, -3
	s_cmp_eq_u32 s13, 1
	v_cndmask_b32_e32 v30, v30, v13, vcc
	s_cselect_b64 vcc, -1, 0
	s_cmp_eq_u32 s13, 2
	v_fmac_f32_e32 v27, v30, v33
	v_cndmask_b32_e32 v30, v8, v9, vcc
	s_cselect_b64 vcc, -1, 0
	s_cmp_eq_u32 s13, 3
	v_cndmask_b32_e32 v30, v30, v10, vcc
	s_cselect_b64 vcc, -1, 0
	s_cmp_eq_u32 s13, 4
	;; [unrolled: 3-line block ×3, first 2 shown]
	v_cndmask_b32_e32 v30, v30, v12, vcc
	s_cselect_b64 vcc, -1, 0
	s_add_i32 s13, s8, -2
	s_cmp_eq_u32 s13, 1
	v_cndmask_b32_e32 v30, v30, v13, vcc
	s_cselect_b64 vcc, -1, 0
	s_cmp_eq_u32 s13, 2
	s_waitcnt lgkmcnt(1)
	v_fmac_f32_e32 v27, v30, v34
	v_cndmask_b32_e32 v30, v8, v9, vcc
	s_cselect_b64 vcc, -1, 0
	s_cmp_eq_u32 s13, 3
	v_cndmask_b32_e32 v30, v30, v10, vcc
	s_cselect_b64 vcc, -1, 0
	s_cmp_eq_u32 s13, 4
	;; [unrolled: 3-line block ×3, first 2 shown]
	v_cndmask_b32_e32 v30, v30, v12, vcc
	s_cselect_b64 vcc, -1, 0
	s_add_i32 s13, s8, -1
	s_cmp_eq_u32 s13, 1
	v_cndmask_b32_e32 v30, v30, v13, vcc
	s_cselect_b64 vcc, -1, 0
	s_cmp_eq_u32 s13, 2
	v_fmac_f32_e32 v27, v30, v35
	v_cndmask_b32_e32 v30, v8, v9, vcc
	s_cselect_b64 vcc, -1, 0
	s_cmp_eq_u32 s13, 3
	v_cndmask_b32_e32 v30, v30, v10, vcc
	s_cselect_b64 vcc, -1, 0
	s_cmp_eq_u32 s13, 4
	;; [unrolled: 3-line block ×5, first 2 shown]
	s_waitcnt lgkmcnt(0)
	v_fmac_f32_e32 v27, v30, v36
	v_cndmask_b32_e32 v30, v8, v9, vcc
	s_cselect_b64 vcc, -1, 0
	s_cmp_eq_u32 s8, 3
	v_cndmask_b32_e32 v30, v30, v10, vcc
	s_cselect_b64 vcc, -1, 0
	s_cmp_eq_u32 s8, 4
	;; [unrolled: 3-line block ×3, first 2 shown]
	v_cndmask_b32_e32 v30, v30, v12, vcc
	s_cselect_b64 vcc, -1, 0
	s_add_u32 s8, s8, 8
	v_add_u32_e32 v31, s8, v29
	v_cndmask_b32_e32 v30, v30, v13, vcc
	s_addc_u32 s9, s9, 0
	s_add_i32 s12, s12, 32
	s_add_i32 s13, s8, -7
	v_cmp_eq_u32_e32 vcc, 10, v31
	v_fmac_f32_e32 v27, v30, v37
	s_or_b64 s[10:11], vcc, s[10:11]
	v_mov_b32_e32 v30, s13
	s_andn2_b64 exec, exec, s[10:11]
	s_cbranch_execnz .LBB69_25
; %bb.26:
	s_or_b64 exec, exec, s[10:11]
.LBB69_27:
	s_or_b64 exec, exec, s[2:3]
	v_and_b32_e32 v28, 7, v28
	v_cmp_ne_u32_e32 vcc, 0, v28
	s_and_saveexec_b64 s[8:9], vcc
	s_cbranch_execz .LBB69_31
; %bb.28:
	v_lshl_add_u32 v29, v30, 2, 32
	v_mov_b32_e32 v31, 0
	s_mov_b64 s[10:11], 0
.LBB69_29:                              ; =>This Inner Loop Header: Depth=1
	v_cmp_eq_u32_e32 vcc, 1, v30
	v_cndmask_b32_e32 v32, v8, v9, vcc
	ds_read_b32 v33, v29
	v_add_u32_e32 v28, -1, v28
	v_cmp_eq_u32_e32 vcc, 2, v30
	v_cndmask_b32_e32 v32, v32, v10, vcc
	v_cmp_eq_u32_e32 vcc, 0, v28
	v_cmp_eq_u32_e64 s[2:3], 3, v30
	v_cndmask_b32_e64 v32, v32, v11, s[2:3]
	s_or_b64 s[10:11], vcc, s[10:11]
	v_cmp_eq_u32_e32 vcc, 4, v30
	v_cndmask_b32_e32 v32, v32, v12, vcc
	v_cmp_eq_u32_e32 vcc, 5, v30
	v_add_co_u32_e64 v30, s[2:3], 1, v30
	v_cndmask_b32_e32 v32, v32, v13, vcc
	v_add_u32_e32 v29, 4, v29
	v_addc_co_u32_e64 v31, s[2:3], 0, v31, s[2:3]
	s_waitcnt lgkmcnt(0)
	v_fmac_f32_e32 v27, v32, v33
	s_andn2_b64 exec, exec, s[10:11]
	s_cbranch_execnz .LBB69_29
; %bb.30:
	s_or_b64 exec, exec, s[10:11]
.LBB69_31:
	s_or_b64 exec, exec, s[8:9]
.LBB69_32:
	s_or_b64 exec, exec, s[6:7]
	v_mov_b32_e32 v10, 0
	ds_read_b32 v10, v10 offset:8
	s_waitcnt lgkmcnt(0)
	v_mul_f32_e32 v10, v27, v10
.LBB69_33:
	s_or_b64 exec, exec, s[4:5]
	v_cmp_lt_u32_e64 s[2:3], 1, v0
	ds_write_b32 v26, v9
	s_waitcnt lgkmcnt(0)
	; wave barrier
	s_and_saveexec_b64 s[4:5], s[2:3]
	s_cbranch_execz .LBB69_49
; %bb.34:
	s_andn2_b64 vcc, exec, s[14:15]
	s_cbranch_vccnz .LBB69_36
; %bb.35:
	v_cmp_eq_u32_e32 vcc, 1, v0
	v_cndmask_b32_e32 v27, v8, v9, vcc
	v_cmp_eq_u32_e32 vcc, 2, v0
	ds_read_b32 v28, v26
	v_cndmask_b32_e32 v27, v27, v10, vcc
	v_cmp_eq_u32_e32 vcc, 3, v0
	v_cndmask_b32_e32 v27, v27, v11, vcc
	v_cmp_eq_u32_e32 vcc, 4, v0
	;; [unrolled: 2-line block ×3, first 2 shown]
	v_cndmask_b32_e32 v27, v27, v13, vcc
	s_waitcnt lgkmcnt(0)
	v_mul_f32_e32 v27, v27, v28
	s_cbranch_execz .LBB69_37
	s_branch .LBB69_38
.LBB69_36:
                                        ; implicit-def: $vgpr27
.LBB69_37:
	ds_read_b32 v27, v26
.LBB69_38:
	s_and_saveexec_b64 s[6:7], s[0:1]
	s_cbranch_execz .LBB69_48
; %bb.39:
	v_add_u32_e32 v29, -3, v0
	v_add_u32_e32 v28, -2, v0
	v_cmp_lt_u32_e32 vcc, 6, v29
	v_mov_b32_e32 v30, 2
	s_and_saveexec_b64 s[0:1], vcc
	s_cbranch_execz .LBB69_43
; %bb.40:
	v_and_b32_e32 v29, -8, v28
	v_sub_u32_e32 v29, 0, v29
	s_mov_b64 s[8:9], 9
	s_mov_b32 s12, 40
	s_mov_b64 s[10:11], 0
.LBB69_41:                              ; =>This Inner Loop Header: Depth=1
	s_add_i32 s13, s8, -7
	s_cmp_eq_u32 s13, 1
	s_cselect_b64 vcc, -1, 0
	s_cmp_eq_u32 s13, 2
	v_cndmask_b32_e32 v38, v8, v9, vcc
	s_cselect_b64 vcc, -1, 0
	s_cmp_eq_u32 s13, 3
	v_mov_b32_e32 v34, s12
	v_cndmask_b32_e32 v38, v38, v10, vcc
	s_cselect_b64 vcc, -1, 0
	s_cmp_eq_u32 s13, 4
	ds_read2_b64 v[30:33], v34 offset1:1
	ds_read2_b64 v[34:37], v34 offset0:2 offset1:3
	v_cndmask_b32_e32 v38, v38, v11, vcc
	s_cselect_b64 vcc, -1, 0
	s_cmp_eq_u32 s13, 5
	v_cndmask_b32_e32 v38, v38, v12, vcc
	s_cselect_b64 vcc, -1, 0
	s_add_i32 s13, s8, -6
	s_cmp_eq_u32 s13, 1
	v_cndmask_b32_e32 v38, v38, v13, vcc
	s_cselect_b64 vcc, -1, 0
	s_cmp_eq_u32 s13, 2
	s_waitcnt lgkmcnt(1)
	v_fmac_f32_e32 v27, v38, v30
	v_cndmask_b32_e32 v30, v8, v9, vcc
	s_cselect_b64 vcc, -1, 0
	s_cmp_eq_u32 s13, 3
	v_cndmask_b32_e32 v30, v30, v10, vcc
	s_cselect_b64 vcc, -1, 0
	s_cmp_eq_u32 s13, 4
	v_cndmask_b32_e32 v30, v30, v11, vcc
	s_cselect_b64 vcc, -1, 0
	s_cmp_eq_u32 s13, 5
	v_cndmask_b32_e32 v30, v30, v12, vcc
	s_cselect_b64 vcc, -1, 0
	s_add_i32 s13, s8, -5
	s_cmp_eq_u32 s13, 1
	v_cndmask_b32_e32 v30, v30, v13, vcc
	s_cselect_b64 vcc, -1, 0
	s_cmp_eq_u32 s13, 2
	v_fmac_f32_e32 v27, v30, v31
	v_cndmask_b32_e32 v30, v8, v9, vcc
	s_cselect_b64 vcc, -1, 0
	s_cmp_eq_u32 s13, 3
	v_cndmask_b32_e32 v30, v30, v10, vcc
	s_cselect_b64 vcc, -1, 0
	s_cmp_eq_u32 s13, 4
	v_cndmask_b32_e32 v30, v30, v11, vcc
	s_cselect_b64 vcc, -1, 0
	s_cmp_eq_u32 s13, 5
	v_cndmask_b32_e32 v30, v30, v12, vcc
	s_cselect_b64 vcc, -1, 0
	s_add_i32 s13, s8, -4
	s_cmp_eq_u32 s13, 1
	v_cndmask_b32_e32 v30, v30, v13, vcc
	s_cselect_b64 vcc, -1, 0
	s_cmp_eq_u32 s13, 2
	;; [unrolled: 17-line block ×4, first 2 shown]
	s_waitcnt lgkmcnt(0)
	v_fmac_f32_e32 v27, v30, v34
	v_cndmask_b32_e32 v30, v8, v9, vcc
	s_cselect_b64 vcc, -1, 0
	s_cmp_eq_u32 s13, 3
	v_cndmask_b32_e32 v30, v30, v10, vcc
	s_cselect_b64 vcc, -1, 0
	s_cmp_eq_u32 s13, 4
	;; [unrolled: 3-line block ×3, first 2 shown]
	v_cndmask_b32_e32 v30, v30, v12, vcc
	s_cselect_b64 vcc, -1, 0
	s_add_i32 s13, s8, -1
	s_cmp_eq_u32 s13, 1
	v_cndmask_b32_e32 v30, v30, v13, vcc
	s_cselect_b64 vcc, -1, 0
	s_cmp_eq_u32 s13, 2
	v_fmac_f32_e32 v27, v30, v35
	v_cndmask_b32_e32 v30, v8, v9, vcc
	s_cselect_b64 vcc, -1, 0
	s_cmp_eq_u32 s13, 3
	v_cndmask_b32_e32 v30, v30, v10, vcc
	s_cselect_b64 vcc, -1, 0
	s_cmp_eq_u32 s13, 4
	;; [unrolled: 3-line block ×5, first 2 shown]
	v_fmac_f32_e32 v27, v30, v36
	v_cndmask_b32_e32 v30, v8, v9, vcc
	s_cselect_b64 vcc, -1, 0
	s_cmp_eq_u32 s8, 3
	v_cndmask_b32_e32 v30, v30, v10, vcc
	s_cselect_b64 vcc, -1, 0
	s_cmp_eq_u32 s8, 4
	;; [unrolled: 3-line block ×3, first 2 shown]
	v_cndmask_b32_e32 v30, v30, v12, vcc
	s_cselect_b64 vcc, -1, 0
	v_cndmask_b32_e32 v30, v30, v13, vcc
	s_add_u32 s8, s8, 8
	v_fmac_f32_e32 v27, v30, v37
	v_add_u32_e32 v30, s8, v29
	s_addc_u32 s9, s9, 0
	s_add_i32 s12, s12, 32
	s_add_i32 s13, s8, -7
	v_cmp_eq_u32_e32 vcc, 9, v30
	s_or_b64 s[10:11], vcc, s[10:11]
	v_mov_b32_e32 v30, s13
	s_andn2_b64 exec, exec, s[10:11]
	s_cbranch_execnz .LBB69_41
; %bb.42:
	s_or_b64 exec, exec, s[10:11]
.LBB69_43:
	s_or_b64 exec, exec, s[0:1]
	v_and_b32_e32 v28, 7, v28
	v_cmp_ne_u32_e32 vcc, 0, v28
	s_and_saveexec_b64 s[8:9], vcc
	s_cbranch_execz .LBB69_47
; %bb.44:
	v_lshl_add_u32 v29, v30, 2, 32
	v_mov_b32_e32 v31, 0
	s_mov_b64 s[10:11], 0
.LBB69_45:                              ; =>This Inner Loop Header: Depth=1
	v_cmp_eq_u32_e32 vcc, 1, v30
	v_cndmask_b32_e32 v32, v8, v9, vcc
	ds_read_b32 v33, v29
	v_add_u32_e32 v28, -1, v28
	v_cmp_eq_u32_e32 vcc, 2, v30
	v_cndmask_b32_e32 v32, v32, v10, vcc
	v_cmp_eq_u32_e32 vcc, 0, v28
	v_cmp_eq_u32_e64 s[0:1], 3, v30
	v_cndmask_b32_e64 v32, v32, v11, s[0:1]
	s_or_b64 s[10:11], vcc, s[10:11]
	v_cmp_eq_u32_e32 vcc, 4, v30
	v_cndmask_b32_e32 v32, v32, v12, vcc
	v_cmp_eq_u32_e32 vcc, 5, v30
	v_add_co_u32_e64 v30, s[0:1], 1, v30
	v_cndmask_b32_e32 v32, v32, v13, vcc
	v_add_u32_e32 v29, 4, v29
	v_addc_co_u32_e64 v31, s[0:1], 0, v31, s[0:1]
	s_waitcnt lgkmcnt(0)
	v_fmac_f32_e32 v27, v32, v33
	s_andn2_b64 exec, exec, s[10:11]
	s_cbranch_execnz .LBB69_45
; %bb.46:
	s_or_b64 exec, exec, s[10:11]
.LBB69_47:
	s_or_b64 exec, exec, s[8:9]
.LBB69_48:
	s_or_b64 exec, exec, s[6:7]
	v_mov_b32_e32 v9, 0
	ds_read_b32 v9, v9 offset:4
	s_waitcnt lgkmcnt(0)
	v_mul_f32_e32 v9, v27, v9
.LBB69_49:
	s_or_b64 exec, exec, s[4:5]
	v_cmp_ne_u32_e32 vcc, 0, v0
	ds_write_b32 v26, v8
	s_waitcnt lgkmcnt(0)
	; wave barrier
	s_and_saveexec_b64 s[4:5], vcc
	s_cbranch_execz .LBB69_65
; %bb.50:
	s_andn2_b64 vcc, exec, s[14:15]
	s_cbranch_vccnz .LBB69_52
; %bb.51:
	v_cmp_eq_u32_e32 vcc, 1, v0
	v_cndmask_b32_e32 v27, v8, v9, vcc
	v_cmp_eq_u32_e32 vcc, 2, v0
	ds_read_b32 v28, v26
	v_cndmask_b32_e32 v27, v27, v10, vcc
	v_cmp_eq_u32_e32 vcc, 3, v0
	v_cndmask_b32_e32 v27, v27, v11, vcc
	v_cmp_eq_u32_e32 vcc, 4, v0
	;; [unrolled: 2-line block ×3, first 2 shown]
	v_cndmask_b32_e32 v27, v27, v13, vcc
	s_waitcnt lgkmcnt(0)
	v_mul_f32_e32 v27, v27, v28
	s_cbranch_execz .LBB69_53
	s_branch .LBB69_54
.LBB69_52:
                                        ; implicit-def: $vgpr27
.LBB69_53:
	ds_read_b32 v27, v26
.LBB69_54:
	s_and_saveexec_b64 s[6:7], s[2:3]
	s_cbranch_execz .LBB69_64
; %bb.55:
	v_add_u32_e32 v29, -2, v0
	v_add_u32_e32 v28, -1, v0
	v_cmp_lt_u32_e32 vcc, 6, v29
	v_mov_b32_e32 v30, 1
	s_and_saveexec_b64 s[0:1], vcc
	s_cbranch_execz .LBB69_59
; %bb.56:
	v_and_b32_e32 v29, -8, v28
	v_sub_u32_e32 v29, 0, v29
	s_mov_b64 s[2:3], 8
	s_mov_b32 s10, 36
	s_mov_b64 s[8:9], 0
.LBB69_57:                              ; =>This Inner Loop Header: Depth=1
	s_add_i32 s11, s2, -7
	s_cmp_eq_u32 s11, 1
	s_cselect_b64 vcc, -1, 0
	s_cmp_eq_u32 s11, 2
	v_cndmask_b32_e32 v38, v8, v9, vcc
	s_cselect_b64 vcc, -1, 0
	s_cmp_eq_u32 s11, 3
	v_cndmask_b32_e32 v38, v38, v10, vcc
	;; [unrolled: 3-line block ×3, first 2 shown]
	s_cselect_b64 vcc, -1, 0
	s_cmp_eq_u32 s11, 5
	v_mov_b32_e32 v36, s10
	v_cndmask_b32_e32 v38, v38, v12, vcc
	s_cselect_b64 vcc, -1, 0
	s_add_i32 s11, s2, -6
	ds_read2_b32 v[30:31], v36 offset1:1
	ds_read2_b32 v[32:33], v36 offset0:2 offset1:3
	ds_read2_b32 v[34:35], v36 offset0:4 offset1:5
	ds_read2_b32 v[36:37], v36 offset0:6 offset1:7
	s_cmp_eq_u32 s11, 1
	v_cndmask_b32_e32 v38, v38, v13, vcc
	s_cselect_b64 vcc, -1, 0
	s_cmp_eq_u32 s11, 2
	s_waitcnt lgkmcnt(3)
	v_fmac_f32_e32 v27, v38, v30
	v_cndmask_b32_e32 v30, v8, v9, vcc
	s_cselect_b64 vcc, -1, 0
	s_cmp_eq_u32 s11, 3
	v_cndmask_b32_e32 v30, v30, v10, vcc
	s_cselect_b64 vcc, -1, 0
	s_cmp_eq_u32 s11, 4
	;; [unrolled: 3-line block ×3, first 2 shown]
	v_cndmask_b32_e32 v30, v30, v12, vcc
	s_cselect_b64 vcc, -1, 0
	s_add_i32 s11, s2, -5
	s_cmp_eq_u32 s11, 1
	v_cndmask_b32_e32 v30, v30, v13, vcc
	s_cselect_b64 vcc, -1, 0
	s_cmp_eq_u32 s11, 2
	v_fmac_f32_e32 v27, v30, v31
	v_cndmask_b32_e32 v30, v8, v9, vcc
	s_cselect_b64 vcc, -1, 0
	s_cmp_eq_u32 s11, 3
	v_cndmask_b32_e32 v30, v30, v10, vcc
	s_cselect_b64 vcc, -1, 0
	s_cmp_eq_u32 s11, 4
	;; [unrolled: 3-line block ×3, first 2 shown]
	v_cndmask_b32_e32 v30, v30, v12, vcc
	s_cselect_b64 vcc, -1, 0
	s_add_i32 s11, s2, -4
	s_cmp_eq_u32 s11, 1
	v_cndmask_b32_e32 v30, v30, v13, vcc
	s_cselect_b64 vcc, -1, 0
	s_cmp_eq_u32 s11, 2
	s_waitcnt lgkmcnt(2)
	v_fmac_f32_e32 v27, v30, v32
	v_cndmask_b32_e32 v30, v8, v9, vcc
	s_cselect_b64 vcc, -1, 0
	s_cmp_eq_u32 s11, 3
	v_cndmask_b32_e32 v30, v30, v10, vcc
	s_cselect_b64 vcc, -1, 0
	s_cmp_eq_u32 s11, 4
	;; [unrolled: 3-line block ×3, first 2 shown]
	v_cndmask_b32_e32 v30, v30, v12, vcc
	s_cselect_b64 vcc, -1, 0
	s_add_i32 s11, s2, -3
	s_cmp_eq_u32 s11, 1
	v_cndmask_b32_e32 v30, v30, v13, vcc
	s_cselect_b64 vcc, -1, 0
	s_cmp_eq_u32 s11, 2
	v_fmac_f32_e32 v27, v30, v33
	v_cndmask_b32_e32 v30, v8, v9, vcc
	s_cselect_b64 vcc, -1, 0
	s_cmp_eq_u32 s11, 3
	v_cndmask_b32_e32 v30, v30, v10, vcc
	s_cselect_b64 vcc, -1, 0
	s_cmp_eq_u32 s11, 4
	;; [unrolled: 3-line block ×3, first 2 shown]
	v_cndmask_b32_e32 v30, v30, v12, vcc
	s_cselect_b64 vcc, -1, 0
	s_add_i32 s11, s2, -2
	s_cmp_eq_u32 s11, 1
	v_cndmask_b32_e32 v30, v30, v13, vcc
	s_cselect_b64 vcc, -1, 0
	s_cmp_eq_u32 s11, 2
	s_waitcnt lgkmcnt(1)
	v_fmac_f32_e32 v27, v30, v34
	v_cndmask_b32_e32 v30, v8, v9, vcc
	s_cselect_b64 vcc, -1, 0
	s_cmp_eq_u32 s11, 3
	v_cndmask_b32_e32 v30, v30, v10, vcc
	s_cselect_b64 vcc, -1, 0
	s_cmp_eq_u32 s11, 4
	v_cndmask_b32_e32 v30, v30, v11, vcc
	s_cselect_b64 vcc, -1, 0
	s_cmp_eq_u32 s11, 5
	v_cndmask_b32_e32 v30, v30, v12, vcc
	s_cselect_b64 vcc, -1, 0
	s_add_i32 s11, s2, -1
	s_cmp_eq_u32 s11, 1
	v_cndmask_b32_e32 v30, v30, v13, vcc
	s_cselect_b64 vcc, -1, 0
	s_cmp_eq_u32 s11, 2
	v_fmac_f32_e32 v27, v30, v35
	v_cndmask_b32_e32 v30, v8, v9, vcc
	s_cselect_b64 vcc, -1, 0
	s_cmp_eq_u32 s11, 3
	v_cndmask_b32_e32 v30, v30, v10, vcc
	s_cselect_b64 vcc, -1, 0
	s_cmp_eq_u32 s11, 4
	;; [unrolled: 3-line block ×5, first 2 shown]
	s_waitcnt lgkmcnt(0)
	v_fmac_f32_e32 v27, v30, v36
	v_cndmask_b32_e32 v30, v8, v9, vcc
	s_cselect_b64 vcc, -1, 0
	s_cmp_eq_u32 s2, 3
	v_cndmask_b32_e32 v30, v30, v10, vcc
	s_cselect_b64 vcc, -1, 0
	s_cmp_eq_u32 s2, 4
	;; [unrolled: 3-line block ×3, first 2 shown]
	v_cndmask_b32_e32 v30, v30, v12, vcc
	s_cselect_b64 vcc, -1, 0
	v_cndmask_b32_e32 v30, v30, v13, vcc
	s_add_u32 s2, s2, 8
	v_fmac_f32_e32 v27, v30, v37
	v_add_u32_e32 v30, s2, v29
	s_addc_u32 s3, s3, 0
	s_add_i32 s10, s10, 32
	s_add_i32 s11, s2, -7
	v_cmp_eq_u32_e32 vcc, 8, v30
	s_or_b64 s[8:9], vcc, s[8:9]
	v_mov_b32_e32 v30, s11
	s_andn2_b64 exec, exec, s[8:9]
	s_cbranch_execnz .LBB69_57
; %bb.58:
	s_or_b64 exec, exec, s[8:9]
.LBB69_59:
	s_or_b64 exec, exec, s[0:1]
	v_and_b32_e32 v28, 7, v28
	v_cmp_ne_u32_e32 vcc, 0, v28
	s_and_saveexec_b64 s[2:3], vcc
	s_cbranch_execz .LBB69_63
; %bb.60:
	v_lshl_add_u32 v29, v30, 2, 32
	v_mov_b32_e32 v31, 0
	s_mov_b64 s[8:9], 0
.LBB69_61:                              ; =>This Inner Loop Header: Depth=1
	v_cmp_eq_u32_e32 vcc, 1, v30
	v_cndmask_b32_e32 v32, v8, v9, vcc
	ds_read_b32 v33, v29
	v_add_u32_e32 v28, -1, v28
	v_cmp_eq_u32_e32 vcc, 2, v30
	v_cndmask_b32_e32 v32, v32, v10, vcc
	v_cmp_eq_u32_e32 vcc, 0, v28
	v_cmp_eq_u32_e64 s[0:1], 3, v30
	v_cndmask_b32_e64 v32, v32, v11, s[0:1]
	s_or_b64 s[8:9], vcc, s[8:9]
	v_cmp_eq_u32_e32 vcc, 4, v30
	v_cndmask_b32_e32 v32, v32, v12, vcc
	v_cmp_eq_u32_e32 vcc, 5, v30
	v_add_co_u32_e64 v30, s[0:1], 1, v30
	v_cndmask_b32_e32 v32, v32, v13, vcc
	v_add_u32_e32 v29, 4, v29
	v_addc_co_u32_e64 v31, s[0:1], 0, v31, s[0:1]
	s_waitcnt lgkmcnt(0)
	v_fmac_f32_e32 v27, v32, v33
	s_andn2_b64 exec, exec, s[8:9]
	s_cbranch_execnz .LBB69_61
; %bb.62:
	s_or_b64 exec, exec, s[8:9]
.LBB69_63:
	s_or_b64 exec, exec, s[2:3]
.LBB69_64:
	s_or_b64 exec, exec, s[6:7]
	v_mov_b32_e32 v8, 0
	ds_read_b32 v8, v8
	s_waitcnt lgkmcnt(0)
	v_mul_f32_e32 v8, v27, v8
.LBB69_65:
	s_or_b64 exec, exec, s[4:5]
	s_branch .LBB69_107
.LBB69_66:
	v_cmp_eq_u32_e64 s[2:3], 0, v0
	s_waitcnt vmcnt(0) lgkmcnt(0)
	ds_write_b32 v26, v3
	s_waitcnt lgkmcnt(0)
	; wave barrier
	s_and_saveexec_b64 s[0:1], s[2:3]
	s_cbranch_execz .LBB69_72
; %bb.67:
	s_and_b64 vcc, exec, s[14:15]
	s_cbranch_vccz .LBB69_69
; %bb.68:
	v_cmp_eq_u32_e32 vcc, 1, v0
	v_cndmask_b32_e32 v3, v2, v3, vcc
	v_cmp_eq_u32_e32 vcc, 2, v0
	ds_read_b32 v8, v26
	v_cndmask_b32_e32 v3, v3, v4, vcc
	v_cmp_eq_u32_e32 vcc, 3, v0
	v_cndmask_b32_e32 v3, v3, v5, vcc
	v_cmp_eq_u32_e32 vcc, 4, v0
	;; [unrolled: 2-line block ×3, first 2 shown]
	v_cndmask_b32_e32 v3, v3, v7, vcc
	s_waitcnt lgkmcnt(0)
	v_mul_f32_e32 v3, v3, v8
	s_cbranch_execz .LBB69_70
	s_branch .LBB69_71
.LBB69_69:
                                        ; implicit-def: $vgpr3
.LBB69_70:
	ds_read_b32 v3, v26
.LBB69_71:
	v_mov_b32_e32 v8, 0
	ds_read_b32 v8, v8 offset:4
	s_waitcnt lgkmcnt(0)
	v_mul_f32_e32 v3, v3, v8
.LBB69_72:
	s_or_b64 exec, exec, s[0:1]
	v_cndmask_b32_e64 v8, 0, 1, s[14:15]
	v_cmp_gt_u32_e32 vcc, 2, v0
	v_cmp_ne_u32_e64 s[0:1], 1, v8
	ds_write_b32 v26, v4
	s_waitcnt lgkmcnt(0)
	; wave barrier
	s_and_saveexec_b64 s[4:5], vcc
	s_cbranch_execz .LBB69_78
; %bb.73:
	s_and_b64 vcc, exec, s[0:1]
	s_cbranch_vccnz .LBB69_75
; %bb.74:
	v_cmp_eq_u32_e32 vcc, 1, v0
	v_cndmask_b32_e32 v8, v2, v3, vcc
	v_cmp_eq_u32_e32 vcc, 2, v0
	v_cndmask_b32_e32 v4, v8, v4, vcc
	ds_read_b32 v8, v26
	v_cmp_eq_u32_e32 vcc, 3, v0
	v_cndmask_b32_e32 v4, v4, v5, vcc
	v_cmp_eq_u32_e32 vcc, 4, v0
	v_cndmask_b32_e32 v4, v4, v6, vcc
	v_cmp_eq_u32_e32 vcc, 5, v0
	v_cndmask_b32_e32 v4, v4, v7, vcc
	s_waitcnt lgkmcnt(0)
	v_mul_f32_e32 v4, v4, v8
	s_cbranch_execz .LBB69_76
	s_branch .LBB69_77
.LBB69_75:
                                        ; implicit-def: $vgpr4
.LBB69_76:
	ds_read_b32 v4, v26
.LBB69_77:
	v_mov_b32_e32 v8, 0
	ds_read2_b32 v[8:9], v8 offset0:2 offset1:9
	s_waitcnt lgkmcnt(0)
	v_fma_f32 v9, v3, v9, v4
	v_cndmask_b32_e64 v4, v4, v9, s[2:3]
	v_mul_f32_e32 v4, v4, v8
.LBB69_78:
	s_or_b64 exec, exec, s[4:5]
	v_cmp_gt_u32_e32 vcc, 3, v0
	ds_write_b32 v26, v5
	s_waitcnt lgkmcnt(0)
	; wave barrier
	s_and_saveexec_b64 s[4:5], vcc
	s_cbranch_execz .LBB69_86
; %bb.79:
	s_and_b64 vcc, exec, s[0:1]
	s_cbranch_vccnz .LBB69_81
; %bb.80:
	v_cmp_eq_u32_e32 vcc, 1, v0
	v_cndmask_b32_e32 v8, v2, v3, vcc
	v_cmp_eq_u32_e32 vcc, 2, v0
	ds_read_b32 v9, v26
	v_cndmask_b32_e32 v8, v8, v4, vcc
	v_cmp_eq_u32_e32 vcc, 3, v0
	v_cndmask_b32_e32 v8, v8, v5, vcc
	v_cmp_eq_u32_e32 vcc, 4, v0
	;; [unrolled: 2-line block ×3, first 2 shown]
	v_cndmask_b32_e32 v8, v8, v7, vcc
	s_waitcnt lgkmcnt(0)
	v_mul_f32_e32 v8, v8, v9
	s_cbranch_execz .LBB69_82
	s_branch .LBB69_83
.LBB69_81:
                                        ; implicit-def: $vgpr8
.LBB69_82:
	ds_read_b32 v8, v26
.LBB69_83:
	v_cmp_ne_u32_e32 vcc, 2, v0
	s_and_saveexec_b64 s[6:7], vcc
	s_cbranch_execz .LBB69_85
; %bb.84:
	v_add_u32_e32 v9, 1, v0
	v_cmp_eq_u32_e32 vcc, 1, v9
	v_cndmask_b32_e32 v10, v2, v3, vcc
	v_cmp_eq_u32_e32 vcc, 2, v9
	v_cndmask_b32_e32 v10, v10, v4, vcc
	;; [unrolled: 2-line block ×3, first 2 shown]
	v_mov_b32_e32 v10, 0
	ds_read_b32 v11, v26 offset:4
	ds_read_b32 v10, v10 offset:40
	v_cmp_eq_u32_e32 vcc, 4, v9
	v_cndmask_b32_e32 v5, v5, v6, vcc
	v_cmp_eq_u32_e32 vcc, 5, v9
	v_cndmask_b32_e32 v5, v5, v7, vcc
	s_waitcnt lgkmcnt(1)
	v_fmac_f32_e32 v8, v5, v11
	s_waitcnt lgkmcnt(0)
	v_fma_f32 v5, v4, v10, v8
	v_cndmask_b32_e64 v8, v8, v5, s[2:3]
.LBB69_85:
	s_or_b64 exec, exec, s[6:7]
	v_mov_b32_e32 v5, 0
	ds_read_b32 v5, v5 offset:12
	s_waitcnt lgkmcnt(0)
	v_mul_f32_e32 v5, v8, v5
.LBB69_86:
	s_or_b64 exec, exec, s[4:5]
	v_cmp_gt_u32_e64 s[2:3], 4, v0
	ds_write_b32 v26, v6
	s_waitcnt lgkmcnt(0)
	; wave barrier
	s_and_saveexec_b64 s[6:7], s[2:3]
	s_cbranch_execz .LBB69_96
; %bb.87:
	s_and_b64 vcc, exec, s[0:1]
	s_cbranch_vccnz .LBB69_89
; %bb.88:
	v_cmp_eq_u32_e32 vcc, 1, v0
	v_cndmask_b32_e32 v8, v2, v3, vcc
	v_cmp_eq_u32_e32 vcc, 2, v0
	ds_read_b32 v9, v26
	v_cndmask_b32_e32 v8, v8, v4, vcc
	v_cmp_eq_u32_e32 vcc, 3, v0
	v_cndmask_b32_e32 v8, v8, v5, vcc
	v_cmp_eq_u32_e32 vcc, 4, v0
	;; [unrolled: 2-line block ×3, first 2 shown]
	v_cndmask_b32_e32 v8, v8, v7, vcc
	s_waitcnt lgkmcnt(0)
	v_mul_f32_e32 v10, v8, v9
	s_cbranch_execz .LBB69_90
	s_branch .LBB69_91
.LBB69_89:
                                        ; implicit-def: $vgpr10
.LBB69_90:
	ds_read_b32 v10, v26
.LBB69_91:
	v_cmp_ne_u32_e32 vcc, 3, v0
	s_and_saveexec_b64 s[8:9], vcc
	s_cbranch_execz .LBB69_95
; %bb.92:
	v_mov_b32_e32 v9, v1
	v_lshl_add_u32 v11, v0, 2, 36
	s_mov_b64 s[10:11], 0
	v_mov_b32_e32 v8, v0
.LBB69_93:                              ; =>This Inner Loop Header: Depth=1
	v_add_co_u32_e32 v8, vcc, 1, v8
	v_addc_co_u32_e32 v9, vcc, 0, v9, vcc
	v_cmp_eq_u32_e32 vcc, 1, v8
	ds_read_b32 v12, v11
	v_cndmask_b32_e32 v13, v2, v3, vcc
	v_cmp_lt_u32_e32 vcc, 2, v8
	v_cmp_eq_u32_e64 s[4:5], 2, v8
	v_cndmask_b32_e64 v13, v13, v4, s[4:5]
	s_or_b64 s[10:11], vcc, s[10:11]
	v_cmp_eq_u32_e32 vcc, 3, v8
	v_cndmask_b32_e32 v13, v13, v5, vcc
	v_cmp_eq_u32_e32 vcc, 4, v8
	v_cndmask_b32_e32 v13, v13, v6, vcc
	;; [unrolled: 2-line block ×3, first 2 shown]
	v_add_u32_e32 v11, 4, v11
	s_waitcnt lgkmcnt(0)
	v_fmac_f32_e32 v10, v13, v12
	s_andn2_b64 exec, exec, s[10:11]
	s_cbranch_execnz .LBB69_93
; %bb.94:
	s_or_b64 exec, exec, s[10:11]
.LBB69_95:
	s_or_b64 exec, exec, s[8:9]
	v_mov_b32_e32 v6, 0
	ds_read_b32 v6, v6 offset:16
	s_waitcnt lgkmcnt(0)
	v_mul_f32_e32 v6, v10, v6
.LBB69_96:
	s_or_b64 exec, exec, s[6:7]
	v_cmp_ne_u32_e32 vcc, 5, v0
	ds_write_b32 v26, v7
	s_waitcnt lgkmcnt(0)
	; wave barrier
	s_and_saveexec_b64 s[4:5], vcc
	s_cbranch_execz .LBB69_106
; %bb.97:
	s_and_b64 vcc, exec, s[0:1]
	s_cbranch_vccnz .LBB69_99
; %bb.98:
	v_cmp_eq_u32_e32 vcc, 1, v0
	v_cndmask_b32_e32 v8, v2, v3, vcc
	v_cmp_eq_u32_e32 vcc, 2, v0
	ds_read_b32 v9, v26
	v_cndmask_b32_e32 v8, v8, v4, vcc
	v_cmp_eq_u32_e32 vcc, 3, v0
	v_cndmask_b32_e32 v8, v8, v5, vcc
	v_cmp_eq_u32_e32 vcc, 4, v0
	v_cndmask_b32_e32 v8, v8, v6, vcc
	v_cmp_eq_u32_e32 vcc, 5, v0
	v_cndmask_b32_e32 v8, v8, v7, vcc
	s_waitcnt lgkmcnt(0)
	v_mul_f32_e32 v8, v8, v9
	s_cbranch_execz .LBB69_100
	s_branch .LBB69_101
.LBB69_99:
                                        ; implicit-def: $vgpr8
.LBB69_100:
	ds_read_b32 v8, v26
.LBB69_101:
	s_and_saveexec_b64 s[6:7], s[2:3]
	s_cbranch_execz .LBB69_105
; %bb.102:
	v_lshl_add_u32 v9, v0, 2, 36
	s_mov_b64 s[2:3], 0
.LBB69_103:                             ; =>This Inner Loop Header: Depth=1
	v_add_co_u32_e32 v0, vcc, 1, v0
	v_addc_co_u32_e32 v1, vcc, 0, v1, vcc
	v_cmp_eq_u32_e32 vcc, 1, v0
	ds_read_b32 v10, v9
	v_cndmask_b32_e32 v11, v2, v3, vcc
	v_cmp_lt_u32_e32 vcc, 3, v0
	v_cmp_eq_u32_e64 s[0:1], 2, v0
	v_cndmask_b32_e64 v11, v11, v4, s[0:1]
	s_or_b64 s[2:3], vcc, s[2:3]
	v_cmp_eq_u32_e32 vcc, 3, v0
	v_cndmask_b32_e32 v11, v11, v5, vcc
	v_cmp_eq_u32_e32 vcc, 4, v0
	v_cndmask_b32_e32 v11, v11, v6, vcc
	v_cmp_eq_u32_e32 vcc, 5, v0
	v_cndmask_b32_e32 v11, v11, v7, vcc
	v_add_u32_e32 v9, 4, v9
	s_waitcnt lgkmcnt(0)
	v_fmac_f32_e32 v8, v11, v10
	s_andn2_b64 exec, exec, s[2:3]
	s_cbranch_execnz .LBB69_103
; %bb.104:
	s_or_b64 exec, exec, s[2:3]
.LBB69_105:
	s_or_b64 exec, exec, s[6:7]
	v_mov_b32_e32 v0, 0
	ds_read_b32 v0, v0 offset:20
	s_waitcnt lgkmcnt(0)
	v_mul_f32_e32 v7, v8, v0
.LBB69_106:
	s_or_b64 exec, exec, s[4:5]
	v_mov_b32_e32 v13, v7
	v_mov_b32_e32 v12, v6
	;; [unrolled: 1-line block ×6, first 2 shown]
.LBB69_107:
	flat_store_dword v[14:15], v8
	flat_store_dword v[16:17], v9
	;; [unrolled: 1-line block ×6, first 2 shown]
.LBB69_108:
	s_endpgm
	.section	.rodata,"a",@progbits
	.p2align	6, 0x0
	.amdhsa_kernel _ZN9rocsolver6v33100L18trti2_kernel_smallILi6EfPKPfEEv13rocblas_fill_17rocblas_diagonal_T1_iil
		.amdhsa_group_segment_fixed_size 56
		.amdhsa_private_segment_fixed_size 0
		.amdhsa_kernarg_size 32
		.amdhsa_user_sgpr_count 6
		.amdhsa_user_sgpr_private_segment_buffer 1
		.amdhsa_user_sgpr_dispatch_ptr 0
		.amdhsa_user_sgpr_queue_ptr 0
		.amdhsa_user_sgpr_kernarg_segment_ptr 1
		.amdhsa_user_sgpr_dispatch_id 0
		.amdhsa_user_sgpr_flat_scratch_init 0
		.amdhsa_user_sgpr_private_segment_size 0
		.amdhsa_uses_dynamic_stack 0
		.amdhsa_system_sgpr_private_segment_wavefront_offset 0
		.amdhsa_system_sgpr_workgroup_id_x 1
		.amdhsa_system_sgpr_workgroup_id_y 0
		.amdhsa_system_sgpr_workgroup_id_z 0
		.amdhsa_system_sgpr_workgroup_info 0
		.amdhsa_system_vgpr_workitem_id 0
		.amdhsa_next_free_vgpr 39
		.amdhsa_next_free_sgpr 18
		.amdhsa_reserve_vcc 1
		.amdhsa_reserve_flat_scratch 0
		.amdhsa_float_round_mode_32 0
		.amdhsa_float_round_mode_16_64 0
		.amdhsa_float_denorm_mode_32 3
		.amdhsa_float_denorm_mode_16_64 3
		.amdhsa_dx10_clamp 1
		.amdhsa_ieee_mode 1
		.amdhsa_fp16_overflow 0
		.amdhsa_exception_fp_ieee_invalid_op 0
		.amdhsa_exception_fp_denorm_src 0
		.amdhsa_exception_fp_ieee_div_zero 0
		.amdhsa_exception_fp_ieee_overflow 0
		.amdhsa_exception_fp_ieee_underflow 0
		.amdhsa_exception_fp_ieee_inexact 0
		.amdhsa_exception_int_div_zero 0
	.end_amdhsa_kernel
	.section	.text._ZN9rocsolver6v33100L18trti2_kernel_smallILi6EfPKPfEEv13rocblas_fill_17rocblas_diagonal_T1_iil,"axG",@progbits,_ZN9rocsolver6v33100L18trti2_kernel_smallILi6EfPKPfEEv13rocblas_fill_17rocblas_diagonal_T1_iil,comdat
.Lfunc_end69:
	.size	_ZN9rocsolver6v33100L18trti2_kernel_smallILi6EfPKPfEEv13rocblas_fill_17rocblas_diagonal_T1_iil, .Lfunc_end69-_ZN9rocsolver6v33100L18trti2_kernel_smallILi6EfPKPfEEv13rocblas_fill_17rocblas_diagonal_T1_iil
                                        ; -- End function
	.set _ZN9rocsolver6v33100L18trti2_kernel_smallILi6EfPKPfEEv13rocblas_fill_17rocblas_diagonal_T1_iil.num_vgpr, 39
	.set _ZN9rocsolver6v33100L18trti2_kernel_smallILi6EfPKPfEEv13rocblas_fill_17rocblas_diagonal_T1_iil.num_agpr, 0
	.set _ZN9rocsolver6v33100L18trti2_kernel_smallILi6EfPKPfEEv13rocblas_fill_17rocblas_diagonal_T1_iil.numbered_sgpr, 18
	.set _ZN9rocsolver6v33100L18trti2_kernel_smallILi6EfPKPfEEv13rocblas_fill_17rocblas_diagonal_T1_iil.num_named_barrier, 0
	.set _ZN9rocsolver6v33100L18trti2_kernel_smallILi6EfPKPfEEv13rocblas_fill_17rocblas_diagonal_T1_iil.private_seg_size, 0
	.set _ZN9rocsolver6v33100L18trti2_kernel_smallILi6EfPKPfEEv13rocblas_fill_17rocblas_diagonal_T1_iil.uses_vcc, 1
	.set _ZN9rocsolver6v33100L18trti2_kernel_smallILi6EfPKPfEEv13rocblas_fill_17rocblas_diagonal_T1_iil.uses_flat_scratch, 0
	.set _ZN9rocsolver6v33100L18trti2_kernel_smallILi6EfPKPfEEv13rocblas_fill_17rocblas_diagonal_T1_iil.has_dyn_sized_stack, 0
	.set _ZN9rocsolver6v33100L18trti2_kernel_smallILi6EfPKPfEEv13rocblas_fill_17rocblas_diagonal_T1_iil.has_recursion, 0
	.set _ZN9rocsolver6v33100L18trti2_kernel_smallILi6EfPKPfEEv13rocblas_fill_17rocblas_diagonal_T1_iil.has_indirect_call, 0
	.section	.AMDGPU.csdata,"",@progbits
; Kernel info:
; codeLenInByte = 4896
; TotalNumSgprs: 22
; NumVgprs: 39
; ScratchSize: 0
; MemoryBound: 0
; FloatMode: 240
; IeeeMode: 1
; LDSByteSize: 56 bytes/workgroup (compile time only)
; SGPRBlocks: 2
; VGPRBlocks: 9
; NumSGPRsForWavesPerEU: 22
; NumVGPRsForWavesPerEU: 39
; Occupancy: 6
; WaveLimiterHint : 1
; COMPUTE_PGM_RSRC2:SCRATCH_EN: 0
; COMPUTE_PGM_RSRC2:USER_SGPR: 6
; COMPUTE_PGM_RSRC2:TRAP_HANDLER: 0
; COMPUTE_PGM_RSRC2:TGID_X_EN: 1
; COMPUTE_PGM_RSRC2:TGID_Y_EN: 0
; COMPUTE_PGM_RSRC2:TGID_Z_EN: 0
; COMPUTE_PGM_RSRC2:TIDIG_COMP_CNT: 0
	.section	.text._ZN9rocsolver6v33100L18trti2_kernel_smallILi7EfPKPfEEv13rocblas_fill_17rocblas_diagonal_T1_iil,"axG",@progbits,_ZN9rocsolver6v33100L18trti2_kernel_smallILi7EfPKPfEEv13rocblas_fill_17rocblas_diagonal_T1_iil,comdat
	.globl	_ZN9rocsolver6v33100L18trti2_kernel_smallILi7EfPKPfEEv13rocblas_fill_17rocblas_diagonal_T1_iil ; -- Begin function _ZN9rocsolver6v33100L18trti2_kernel_smallILi7EfPKPfEEv13rocblas_fill_17rocblas_diagonal_T1_iil
	.p2align	8
	.type	_ZN9rocsolver6v33100L18trti2_kernel_smallILi7EfPKPfEEv13rocblas_fill_17rocblas_diagonal_T1_iil,@function
_ZN9rocsolver6v33100L18trti2_kernel_smallILi7EfPKPfEEv13rocblas_fill_17rocblas_diagonal_T1_iil: ; @_ZN9rocsolver6v33100L18trti2_kernel_smallILi7EfPKPfEEv13rocblas_fill_17rocblas_diagonal_T1_iil
; %bb.0:
	v_cmp_gt_u32_e32 vcc, 7, v0
	s_and_saveexec_b64 s[0:1], vcc
	s_cbranch_execz .LBB70_134
; %bb.1:
	s_load_dwordx2 s[0:1], s[4:5], 0x10
	s_load_dwordx4 s[16:19], s[4:5], 0x0
	s_ashr_i32 s7, s6, 31
	s_lshl_b64 s[2:3], s[6:7], 3
	v_lshlrev_b32_e32 v9, 2, v0
	s_waitcnt lgkmcnt(0)
	s_ashr_i32 s5, s0, 31
	s_add_u32 s2, s18, s2
	s_addc_u32 s3, s19, s3
	s_load_dwordx2 s[2:3], s[2:3], 0x0
	s_mov_b32 s4, s0
	s_lshl_b64 s[4:5], s[4:5], 2
	v_mov_b32_e32 v10, -1.0
	s_waitcnt lgkmcnt(0)
	s_add_u32 s0, s2, s4
	s_addc_u32 s4, s3, s5
	v_mov_b32_e32 v1, s4
	v_add_co_u32_e32 v16, vcc, s0, v9
	s_ashr_i32 s3, s1, 31
	s_mov_b32 s2, s1
	v_addc_co_u32_e32 v17, vcc, 0, v1, vcc
	s_lshl_b64 s[2:3], s[2:3], 2
	v_mov_b32_e32 v1, s3
	v_add_co_u32_e32 v18, vcc, s2, v16
	s_add_i32 s2, s1, s1
	v_addc_co_u32_e32 v19, vcc, v17, v1, vcc
	v_add_u32_e32 v1, s2, v0
	v_ashrrev_i32_e32 v2, 31, v1
	v_lshlrev_b64 v[2:3], 2, v[1:2]
	v_add_u32_e32 v1, s1, v1
	v_mov_b32_e32 v4, s4
	v_add_co_u32_e32 v20, vcc, s0, v2
	v_ashrrev_i32_e32 v2, 31, v1
	v_addc_co_u32_e32 v21, vcc, v4, v3, vcc
	v_lshlrev_b64 v[2:3], 2, v[1:2]
	v_add_u32_e32 v1, s1, v1
	v_add_co_u32_e32 v22, vcc, s0, v2
	v_ashrrev_i32_e32 v2, 31, v1
	v_addc_co_u32_e32 v23, vcc, v4, v3, vcc
	v_lshlrev_b64 v[2:3], 2, v[1:2]
	v_add_u32_e32 v1, s1, v1
	;; [unrolled: 5-line block ×3, first 2 shown]
	v_add_co_u32_e32 v26, vcc, s0, v2
	v_ashrrev_i32_e32 v2, 31, v1
	v_lshlrev_b64 v[1:2], 2, v[1:2]
	v_addc_co_u32_e32 v27, vcc, v4, v3, vcc
	v_mov_b32_e32 v3, s4
	v_add_co_u32_e32 v28, vcc, s0, v1
	v_addc_co_u32_e32 v29, vcc, v3, v2, vcc
	flat_load_dword v2, v[16:17]
	flat_load_dword v3, v[18:19]
	;; [unrolled: 1-line block ×7, first 2 shown]
	s_cmpk_lg_i32 s17, 0x84
	v_mov_b32_e32 v1, 0
	s_cselect_b64 s[14:15], -1, 0
	s_cmpk_eq_i32 s17, 0x84
	v_cmp_eq_u32_e64 s[0:1], 0, v0
	s_cbranch_scc1 .LBB70_3
; %bb.2:
	v_cmp_eq_u32_e64 s[2:3], 1, v0
	s_waitcnt vmcnt(0) lgkmcnt(0)
	v_cndmask_b32_e64 v10, v2, v3, s[2:3]
	v_cmp_eq_u32_e64 s[4:5], 2, v0
	v_cndmask_b32_e64 v10, v10, v4, s[4:5]
	v_cmp_eq_u32_e64 s[6:7], 3, v0
	;; [unrolled: 2-line block ×5, first 2 shown]
	v_cndmask_b32_e64 v10, v10, v8, s[12:13]
	v_div_scale_f32 v11, s[18:19], v10, v10, 1.0
	v_div_scale_f32 v12, vcc, 1.0, v10, 1.0
	v_rcp_f32_e32 v13, v11
	v_fma_f32 v14, -v11, v13, 1.0
	v_fmac_f32_e32 v13, v14, v13
	v_mul_f32_e32 v14, v12, v13
	v_fma_f32 v15, -v11, v14, v12
	v_fmac_f32_e32 v14, v15, v13
	v_fma_f32 v11, -v11, v14, v12
	v_div_fmas_f32 v11, v11, v13, v14
	v_div_fixup_f32 v10, v11, v10, 1.0
	v_cndmask_b32_e64 v8, v8, v10, s[12:13]
	v_cndmask_b32_e64 v7, v7, v10, s[10:11]
	;; [unrolled: 1-line block ×7, first 2 shown]
	v_xor_b32_e32 v10, 0x80000000, v10
.LBB70_3:
	s_cmpk_eq_i32 s16, 0x79
	v_add_u32_e32 v30, 32, v9
	ds_write_b32 v9, v10
	s_cbranch_scc1 .LBB70_7
; %bb.4:
	s_waitcnt vmcnt(0) lgkmcnt(0)
	v_mov_b32_e32 v15, v8
	v_cmp_eq_u32_e64 s[2:3], 6, v0
	v_mov_b32_e32 v14, v7
	v_mov_b32_e32 v13, v6
	;; [unrolled: 1-line block ×6, first 2 shown]
	ds_write_b32 v30, v7
	s_waitcnt lgkmcnt(0)
	; wave barrier
	s_and_saveexec_b64 s[0:1], s[2:3]
	s_cbranch_execz .LBB70_11
; %bb.5:
	s_and_b64 vcc, exec, s[14:15]
	s_cbranch_vccz .LBB70_8
; %bb.6:
	v_cmp_eq_u32_e32 vcc, 1, v0
	v_cndmask_b32_e32 v9, v2, v3, vcc
	v_cmp_eq_u32_e32 vcc, 2, v0
	v_cndmask_b32_e32 v9, v9, v4, vcc
	v_cmp_eq_u32_e32 vcc, 3, v0
	ds_read_b32 v10, v30
	v_cndmask_b32_e32 v9, v9, v5, vcc
	v_cmp_eq_u32_e32 vcc, 4, v0
	v_cndmask_b32_e32 v9, v9, v6, vcc
	v_cmp_eq_u32_e32 vcc, 5, v0
	;; [unrolled: 2-line block ×3, first 2 shown]
	v_cndmask_b32_e32 v9, v9, v8, vcc
	s_waitcnt lgkmcnt(0)
	v_mul_f32_e32 v9, v9, v10
	s_cbranch_execz .LBB70_9
	s_branch .LBB70_10
.LBB70_7:
                                        ; implicit-def: $vgpr9_vgpr10_vgpr11_vgpr12_vgpr13_vgpr14_vgpr15
	s_cbranch_execnz .LBB70_82
	s_branch .LBB70_133
.LBB70_8:
                                        ; implicit-def: $vgpr9
.LBB70_9:
	ds_read_b32 v9, v30
.LBB70_10:
	v_mov_b32_e32 v10, 0
	ds_read_b32 v10, v10 offset:20
	s_waitcnt lgkmcnt(0)
	v_mul_f32_e32 v31, v9, v10
	v_mov_b32_e32 v15, v8
	v_mov_b32_e32 v14, v7
	;; [unrolled: 1-line block ×8, first 2 shown]
.LBB70_11:
	s_or_b64 exec, exec, s[0:1]
	v_cmp_lt_u32_e64 s[0:1], 4, v0
	ds_write_b32 v30, v13
	s_waitcnt lgkmcnt(0)
	; wave barrier
	s_and_saveexec_b64 s[4:5], s[0:1]
	s_cbranch_execz .LBB70_17
; %bb.12:
	s_andn2_b64 vcc, exec, s[14:15]
	s_cbranch_vccnz .LBB70_14
; %bb.13:
	v_cmp_eq_u32_e32 vcc, 1, v0
	v_cndmask_b32_e32 v31, v9, v10, vcc
	v_cmp_eq_u32_e32 vcc, 2, v0
	v_cndmask_b32_e32 v31, v31, v11, vcc
	;; [unrolled: 2-line block ×4, first 2 shown]
	ds_read_b32 v31, v30
	v_cmp_eq_u32_e32 vcc, 5, v0
	v_cndmask_b32_e32 v13, v13, v14, vcc
	v_cmp_eq_u32_e32 vcc, 6, v0
	v_cndmask_b32_e32 v13, v13, v15, vcc
	s_waitcnt lgkmcnt(0)
	v_mul_f32_e32 v13, v13, v31
	s_cbranch_execz .LBB70_15
	s_branch .LBB70_16
.LBB70_14:
                                        ; implicit-def: $vgpr13
.LBB70_15:
	ds_read_b32 v13, v30
.LBB70_16:
	v_mov_b32_e32 v31, 0
	ds_read2_b32 v[31:32], v31 offset0:4 offset1:13
	s_waitcnt lgkmcnt(0)
	v_fma_f32 v32, v14, v32, v13
	v_cndmask_b32_e64 v13, v13, v32, s[2:3]
	v_mul_f32_e32 v13, v13, v31
.LBB70_17:
	s_or_b64 exec, exec, s[4:5]
	v_cmp_lt_u32_e64 s[2:3], 3, v0
	ds_write_b32 v30, v12
	s_waitcnt lgkmcnt(0)
	; wave barrier
	s_and_saveexec_b64 s[4:5], s[2:3]
	s_cbranch_execz .LBB70_33
; %bb.18:
	s_andn2_b64 vcc, exec, s[14:15]
	s_cbranch_vccnz .LBB70_20
; %bb.19:
	v_cmp_eq_u32_e32 vcc, 1, v0
	v_cndmask_b32_e32 v31, v9, v10, vcc
	v_cmp_eq_u32_e32 vcc, 2, v0
	v_cndmask_b32_e32 v31, v31, v11, vcc
	v_cmp_eq_u32_e32 vcc, 3, v0
	ds_read_b32 v32, v30
	v_cndmask_b32_e32 v31, v31, v12, vcc
	v_cmp_eq_u32_e32 vcc, 4, v0
	v_cndmask_b32_e32 v31, v31, v13, vcc
	v_cmp_eq_u32_e32 vcc, 5, v0
	;; [unrolled: 2-line block ×3, first 2 shown]
	v_cndmask_b32_e32 v31, v31, v15, vcc
	s_waitcnt lgkmcnt(0)
	v_mul_f32_e32 v31, v31, v32
	s_cbranch_execz .LBB70_21
	s_branch .LBB70_22
.LBB70_20:
                                        ; implicit-def: $vgpr31
.LBB70_21:
	ds_read_b32 v31, v30
.LBB70_22:
	s_and_saveexec_b64 s[6:7], s[0:1]
	s_cbranch_execz .LBB70_32
; %bb.23:
	v_add_u32_e32 v33, -5, v0
	v_add_u32_e32 v32, -4, v0
	v_cmp_lt_u32_e32 vcc, 6, v33
	v_mov_b32_e32 v34, 4
	s_and_saveexec_b64 s[0:1], vcc
	s_cbranch_execz .LBB70_27
; %bb.24:
	v_and_b32_e32 v33, -8, v32
	v_sub_u32_e32 v33, 0, v33
	s_mov_b64 s[8:9], 5
	s_mov_b32 s12, 48
	s_mov_b64 s[10:11], 0
.LBB70_25:                              ; =>This Inner Loop Header: Depth=1
	s_add_i32 s13, s8, -1
	s_cmp_eq_u32 s13, 1
	s_cselect_b64 vcc, -1, 0
	s_cmp_eq_u32 s13, 2
	v_cndmask_b32_e32 v42, v9, v10, vcc
	s_cselect_b64 vcc, -1, 0
	s_cmp_eq_u32 s13, 3
	v_mov_b32_e32 v38, s12
	v_cndmask_b32_e32 v42, v42, v11, vcc
	s_cselect_b64 vcc, -1, 0
	s_cmp_eq_u32 s13, 4
	ds_read_b128 v[34:37], v38
	ds_read_b128 v[38:41], v38 offset:16
	v_cndmask_b32_e32 v42, v42, v12, vcc
	s_cselect_b64 vcc, -1, 0
	s_cmp_eq_u32 s13, 5
	v_cndmask_b32_e32 v42, v42, v13, vcc
	s_cselect_b64 vcc, -1, 0
	s_cmp_eq_u32 s13, 6
	;; [unrolled: 3-line block ×4, first 2 shown]
	s_waitcnt lgkmcnt(1)
	v_fmac_f32_e32 v31, v42, v34
	v_cndmask_b32_e32 v34, v9, v10, vcc
	s_cselect_b64 vcc, -1, 0
	s_cmp_eq_u32 s8, 3
	v_cndmask_b32_e32 v34, v34, v11, vcc
	s_cselect_b64 vcc, -1, 0
	s_cmp_eq_u32 s8, 4
	v_cndmask_b32_e32 v34, v34, v12, vcc
	s_cselect_b64 vcc, -1, 0
	s_cmp_eq_u32 s8, 5
	v_cndmask_b32_e32 v34, v34, v13, vcc
	s_cselect_b64 vcc, -1, 0
	s_cmp_eq_u32 s8, 6
	v_cndmask_b32_e32 v34, v34, v14, vcc
	s_cselect_b64 vcc, -1, 0
	s_add_i32 s13, s8, 1
	s_cmp_eq_u32 s13, 1
	v_cndmask_b32_e32 v34, v34, v15, vcc
	s_cselect_b64 vcc, -1, 0
	s_cmp_eq_u32 s13, 2
	v_fmac_f32_e32 v31, v34, v35
	v_cndmask_b32_e32 v34, v9, v10, vcc
	s_cselect_b64 vcc, -1, 0
	s_cmp_eq_u32 s13, 3
	v_cndmask_b32_e32 v34, v34, v11, vcc
	s_cselect_b64 vcc, -1, 0
	s_cmp_eq_u32 s13, 4
	v_cndmask_b32_e32 v34, v34, v12, vcc
	s_cselect_b64 vcc, -1, 0
	s_cmp_eq_u32 s13, 5
	v_cndmask_b32_e32 v34, v34, v13, vcc
	s_cselect_b64 vcc, -1, 0
	s_cmp_eq_u32 s13, 6
	v_cndmask_b32_e32 v34, v34, v14, vcc
	s_cselect_b64 vcc, -1, 0
	s_add_i32 s13, s8, 2
	s_cmp_eq_u32 s13, 1
	v_cndmask_b32_e32 v34, v34, v15, vcc
	s_cselect_b64 vcc, -1, 0
	s_cmp_eq_u32 s13, 2
	;; [unrolled: 20-line block ×4, first 2 shown]
	s_waitcnt lgkmcnt(0)
	v_fmac_f32_e32 v31, v34, v38
	v_cndmask_b32_e32 v34, v9, v10, vcc
	s_cselect_b64 vcc, -1, 0
	s_cmp_eq_u32 s13, 3
	v_cndmask_b32_e32 v34, v34, v11, vcc
	s_cselect_b64 vcc, -1, 0
	s_cmp_eq_u32 s13, 4
	;; [unrolled: 3-line block ×4, first 2 shown]
	v_cndmask_b32_e32 v34, v34, v14, vcc
	s_cselect_b64 vcc, -1, 0
	s_add_i32 s13, s8, 5
	s_cmp_eq_u32 s13, 1
	v_cndmask_b32_e32 v34, v34, v15, vcc
	s_cselect_b64 vcc, -1, 0
	s_cmp_eq_u32 s13, 2
	v_fmac_f32_e32 v31, v34, v39
	v_cndmask_b32_e32 v34, v9, v10, vcc
	s_cselect_b64 vcc, -1, 0
	s_cmp_eq_u32 s13, 3
	v_cndmask_b32_e32 v34, v34, v11, vcc
	s_cselect_b64 vcc, -1, 0
	s_cmp_eq_u32 s13, 4
	;; [unrolled: 3-line block ×4, first 2 shown]
	v_cndmask_b32_e32 v34, v34, v14, vcc
	s_cselect_b64 vcc, -1, 0
	s_add_i32 s13, s8, 6
	s_cmp_eq_u32 s13, 1
	v_cndmask_b32_e32 v34, v34, v15, vcc
	s_cselect_b64 vcc, -1, 0
	s_cmp_eq_u32 s13, 2
	v_fmac_f32_e32 v31, v34, v40
	v_cndmask_b32_e32 v34, v9, v10, vcc
	s_cselect_b64 vcc, -1, 0
	s_cmp_eq_u32 s13, 3
	v_cndmask_b32_e32 v34, v34, v11, vcc
	s_cselect_b64 vcc, -1, 0
	s_cmp_eq_u32 s13, 4
	;; [unrolled: 3-line block ×4, first 2 shown]
	v_cndmask_b32_e32 v34, v34, v14, vcc
	s_cselect_b64 vcc, -1, 0
	s_add_u32 s8, s8, 8
	v_add_u32_e32 v35, s8, v33
	v_cndmask_b32_e32 v34, v34, v15, vcc
	s_addc_u32 s9, s9, 0
	s_add_i32 s12, s12, 32
	s_add_i32 s13, s8, -1
	v_cmp_eq_u32_e32 vcc, 5, v35
	v_fmac_f32_e32 v31, v34, v41
	s_or_b64 s[10:11], vcc, s[10:11]
	v_mov_b32_e32 v34, s13
	s_andn2_b64 exec, exec, s[10:11]
	s_cbranch_execnz .LBB70_25
; %bb.26:
	s_or_b64 exec, exec, s[10:11]
.LBB70_27:
	s_or_b64 exec, exec, s[0:1]
	v_and_b32_e32 v32, 7, v32
	v_cmp_ne_u32_e32 vcc, 0, v32
	s_and_saveexec_b64 s[8:9], vcc
	s_cbranch_execz .LBB70_31
; %bb.28:
	v_lshl_add_u32 v33, v34, 2, 32
	v_mov_b32_e32 v35, 0
	s_mov_b64 s[10:11], 0
.LBB70_29:                              ; =>This Inner Loop Header: Depth=1
	v_cmp_eq_u32_e32 vcc, 1, v34
	v_cndmask_b32_e32 v36, v9, v10, vcc
	v_add_u32_e32 v32, -1, v32
	v_cmp_eq_u32_e32 vcc, 2, v34
	ds_read_b32 v37, v33
	v_cndmask_b32_e32 v36, v36, v11, vcc
	v_cmp_eq_u32_e32 vcc, 0, v32
	v_cmp_eq_u32_e64 s[0:1], 3, v34
	v_cndmask_b32_e64 v36, v36, v12, s[0:1]
	s_or_b64 s[10:11], vcc, s[10:11]
	v_cmp_eq_u32_e32 vcc, 4, v34
	v_cndmask_b32_e32 v36, v36, v13, vcc
	v_cmp_eq_u32_e32 vcc, 5, v34
	v_cndmask_b32_e32 v36, v36, v14, vcc
	v_cmp_eq_u32_e32 vcc, 6, v34
	v_add_co_u32_e64 v34, s[0:1], 1, v34
	v_cndmask_b32_e32 v36, v36, v15, vcc
	v_add_u32_e32 v33, 4, v33
	v_addc_co_u32_e64 v35, s[0:1], 0, v35, s[0:1]
	s_waitcnt lgkmcnt(0)
	v_fmac_f32_e32 v31, v36, v37
	s_andn2_b64 exec, exec, s[10:11]
	s_cbranch_execnz .LBB70_29
; %bb.30:
	s_or_b64 exec, exec, s[10:11]
.LBB70_31:
	s_or_b64 exec, exec, s[8:9]
.LBB70_32:
	s_or_b64 exec, exec, s[6:7]
	v_mov_b32_e32 v12, 0
	ds_read_b32 v12, v12 offset:12
	s_waitcnt lgkmcnt(0)
	v_mul_f32_e32 v12, v31, v12
.LBB70_33:
	s_or_b64 exec, exec, s[4:5]
	v_cmp_lt_u32_e64 s[0:1], 2, v0
	ds_write_b32 v30, v11
	s_waitcnt lgkmcnt(0)
	; wave barrier
	s_and_saveexec_b64 s[4:5], s[0:1]
	s_cbranch_execz .LBB70_49
; %bb.34:
	s_andn2_b64 vcc, exec, s[14:15]
	s_cbranch_vccnz .LBB70_36
; %bb.35:
	v_cmp_eq_u32_e32 vcc, 1, v0
	v_cndmask_b32_e32 v31, v9, v10, vcc
	v_cmp_eq_u32_e32 vcc, 2, v0
	v_cndmask_b32_e32 v31, v31, v11, vcc
	v_cmp_eq_u32_e32 vcc, 3, v0
	ds_read_b32 v32, v30
	v_cndmask_b32_e32 v31, v31, v12, vcc
	v_cmp_eq_u32_e32 vcc, 4, v0
	v_cndmask_b32_e32 v31, v31, v13, vcc
	v_cmp_eq_u32_e32 vcc, 5, v0
	;; [unrolled: 2-line block ×3, first 2 shown]
	v_cndmask_b32_e32 v31, v31, v15, vcc
	s_waitcnt lgkmcnt(0)
	v_mul_f32_e32 v31, v31, v32
	s_cbranch_execz .LBB70_37
	s_branch .LBB70_38
.LBB70_36:
                                        ; implicit-def: $vgpr31
.LBB70_37:
	ds_read_b32 v31, v30
.LBB70_38:
	s_and_saveexec_b64 s[6:7], s[2:3]
	s_cbranch_execz .LBB70_48
; %bb.39:
	v_add_u32_e32 v33, -4, v0
	v_add_u32_e32 v32, -3, v0
	v_cmp_lt_u32_e32 vcc, 6, v33
	v_mov_b32_e32 v34, 3
	s_and_saveexec_b64 s[2:3], vcc
	s_cbranch_execz .LBB70_43
; %bb.40:
	v_and_b32_e32 v33, -8, v32
	v_sub_u32_e32 v33, 0, v33
	s_mov_b64 s[8:9], 10
	s_mov_b32 s12, 44
	s_mov_b64 s[10:11], 0
.LBB70_41:                              ; =>This Inner Loop Header: Depth=1
	s_add_i32 s13, s8, -7
	s_cmp_eq_u32 s13, 1
	s_cselect_b64 vcc, -1, 0
	s_cmp_eq_u32 s13, 2
	v_cndmask_b32_e32 v42, v9, v10, vcc
	s_cselect_b64 vcc, -1, 0
	s_cmp_eq_u32 s13, 3
	v_cndmask_b32_e32 v42, v42, v11, vcc
	;; [unrolled: 3-line block ×4, first 2 shown]
	s_cselect_b64 vcc, -1, 0
	s_cmp_eq_u32 s13, 6
	v_mov_b32_e32 v40, s12
	v_cndmask_b32_e32 v42, v42, v14, vcc
	s_cselect_b64 vcc, -1, 0
	s_add_i32 s13, s8, -6
	ds_read2_b32 v[34:35], v40 offset1:1
	ds_read2_b32 v[36:37], v40 offset0:2 offset1:3
	ds_read2_b32 v[38:39], v40 offset0:4 offset1:5
	;; [unrolled: 1-line block ×3, first 2 shown]
	s_cmp_eq_u32 s13, 1
	v_cndmask_b32_e32 v42, v42, v15, vcc
	s_cselect_b64 vcc, -1, 0
	s_cmp_eq_u32 s13, 2
	s_waitcnt lgkmcnt(3)
	v_fmac_f32_e32 v31, v42, v34
	v_cndmask_b32_e32 v34, v9, v10, vcc
	s_cselect_b64 vcc, -1, 0
	s_cmp_eq_u32 s13, 3
	v_cndmask_b32_e32 v34, v34, v11, vcc
	s_cselect_b64 vcc, -1, 0
	s_cmp_eq_u32 s13, 4
	;; [unrolled: 3-line block ×4, first 2 shown]
	v_cndmask_b32_e32 v34, v34, v14, vcc
	s_cselect_b64 vcc, -1, 0
	s_add_i32 s13, s8, -5
	s_cmp_eq_u32 s13, 1
	v_cndmask_b32_e32 v34, v34, v15, vcc
	s_cselect_b64 vcc, -1, 0
	s_cmp_eq_u32 s13, 2
	v_fmac_f32_e32 v31, v34, v35
	v_cndmask_b32_e32 v34, v9, v10, vcc
	s_cselect_b64 vcc, -1, 0
	s_cmp_eq_u32 s13, 3
	v_cndmask_b32_e32 v34, v34, v11, vcc
	s_cselect_b64 vcc, -1, 0
	s_cmp_eq_u32 s13, 4
	;; [unrolled: 3-line block ×4, first 2 shown]
	v_cndmask_b32_e32 v34, v34, v14, vcc
	s_cselect_b64 vcc, -1, 0
	s_add_i32 s13, s8, -4
	s_cmp_eq_u32 s13, 1
	v_cndmask_b32_e32 v34, v34, v15, vcc
	s_cselect_b64 vcc, -1, 0
	s_cmp_eq_u32 s13, 2
	s_waitcnt lgkmcnt(2)
	v_fmac_f32_e32 v31, v34, v36
	v_cndmask_b32_e32 v34, v9, v10, vcc
	s_cselect_b64 vcc, -1, 0
	s_cmp_eq_u32 s13, 3
	v_cndmask_b32_e32 v34, v34, v11, vcc
	s_cselect_b64 vcc, -1, 0
	s_cmp_eq_u32 s13, 4
	;; [unrolled: 3-line block ×4, first 2 shown]
	v_cndmask_b32_e32 v34, v34, v14, vcc
	s_cselect_b64 vcc, -1, 0
	s_add_i32 s13, s8, -3
	s_cmp_eq_u32 s13, 1
	v_cndmask_b32_e32 v34, v34, v15, vcc
	s_cselect_b64 vcc, -1, 0
	s_cmp_eq_u32 s13, 2
	v_fmac_f32_e32 v31, v34, v37
	v_cndmask_b32_e32 v34, v9, v10, vcc
	s_cselect_b64 vcc, -1, 0
	s_cmp_eq_u32 s13, 3
	v_cndmask_b32_e32 v34, v34, v11, vcc
	s_cselect_b64 vcc, -1, 0
	s_cmp_eq_u32 s13, 4
	;; [unrolled: 3-line block ×4, first 2 shown]
	v_cndmask_b32_e32 v34, v34, v14, vcc
	s_cselect_b64 vcc, -1, 0
	s_add_i32 s13, s8, -2
	s_cmp_eq_u32 s13, 1
	v_cndmask_b32_e32 v34, v34, v15, vcc
	s_cselect_b64 vcc, -1, 0
	s_cmp_eq_u32 s13, 2
	s_waitcnt lgkmcnt(1)
	v_fmac_f32_e32 v31, v34, v38
	v_cndmask_b32_e32 v34, v9, v10, vcc
	s_cselect_b64 vcc, -1, 0
	s_cmp_eq_u32 s13, 3
	v_cndmask_b32_e32 v34, v34, v11, vcc
	s_cselect_b64 vcc, -1, 0
	s_cmp_eq_u32 s13, 4
	;; [unrolled: 3-line block ×4, first 2 shown]
	v_cndmask_b32_e32 v34, v34, v14, vcc
	s_cselect_b64 vcc, -1, 0
	s_add_i32 s13, s8, -1
	s_cmp_eq_u32 s13, 1
	v_cndmask_b32_e32 v34, v34, v15, vcc
	s_cselect_b64 vcc, -1, 0
	s_cmp_eq_u32 s13, 2
	v_fmac_f32_e32 v31, v34, v39
	v_cndmask_b32_e32 v34, v9, v10, vcc
	s_cselect_b64 vcc, -1, 0
	s_cmp_eq_u32 s13, 3
	v_cndmask_b32_e32 v34, v34, v11, vcc
	s_cselect_b64 vcc, -1, 0
	s_cmp_eq_u32 s13, 4
	;; [unrolled: 3-line block ×6, first 2 shown]
	s_waitcnt lgkmcnt(0)
	v_fmac_f32_e32 v31, v34, v40
	v_cndmask_b32_e32 v34, v9, v10, vcc
	s_cselect_b64 vcc, -1, 0
	s_cmp_eq_u32 s8, 3
	v_cndmask_b32_e32 v34, v34, v11, vcc
	s_cselect_b64 vcc, -1, 0
	s_cmp_eq_u32 s8, 4
	;; [unrolled: 3-line block ×4, first 2 shown]
	v_cndmask_b32_e32 v34, v34, v14, vcc
	s_cselect_b64 vcc, -1, 0
	v_cndmask_b32_e32 v34, v34, v15, vcc
	s_add_u32 s8, s8, 8
	v_fmac_f32_e32 v31, v34, v41
	v_add_u32_e32 v34, s8, v33
	s_addc_u32 s9, s9, 0
	s_add_i32 s12, s12, 32
	s_add_i32 s13, s8, -7
	v_cmp_eq_u32_e32 vcc, 10, v34
	s_or_b64 s[10:11], vcc, s[10:11]
	v_mov_b32_e32 v34, s13
	s_andn2_b64 exec, exec, s[10:11]
	s_cbranch_execnz .LBB70_41
; %bb.42:
	s_or_b64 exec, exec, s[10:11]
.LBB70_43:
	s_or_b64 exec, exec, s[2:3]
	v_and_b32_e32 v32, 7, v32
	v_cmp_ne_u32_e32 vcc, 0, v32
	s_and_saveexec_b64 s[8:9], vcc
	s_cbranch_execz .LBB70_47
; %bb.44:
	v_lshl_add_u32 v33, v34, 2, 32
	v_mov_b32_e32 v35, 0
	s_mov_b64 s[10:11], 0
.LBB70_45:                              ; =>This Inner Loop Header: Depth=1
	v_cmp_eq_u32_e32 vcc, 1, v34
	v_cndmask_b32_e32 v36, v9, v10, vcc
	v_add_u32_e32 v32, -1, v32
	v_cmp_eq_u32_e32 vcc, 2, v34
	ds_read_b32 v37, v33
	v_cndmask_b32_e32 v36, v36, v11, vcc
	v_cmp_eq_u32_e32 vcc, 0, v32
	v_cmp_eq_u32_e64 s[2:3], 3, v34
	v_cndmask_b32_e64 v36, v36, v12, s[2:3]
	s_or_b64 s[10:11], vcc, s[10:11]
	v_cmp_eq_u32_e32 vcc, 4, v34
	v_cndmask_b32_e32 v36, v36, v13, vcc
	v_cmp_eq_u32_e32 vcc, 5, v34
	v_cndmask_b32_e32 v36, v36, v14, vcc
	v_cmp_eq_u32_e32 vcc, 6, v34
	v_add_co_u32_e64 v34, s[2:3], 1, v34
	v_cndmask_b32_e32 v36, v36, v15, vcc
	v_add_u32_e32 v33, 4, v33
	v_addc_co_u32_e64 v35, s[2:3], 0, v35, s[2:3]
	s_waitcnt lgkmcnt(0)
	v_fmac_f32_e32 v31, v36, v37
	s_andn2_b64 exec, exec, s[10:11]
	s_cbranch_execnz .LBB70_45
; %bb.46:
	s_or_b64 exec, exec, s[10:11]
.LBB70_47:
	s_or_b64 exec, exec, s[8:9]
.LBB70_48:
	s_or_b64 exec, exec, s[6:7]
	v_mov_b32_e32 v11, 0
	ds_read_b32 v11, v11 offset:8
	s_waitcnt lgkmcnt(0)
	v_mul_f32_e32 v11, v31, v11
.LBB70_49:
	s_or_b64 exec, exec, s[4:5]
	v_cmp_lt_u32_e64 s[2:3], 1, v0
	ds_write_b32 v30, v10
	s_waitcnt lgkmcnt(0)
	; wave barrier
	s_and_saveexec_b64 s[4:5], s[2:3]
	s_cbranch_execz .LBB70_65
; %bb.50:
	s_andn2_b64 vcc, exec, s[14:15]
	s_cbranch_vccnz .LBB70_52
; %bb.51:
	v_cmp_eq_u32_e32 vcc, 1, v0
	v_cndmask_b32_e32 v31, v9, v10, vcc
	v_cmp_eq_u32_e32 vcc, 2, v0
	v_cndmask_b32_e32 v31, v31, v11, vcc
	v_cmp_eq_u32_e32 vcc, 3, v0
	ds_read_b32 v32, v30
	v_cndmask_b32_e32 v31, v31, v12, vcc
	v_cmp_eq_u32_e32 vcc, 4, v0
	v_cndmask_b32_e32 v31, v31, v13, vcc
	v_cmp_eq_u32_e32 vcc, 5, v0
	;; [unrolled: 2-line block ×3, first 2 shown]
	v_cndmask_b32_e32 v31, v31, v15, vcc
	s_waitcnt lgkmcnt(0)
	v_mul_f32_e32 v31, v31, v32
	s_cbranch_execz .LBB70_53
	s_branch .LBB70_54
.LBB70_52:
                                        ; implicit-def: $vgpr31
.LBB70_53:
	ds_read_b32 v31, v30
.LBB70_54:
	s_and_saveexec_b64 s[6:7], s[0:1]
	s_cbranch_execz .LBB70_64
; %bb.55:
	v_add_u32_e32 v33, -3, v0
	v_add_u32_e32 v32, -2, v0
	v_cmp_lt_u32_e32 vcc, 6, v33
	v_mov_b32_e32 v34, 2
	s_and_saveexec_b64 s[0:1], vcc
	s_cbranch_execz .LBB70_59
; %bb.56:
	v_and_b32_e32 v33, -8, v32
	v_sub_u32_e32 v33, 0, v33
	s_mov_b64 s[8:9], 9
	s_mov_b32 s12, 40
	s_mov_b64 s[10:11], 0
.LBB70_57:                              ; =>This Inner Loop Header: Depth=1
	s_add_i32 s13, s8, -7
	s_cmp_eq_u32 s13, 1
	s_cselect_b64 vcc, -1, 0
	s_cmp_eq_u32 s13, 2
	v_cndmask_b32_e32 v42, v9, v10, vcc
	s_cselect_b64 vcc, -1, 0
	s_cmp_eq_u32 s13, 3
	v_cndmask_b32_e32 v42, v42, v11, vcc
	s_cselect_b64 vcc, -1, 0
	s_cmp_eq_u32 s13, 4
	v_mov_b32_e32 v38, s12
	v_cndmask_b32_e32 v42, v42, v12, vcc
	s_cselect_b64 vcc, -1, 0
	s_cmp_eq_u32 s13, 5
	ds_read2_b64 v[34:37], v38 offset1:1
	ds_read2_b64 v[38:41], v38 offset0:2 offset1:3
	v_cndmask_b32_e32 v42, v42, v13, vcc
	s_cselect_b64 vcc, -1, 0
	s_cmp_eq_u32 s13, 6
	v_cndmask_b32_e32 v42, v42, v14, vcc
	s_cselect_b64 vcc, -1, 0
	s_add_i32 s13, s8, -6
	s_cmp_eq_u32 s13, 1
	v_cndmask_b32_e32 v42, v42, v15, vcc
	s_cselect_b64 vcc, -1, 0
	s_cmp_eq_u32 s13, 2
	s_waitcnt lgkmcnt(1)
	v_fmac_f32_e32 v31, v42, v34
	v_cndmask_b32_e32 v34, v9, v10, vcc
	s_cselect_b64 vcc, -1, 0
	s_cmp_eq_u32 s13, 3
	v_cndmask_b32_e32 v34, v34, v11, vcc
	s_cselect_b64 vcc, -1, 0
	s_cmp_eq_u32 s13, 4
	v_cndmask_b32_e32 v34, v34, v12, vcc
	s_cselect_b64 vcc, -1, 0
	s_cmp_eq_u32 s13, 5
	v_cndmask_b32_e32 v34, v34, v13, vcc
	s_cselect_b64 vcc, -1, 0
	s_cmp_eq_u32 s13, 6
	v_cndmask_b32_e32 v34, v34, v14, vcc
	s_cselect_b64 vcc, -1, 0
	s_add_i32 s13, s8, -5
	s_cmp_eq_u32 s13, 1
	v_cndmask_b32_e32 v34, v34, v15, vcc
	s_cselect_b64 vcc, -1, 0
	s_cmp_eq_u32 s13, 2
	v_fmac_f32_e32 v31, v34, v35
	v_cndmask_b32_e32 v34, v9, v10, vcc
	s_cselect_b64 vcc, -1, 0
	s_cmp_eq_u32 s13, 3
	v_cndmask_b32_e32 v34, v34, v11, vcc
	s_cselect_b64 vcc, -1, 0
	s_cmp_eq_u32 s13, 4
	v_cndmask_b32_e32 v34, v34, v12, vcc
	s_cselect_b64 vcc, -1, 0
	s_cmp_eq_u32 s13, 5
	v_cndmask_b32_e32 v34, v34, v13, vcc
	s_cselect_b64 vcc, -1, 0
	s_cmp_eq_u32 s13, 6
	v_cndmask_b32_e32 v34, v34, v14, vcc
	s_cselect_b64 vcc, -1, 0
	s_add_i32 s13, s8, -4
	s_cmp_eq_u32 s13, 1
	v_cndmask_b32_e32 v34, v34, v15, vcc
	s_cselect_b64 vcc, -1, 0
	s_cmp_eq_u32 s13, 2
	;; [unrolled: 20-line block ×4, first 2 shown]
	s_waitcnt lgkmcnt(0)
	v_fmac_f32_e32 v31, v34, v38
	v_cndmask_b32_e32 v34, v9, v10, vcc
	s_cselect_b64 vcc, -1, 0
	s_cmp_eq_u32 s13, 3
	v_cndmask_b32_e32 v34, v34, v11, vcc
	s_cselect_b64 vcc, -1, 0
	s_cmp_eq_u32 s13, 4
	;; [unrolled: 3-line block ×4, first 2 shown]
	v_cndmask_b32_e32 v34, v34, v14, vcc
	s_cselect_b64 vcc, -1, 0
	s_add_i32 s13, s8, -1
	s_cmp_eq_u32 s13, 1
	v_cndmask_b32_e32 v34, v34, v15, vcc
	s_cselect_b64 vcc, -1, 0
	s_cmp_eq_u32 s13, 2
	v_fmac_f32_e32 v31, v34, v39
	v_cndmask_b32_e32 v34, v9, v10, vcc
	s_cselect_b64 vcc, -1, 0
	s_cmp_eq_u32 s13, 3
	v_cndmask_b32_e32 v34, v34, v11, vcc
	s_cselect_b64 vcc, -1, 0
	s_cmp_eq_u32 s13, 4
	;; [unrolled: 3-line block ×6, first 2 shown]
	v_fmac_f32_e32 v31, v34, v40
	v_cndmask_b32_e32 v34, v9, v10, vcc
	s_cselect_b64 vcc, -1, 0
	s_cmp_eq_u32 s8, 3
	v_cndmask_b32_e32 v34, v34, v11, vcc
	s_cselect_b64 vcc, -1, 0
	s_cmp_eq_u32 s8, 4
	;; [unrolled: 3-line block ×4, first 2 shown]
	v_cndmask_b32_e32 v34, v34, v14, vcc
	s_cselect_b64 vcc, -1, 0
	v_cndmask_b32_e32 v34, v34, v15, vcc
	s_add_u32 s8, s8, 8
	v_fmac_f32_e32 v31, v34, v41
	v_add_u32_e32 v34, s8, v33
	s_addc_u32 s9, s9, 0
	s_add_i32 s12, s12, 32
	s_add_i32 s13, s8, -7
	v_cmp_eq_u32_e32 vcc, 9, v34
	s_or_b64 s[10:11], vcc, s[10:11]
	v_mov_b32_e32 v34, s13
	s_andn2_b64 exec, exec, s[10:11]
	s_cbranch_execnz .LBB70_57
; %bb.58:
	s_or_b64 exec, exec, s[10:11]
.LBB70_59:
	s_or_b64 exec, exec, s[0:1]
	v_and_b32_e32 v32, 7, v32
	v_cmp_ne_u32_e32 vcc, 0, v32
	s_and_saveexec_b64 s[8:9], vcc
	s_cbranch_execz .LBB70_63
; %bb.60:
	v_lshl_add_u32 v33, v34, 2, 32
	v_mov_b32_e32 v35, 0
	s_mov_b64 s[10:11], 0
.LBB70_61:                              ; =>This Inner Loop Header: Depth=1
	v_cmp_eq_u32_e32 vcc, 1, v34
	v_cndmask_b32_e32 v36, v9, v10, vcc
	v_add_u32_e32 v32, -1, v32
	v_cmp_eq_u32_e32 vcc, 2, v34
	ds_read_b32 v37, v33
	v_cndmask_b32_e32 v36, v36, v11, vcc
	v_cmp_eq_u32_e32 vcc, 0, v32
	v_cmp_eq_u32_e64 s[0:1], 3, v34
	v_cndmask_b32_e64 v36, v36, v12, s[0:1]
	s_or_b64 s[10:11], vcc, s[10:11]
	v_cmp_eq_u32_e32 vcc, 4, v34
	v_cndmask_b32_e32 v36, v36, v13, vcc
	v_cmp_eq_u32_e32 vcc, 5, v34
	v_cndmask_b32_e32 v36, v36, v14, vcc
	v_cmp_eq_u32_e32 vcc, 6, v34
	v_add_co_u32_e64 v34, s[0:1], 1, v34
	v_cndmask_b32_e32 v36, v36, v15, vcc
	v_add_u32_e32 v33, 4, v33
	v_addc_co_u32_e64 v35, s[0:1], 0, v35, s[0:1]
	s_waitcnt lgkmcnt(0)
	v_fmac_f32_e32 v31, v36, v37
	s_andn2_b64 exec, exec, s[10:11]
	s_cbranch_execnz .LBB70_61
; %bb.62:
	s_or_b64 exec, exec, s[10:11]
.LBB70_63:
	s_or_b64 exec, exec, s[8:9]
.LBB70_64:
	s_or_b64 exec, exec, s[6:7]
	v_mov_b32_e32 v10, 0
	ds_read_b32 v10, v10 offset:4
	s_waitcnt lgkmcnt(0)
	v_mul_f32_e32 v10, v31, v10
.LBB70_65:
	s_or_b64 exec, exec, s[4:5]
	v_cmp_ne_u32_e32 vcc, 0, v0
	ds_write_b32 v30, v9
	s_waitcnt lgkmcnt(0)
	; wave barrier
	s_and_saveexec_b64 s[4:5], vcc
	s_cbranch_execz .LBB70_81
; %bb.66:
	s_andn2_b64 vcc, exec, s[14:15]
	s_cbranch_vccnz .LBB70_68
; %bb.67:
	v_cmp_eq_u32_e32 vcc, 1, v0
	v_cndmask_b32_e32 v31, v9, v10, vcc
	v_cmp_eq_u32_e32 vcc, 2, v0
	v_cndmask_b32_e32 v31, v31, v11, vcc
	v_cmp_eq_u32_e32 vcc, 3, v0
	ds_read_b32 v32, v30
	v_cndmask_b32_e32 v31, v31, v12, vcc
	v_cmp_eq_u32_e32 vcc, 4, v0
	v_cndmask_b32_e32 v31, v31, v13, vcc
	v_cmp_eq_u32_e32 vcc, 5, v0
	;; [unrolled: 2-line block ×3, first 2 shown]
	v_cndmask_b32_e32 v31, v31, v15, vcc
	s_waitcnt lgkmcnt(0)
	v_mul_f32_e32 v31, v31, v32
	s_cbranch_execz .LBB70_69
	s_branch .LBB70_70
.LBB70_68:
                                        ; implicit-def: $vgpr31
.LBB70_69:
	ds_read_b32 v31, v30
.LBB70_70:
	s_and_saveexec_b64 s[6:7], s[2:3]
	s_cbranch_execz .LBB70_80
; %bb.71:
	v_add_u32_e32 v33, -2, v0
	v_add_u32_e32 v32, -1, v0
	v_cmp_lt_u32_e32 vcc, 6, v33
	v_mov_b32_e32 v34, 1
	s_and_saveexec_b64 s[0:1], vcc
	s_cbranch_execz .LBB70_75
; %bb.72:
	v_and_b32_e32 v33, -8, v32
	v_sub_u32_e32 v33, 0, v33
	s_mov_b64 s[2:3], 8
	s_mov_b32 s10, 36
	s_mov_b64 s[8:9], 0
.LBB70_73:                              ; =>This Inner Loop Header: Depth=1
	s_add_i32 s11, s2, -7
	s_cmp_eq_u32 s11, 1
	s_cselect_b64 vcc, -1, 0
	s_cmp_eq_u32 s11, 2
	v_cndmask_b32_e32 v42, v9, v10, vcc
	s_cselect_b64 vcc, -1, 0
	s_cmp_eq_u32 s11, 3
	v_cndmask_b32_e32 v42, v42, v11, vcc
	s_cselect_b64 vcc, -1, 0
	s_cmp_eq_u32 s11, 4
	v_cndmask_b32_e32 v42, v42, v12, vcc
	s_cselect_b64 vcc, -1, 0
	s_cmp_eq_u32 s11, 5
	v_cndmask_b32_e32 v42, v42, v13, vcc
	s_cselect_b64 vcc, -1, 0
	s_cmp_eq_u32 s11, 6
	v_mov_b32_e32 v40, s10
	v_cndmask_b32_e32 v42, v42, v14, vcc
	s_cselect_b64 vcc, -1, 0
	s_add_i32 s11, s2, -6
	ds_read2_b32 v[34:35], v40 offset1:1
	ds_read2_b32 v[36:37], v40 offset0:2 offset1:3
	ds_read2_b32 v[38:39], v40 offset0:4 offset1:5
	;; [unrolled: 1-line block ×3, first 2 shown]
	s_cmp_eq_u32 s11, 1
	v_cndmask_b32_e32 v42, v42, v15, vcc
	s_cselect_b64 vcc, -1, 0
	s_cmp_eq_u32 s11, 2
	s_waitcnt lgkmcnt(3)
	v_fmac_f32_e32 v31, v42, v34
	v_cndmask_b32_e32 v34, v9, v10, vcc
	s_cselect_b64 vcc, -1, 0
	s_cmp_eq_u32 s11, 3
	v_cndmask_b32_e32 v34, v34, v11, vcc
	s_cselect_b64 vcc, -1, 0
	s_cmp_eq_u32 s11, 4
	;; [unrolled: 3-line block ×4, first 2 shown]
	v_cndmask_b32_e32 v34, v34, v14, vcc
	s_cselect_b64 vcc, -1, 0
	s_add_i32 s11, s2, -5
	s_cmp_eq_u32 s11, 1
	v_cndmask_b32_e32 v34, v34, v15, vcc
	s_cselect_b64 vcc, -1, 0
	s_cmp_eq_u32 s11, 2
	v_fmac_f32_e32 v31, v34, v35
	v_cndmask_b32_e32 v34, v9, v10, vcc
	s_cselect_b64 vcc, -1, 0
	s_cmp_eq_u32 s11, 3
	v_cndmask_b32_e32 v34, v34, v11, vcc
	s_cselect_b64 vcc, -1, 0
	s_cmp_eq_u32 s11, 4
	;; [unrolled: 3-line block ×4, first 2 shown]
	v_cndmask_b32_e32 v34, v34, v14, vcc
	s_cselect_b64 vcc, -1, 0
	s_add_i32 s11, s2, -4
	s_cmp_eq_u32 s11, 1
	v_cndmask_b32_e32 v34, v34, v15, vcc
	s_cselect_b64 vcc, -1, 0
	s_cmp_eq_u32 s11, 2
	s_waitcnt lgkmcnt(2)
	v_fmac_f32_e32 v31, v34, v36
	v_cndmask_b32_e32 v34, v9, v10, vcc
	s_cselect_b64 vcc, -1, 0
	s_cmp_eq_u32 s11, 3
	v_cndmask_b32_e32 v34, v34, v11, vcc
	s_cselect_b64 vcc, -1, 0
	s_cmp_eq_u32 s11, 4
	;; [unrolled: 3-line block ×4, first 2 shown]
	v_cndmask_b32_e32 v34, v34, v14, vcc
	s_cselect_b64 vcc, -1, 0
	s_add_i32 s11, s2, -3
	s_cmp_eq_u32 s11, 1
	v_cndmask_b32_e32 v34, v34, v15, vcc
	s_cselect_b64 vcc, -1, 0
	s_cmp_eq_u32 s11, 2
	v_fmac_f32_e32 v31, v34, v37
	v_cndmask_b32_e32 v34, v9, v10, vcc
	s_cselect_b64 vcc, -1, 0
	s_cmp_eq_u32 s11, 3
	v_cndmask_b32_e32 v34, v34, v11, vcc
	s_cselect_b64 vcc, -1, 0
	s_cmp_eq_u32 s11, 4
	;; [unrolled: 3-line block ×4, first 2 shown]
	v_cndmask_b32_e32 v34, v34, v14, vcc
	s_cselect_b64 vcc, -1, 0
	s_add_i32 s11, s2, -2
	s_cmp_eq_u32 s11, 1
	v_cndmask_b32_e32 v34, v34, v15, vcc
	s_cselect_b64 vcc, -1, 0
	s_cmp_eq_u32 s11, 2
	s_waitcnt lgkmcnt(1)
	v_fmac_f32_e32 v31, v34, v38
	v_cndmask_b32_e32 v34, v9, v10, vcc
	s_cselect_b64 vcc, -1, 0
	s_cmp_eq_u32 s11, 3
	v_cndmask_b32_e32 v34, v34, v11, vcc
	s_cselect_b64 vcc, -1, 0
	s_cmp_eq_u32 s11, 4
	;; [unrolled: 3-line block ×4, first 2 shown]
	v_cndmask_b32_e32 v34, v34, v14, vcc
	s_cselect_b64 vcc, -1, 0
	s_add_i32 s11, s2, -1
	s_cmp_eq_u32 s11, 1
	v_cndmask_b32_e32 v34, v34, v15, vcc
	s_cselect_b64 vcc, -1, 0
	s_cmp_eq_u32 s11, 2
	v_fmac_f32_e32 v31, v34, v39
	v_cndmask_b32_e32 v34, v9, v10, vcc
	s_cselect_b64 vcc, -1, 0
	s_cmp_eq_u32 s11, 3
	v_cndmask_b32_e32 v34, v34, v11, vcc
	s_cselect_b64 vcc, -1, 0
	s_cmp_eq_u32 s11, 4
	v_cndmask_b32_e32 v34, v34, v12, vcc
	s_cselect_b64 vcc, -1, 0
	s_cmp_eq_u32 s11, 5
	v_cndmask_b32_e32 v34, v34, v13, vcc
	s_cselect_b64 vcc, -1, 0
	s_cmp_eq_u32 s11, 6
	v_cndmask_b32_e32 v34, v34, v14, vcc
	s_cselect_b64 vcc, -1, 0
	s_cmp_eq_u32 s2, 1
	v_cndmask_b32_e32 v34, v34, v15, vcc
	s_cselect_b64 vcc, -1, 0
	s_cmp_eq_u32 s2, 2
	s_waitcnt lgkmcnt(0)
	v_fmac_f32_e32 v31, v34, v40
	v_cndmask_b32_e32 v34, v9, v10, vcc
	s_cselect_b64 vcc, -1, 0
	s_cmp_eq_u32 s2, 3
	v_cndmask_b32_e32 v34, v34, v11, vcc
	s_cselect_b64 vcc, -1, 0
	s_cmp_eq_u32 s2, 4
	;; [unrolled: 3-line block ×4, first 2 shown]
	v_cndmask_b32_e32 v34, v34, v14, vcc
	s_cselect_b64 vcc, -1, 0
	v_cndmask_b32_e32 v34, v34, v15, vcc
	s_add_u32 s2, s2, 8
	v_fmac_f32_e32 v31, v34, v41
	v_add_u32_e32 v34, s2, v33
	s_addc_u32 s3, s3, 0
	s_add_i32 s10, s10, 32
	s_add_i32 s11, s2, -7
	v_cmp_eq_u32_e32 vcc, 8, v34
	s_or_b64 s[8:9], vcc, s[8:9]
	v_mov_b32_e32 v34, s11
	s_andn2_b64 exec, exec, s[8:9]
	s_cbranch_execnz .LBB70_73
; %bb.74:
	s_or_b64 exec, exec, s[8:9]
.LBB70_75:
	s_or_b64 exec, exec, s[0:1]
	v_and_b32_e32 v32, 7, v32
	v_cmp_ne_u32_e32 vcc, 0, v32
	s_and_saveexec_b64 s[2:3], vcc
	s_cbranch_execz .LBB70_79
; %bb.76:
	v_lshl_add_u32 v33, v34, 2, 32
	v_mov_b32_e32 v35, 0
	s_mov_b64 s[8:9], 0
.LBB70_77:                              ; =>This Inner Loop Header: Depth=1
	v_cmp_eq_u32_e32 vcc, 1, v34
	v_cndmask_b32_e32 v36, v9, v10, vcc
	v_add_u32_e32 v32, -1, v32
	v_cmp_eq_u32_e32 vcc, 2, v34
	ds_read_b32 v37, v33
	v_cndmask_b32_e32 v36, v36, v11, vcc
	v_cmp_eq_u32_e32 vcc, 0, v32
	v_cmp_eq_u32_e64 s[0:1], 3, v34
	v_cndmask_b32_e64 v36, v36, v12, s[0:1]
	s_or_b64 s[8:9], vcc, s[8:9]
	v_cmp_eq_u32_e32 vcc, 4, v34
	v_cndmask_b32_e32 v36, v36, v13, vcc
	v_cmp_eq_u32_e32 vcc, 5, v34
	v_cndmask_b32_e32 v36, v36, v14, vcc
	v_cmp_eq_u32_e32 vcc, 6, v34
	v_add_co_u32_e64 v34, s[0:1], 1, v34
	v_cndmask_b32_e32 v36, v36, v15, vcc
	v_add_u32_e32 v33, 4, v33
	v_addc_co_u32_e64 v35, s[0:1], 0, v35, s[0:1]
	s_waitcnt lgkmcnt(0)
	v_fmac_f32_e32 v31, v36, v37
	s_andn2_b64 exec, exec, s[8:9]
	s_cbranch_execnz .LBB70_77
; %bb.78:
	s_or_b64 exec, exec, s[8:9]
.LBB70_79:
	s_or_b64 exec, exec, s[2:3]
.LBB70_80:
	s_or_b64 exec, exec, s[6:7]
	v_mov_b32_e32 v9, 0
	ds_read_b32 v9, v9
	s_waitcnt lgkmcnt(0)
	v_mul_f32_e32 v9, v31, v9
.LBB70_81:
	s_or_b64 exec, exec, s[4:5]
	s_branch .LBB70_133
.LBB70_82:
	v_cmp_eq_u32_e64 s[2:3], 0, v0
	s_waitcnt vmcnt(0) lgkmcnt(0)
	ds_write_b32 v30, v3
	s_waitcnt lgkmcnt(0)
	; wave barrier
	s_and_saveexec_b64 s[0:1], s[2:3]
	s_cbranch_execz .LBB70_88
; %bb.83:
	s_and_b64 vcc, exec, s[14:15]
	s_cbranch_vccz .LBB70_85
; %bb.84:
	v_cmp_eq_u32_e32 vcc, 1, v0
	v_cndmask_b32_e32 v3, v2, v3, vcc
	v_cmp_eq_u32_e32 vcc, 2, v0
	v_cndmask_b32_e32 v3, v3, v4, vcc
	v_cmp_eq_u32_e32 vcc, 3, v0
	ds_read_b32 v9, v30
	v_cndmask_b32_e32 v3, v3, v5, vcc
	v_cmp_eq_u32_e32 vcc, 4, v0
	v_cndmask_b32_e32 v3, v3, v6, vcc
	v_cmp_eq_u32_e32 vcc, 5, v0
	;; [unrolled: 2-line block ×3, first 2 shown]
	v_cndmask_b32_e32 v3, v3, v8, vcc
	s_waitcnt lgkmcnt(0)
	v_mul_f32_e32 v3, v3, v9
	s_cbranch_execz .LBB70_86
	s_branch .LBB70_87
.LBB70_85:
                                        ; implicit-def: $vgpr3
.LBB70_86:
	ds_read_b32 v3, v30
.LBB70_87:
	v_mov_b32_e32 v9, 0
	ds_read_b32 v9, v9 offset:4
	s_waitcnt lgkmcnt(0)
	v_mul_f32_e32 v3, v3, v9
.LBB70_88:
	s_or_b64 exec, exec, s[0:1]
	v_cndmask_b32_e64 v9, 0, 1, s[14:15]
	v_cmp_gt_u32_e32 vcc, 2, v0
	v_cmp_ne_u32_e64 s[0:1], 1, v9
	ds_write_b32 v30, v4
	s_waitcnt lgkmcnt(0)
	; wave barrier
	s_and_saveexec_b64 s[4:5], vcc
	s_cbranch_execz .LBB70_94
; %bb.89:
	s_and_b64 vcc, exec, s[0:1]
	s_cbranch_vccnz .LBB70_91
; %bb.90:
	v_cmp_eq_u32_e32 vcc, 1, v0
	v_cndmask_b32_e32 v9, v2, v3, vcc
	v_cmp_eq_u32_e32 vcc, 2, v0
	v_cndmask_b32_e32 v4, v9, v4, vcc
	v_cmp_eq_u32_e32 vcc, 3, v0
	ds_read_b32 v9, v30
	v_cndmask_b32_e32 v4, v4, v5, vcc
	v_cmp_eq_u32_e32 vcc, 4, v0
	v_cndmask_b32_e32 v4, v4, v6, vcc
	v_cmp_eq_u32_e32 vcc, 5, v0
	;; [unrolled: 2-line block ×3, first 2 shown]
	v_cndmask_b32_e32 v4, v4, v8, vcc
	s_waitcnt lgkmcnt(0)
	v_mul_f32_e32 v4, v4, v9
	s_cbranch_execz .LBB70_92
	s_branch .LBB70_93
.LBB70_91:
                                        ; implicit-def: $vgpr4
.LBB70_92:
	ds_read_b32 v4, v30
.LBB70_93:
	v_mov_b32_e32 v9, 0
	ds_read2_b32 v[9:10], v9 offset0:2 offset1:9
	s_waitcnt lgkmcnt(0)
	v_fma_f32 v10, v3, v10, v4
	v_cndmask_b32_e64 v4, v4, v10, s[2:3]
	v_mul_f32_e32 v4, v4, v9
.LBB70_94:
	s_or_b64 exec, exec, s[4:5]
	v_cmp_gt_u32_e32 vcc, 3, v0
	ds_write_b32 v30, v5
	s_waitcnt lgkmcnt(0)
	; wave barrier
	s_and_saveexec_b64 s[4:5], vcc
	s_cbranch_execz .LBB70_102
; %bb.95:
	s_and_b64 vcc, exec, s[0:1]
	s_cbranch_vccnz .LBB70_97
; %bb.96:
	v_cmp_eq_u32_e32 vcc, 1, v0
	v_cndmask_b32_e32 v9, v2, v3, vcc
	v_cmp_eq_u32_e32 vcc, 2, v0
	v_cndmask_b32_e32 v9, v9, v4, vcc
	v_cmp_eq_u32_e32 vcc, 3, v0
	ds_read_b32 v10, v30
	v_cndmask_b32_e32 v9, v9, v5, vcc
	v_cmp_eq_u32_e32 vcc, 4, v0
	v_cndmask_b32_e32 v9, v9, v6, vcc
	v_cmp_eq_u32_e32 vcc, 5, v0
	;; [unrolled: 2-line block ×3, first 2 shown]
	v_cndmask_b32_e32 v9, v9, v8, vcc
	s_waitcnt lgkmcnt(0)
	v_mul_f32_e32 v9, v9, v10
	s_cbranch_execz .LBB70_98
	s_branch .LBB70_99
.LBB70_97:
                                        ; implicit-def: $vgpr9
.LBB70_98:
	ds_read_b32 v9, v30
.LBB70_99:
	v_cmp_ne_u32_e32 vcc, 2, v0
	s_and_saveexec_b64 s[6:7], vcc
	s_cbranch_execz .LBB70_101
; %bb.100:
	v_add_u32_e32 v10, 1, v0
	v_cmp_eq_u32_e32 vcc, 1, v10
	v_cndmask_b32_e32 v11, v2, v3, vcc
	v_cmp_eq_u32_e32 vcc, 2, v10
	v_cndmask_b32_e32 v11, v11, v4, vcc
	;; [unrolled: 2-line block ×3, first 2 shown]
	v_mov_b32_e32 v11, 0
	v_cmp_eq_u32_e32 vcc, 4, v10
	ds_read_b32 v12, v30 offset:4
	ds_read_b32 v11, v11 offset:40
	v_cndmask_b32_e32 v5, v5, v6, vcc
	v_cmp_eq_u32_e32 vcc, 5, v10
	v_cndmask_b32_e32 v5, v5, v7, vcc
	v_cmp_eq_u32_e32 vcc, 6, v10
	v_cndmask_b32_e32 v5, v5, v8, vcc
	s_waitcnt lgkmcnt(1)
	v_fmac_f32_e32 v9, v5, v12
	s_waitcnt lgkmcnt(0)
	v_fma_f32 v5, v4, v11, v9
	v_cndmask_b32_e64 v9, v9, v5, s[2:3]
.LBB70_101:
	s_or_b64 exec, exec, s[6:7]
	v_mov_b32_e32 v5, 0
	ds_read_b32 v5, v5 offset:12
	s_waitcnt lgkmcnt(0)
	v_mul_f32_e32 v5, v9, v5
.LBB70_102:
	s_or_b64 exec, exec, s[4:5]
	v_cmp_gt_u32_e32 vcc, 4, v0
	ds_write_b32 v30, v6
	s_waitcnt lgkmcnt(0)
	; wave barrier
	s_and_saveexec_b64 s[4:5], vcc
	s_cbranch_execz .LBB70_112
; %bb.103:
	s_and_b64 vcc, exec, s[0:1]
	s_cbranch_vccnz .LBB70_105
; %bb.104:
	v_cmp_eq_u32_e32 vcc, 1, v0
	v_cndmask_b32_e32 v9, v2, v3, vcc
	v_cmp_eq_u32_e32 vcc, 2, v0
	v_cndmask_b32_e32 v9, v9, v4, vcc
	v_cmp_eq_u32_e32 vcc, 3, v0
	ds_read_b32 v10, v30
	v_cndmask_b32_e32 v9, v9, v5, vcc
	v_cmp_eq_u32_e32 vcc, 4, v0
	v_cndmask_b32_e32 v9, v9, v6, vcc
	v_cmp_eq_u32_e32 vcc, 5, v0
	v_cndmask_b32_e32 v9, v9, v7, vcc
	v_cmp_eq_u32_e32 vcc, 6, v0
	v_cndmask_b32_e32 v9, v9, v8, vcc
	s_waitcnt lgkmcnt(0)
	v_mul_f32_e32 v11, v9, v10
	s_cbranch_execz .LBB70_106
	s_branch .LBB70_107
.LBB70_105:
                                        ; implicit-def: $vgpr11
.LBB70_106:
	ds_read_b32 v11, v30
.LBB70_107:
	v_cmp_ne_u32_e32 vcc, 3, v0
	s_and_saveexec_b64 s[6:7], vcc
	s_cbranch_execz .LBB70_111
; %bb.108:
	v_mov_b32_e32 v10, v1
	v_lshl_add_u32 v12, v0, 2, 36
	s_mov_b64 s[8:9], 0
	v_mov_b32_e32 v9, v0
.LBB70_109:                             ; =>This Inner Loop Header: Depth=1
	v_add_co_u32_e32 v9, vcc, 1, v9
	v_addc_co_u32_e32 v10, vcc, 0, v10, vcc
	v_cmp_eq_u32_e32 vcc, 1, v9
	v_cndmask_b32_e32 v14, v2, v3, vcc
	v_cmp_lt_u32_e32 vcc, 2, v9
	v_cmp_eq_u32_e64 s[2:3], 2, v9
	ds_read_b32 v13, v12
	v_cndmask_b32_e64 v14, v14, v4, s[2:3]
	s_or_b64 s[8:9], vcc, s[8:9]
	v_cmp_eq_u32_e32 vcc, 3, v9
	v_cndmask_b32_e32 v14, v14, v5, vcc
	v_cmp_eq_u32_e32 vcc, 4, v9
	v_cndmask_b32_e32 v14, v14, v6, vcc
	;; [unrolled: 2-line block ×4, first 2 shown]
	v_add_u32_e32 v12, 4, v12
	s_waitcnt lgkmcnt(0)
	v_fmac_f32_e32 v11, v14, v13
	s_andn2_b64 exec, exec, s[8:9]
	s_cbranch_execnz .LBB70_109
; %bb.110:
	s_or_b64 exec, exec, s[8:9]
.LBB70_111:
	s_or_b64 exec, exec, s[6:7]
	v_mov_b32_e32 v6, 0
	ds_read_b32 v6, v6 offset:16
	s_waitcnt lgkmcnt(0)
	v_mul_f32_e32 v6, v11, v6
.LBB70_112:
	s_or_b64 exec, exec, s[4:5]
	v_cmp_gt_u32_e64 s[2:3], 5, v0
	ds_write_b32 v30, v7
	s_waitcnt lgkmcnt(0)
	; wave barrier
	s_and_saveexec_b64 s[6:7], s[2:3]
	s_cbranch_execz .LBB70_122
; %bb.113:
	s_and_b64 vcc, exec, s[0:1]
	s_cbranch_vccnz .LBB70_115
; %bb.114:
	v_cmp_eq_u32_e32 vcc, 1, v0
	v_cndmask_b32_e32 v9, v2, v3, vcc
	v_cmp_eq_u32_e32 vcc, 2, v0
	v_cndmask_b32_e32 v9, v9, v4, vcc
	v_cmp_eq_u32_e32 vcc, 3, v0
	ds_read_b32 v10, v30
	v_cndmask_b32_e32 v9, v9, v5, vcc
	v_cmp_eq_u32_e32 vcc, 4, v0
	v_cndmask_b32_e32 v9, v9, v6, vcc
	v_cmp_eq_u32_e32 vcc, 5, v0
	;; [unrolled: 2-line block ×3, first 2 shown]
	v_cndmask_b32_e32 v9, v9, v8, vcc
	s_waitcnt lgkmcnt(0)
	v_mul_f32_e32 v11, v9, v10
	s_cbranch_execz .LBB70_116
	s_branch .LBB70_117
.LBB70_115:
                                        ; implicit-def: $vgpr11
.LBB70_116:
	ds_read_b32 v11, v30
.LBB70_117:
	v_cmp_ne_u32_e32 vcc, 4, v0
	s_and_saveexec_b64 s[8:9], vcc
	s_cbranch_execz .LBB70_121
; %bb.118:
	v_mov_b32_e32 v10, v1
	v_lshl_add_u32 v12, v0, 2, 36
	s_mov_b64 s[10:11], 0
	v_mov_b32_e32 v9, v0
.LBB70_119:                             ; =>This Inner Loop Header: Depth=1
	v_add_co_u32_e32 v9, vcc, 1, v9
	v_addc_co_u32_e32 v10, vcc, 0, v10, vcc
	v_cmp_eq_u32_e32 vcc, 1, v9
	v_cndmask_b32_e32 v14, v2, v3, vcc
	v_cmp_lt_u32_e32 vcc, 3, v9
	v_cmp_eq_u32_e64 s[4:5], 2, v9
	ds_read_b32 v13, v12
	v_cndmask_b32_e64 v14, v14, v4, s[4:5]
	s_or_b64 s[10:11], vcc, s[10:11]
	v_cmp_eq_u32_e32 vcc, 3, v9
	v_cndmask_b32_e32 v14, v14, v5, vcc
	v_cmp_eq_u32_e32 vcc, 4, v9
	v_cndmask_b32_e32 v14, v14, v6, vcc
	;; [unrolled: 2-line block ×4, first 2 shown]
	v_add_u32_e32 v12, 4, v12
	s_waitcnt lgkmcnt(0)
	v_fmac_f32_e32 v11, v14, v13
	s_andn2_b64 exec, exec, s[10:11]
	s_cbranch_execnz .LBB70_119
; %bb.120:
	s_or_b64 exec, exec, s[10:11]
.LBB70_121:
	s_or_b64 exec, exec, s[8:9]
	v_mov_b32_e32 v7, 0
	ds_read_b32 v7, v7 offset:20
	s_waitcnt lgkmcnt(0)
	v_mul_f32_e32 v7, v11, v7
.LBB70_122:
	s_or_b64 exec, exec, s[6:7]
	v_cmp_ne_u32_e32 vcc, 6, v0
	ds_write_b32 v30, v8
	s_waitcnt lgkmcnt(0)
	; wave barrier
	s_and_saveexec_b64 s[4:5], vcc
	s_cbranch_execz .LBB70_132
; %bb.123:
	s_and_b64 vcc, exec, s[0:1]
	s_cbranch_vccnz .LBB70_125
; %bb.124:
	v_cmp_eq_u32_e32 vcc, 1, v0
	v_cndmask_b32_e32 v9, v2, v3, vcc
	v_cmp_eq_u32_e32 vcc, 2, v0
	v_cndmask_b32_e32 v9, v9, v4, vcc
	v_cmp_eq_u32_e32 vcc, 3, v0
	ds_read_b32 v10, v30
	v_cndmask_b32_e32 v9, v9, v5, vcc
	v_cmp_eq_u32_e32 vcc, 4, v0
	v_cndmask_b32_e32 v9, v9, v6, vcc
	v_cmp_eq_u32_e32 vcc, 5, v0
	v_cndmask_b32_e32 v9, v9, v7, vcc
	v_cmp_eq_u32_e32 vcc, 6, v0
	v_cndmask_b32_e32 v9, v9, v8, vcc
	s_waitcnt lgkmcnt(0)
	v_mul_f32_e32 v9, v9, v10
	s_cbranch_execz .LBB70_126
	s_branch .LBB70_127
.LBB70_125:
                                        ; implicit-def: $vgpr9
.LBB70_126:
	ds_read_b32 v9, v30
.LBB70_127:
	s_and_saveexec_b64 s[6:7], s[2:3]
	s_cbranch_execz .LBB70_131
; %bb.128:
	v_lshl_add_u32 v10, v0, 2, 36
	s_mov_b64 s[2:3], 0
.LBB70_129:                             ; =>This Inner Loop Header: Depth=1
	v_add_co_u32_e32 v0, vcc, 1, v0
	v_addc_co_u32_e32 v1, vcc, 0, v1, vcc
	v_cmp_eq_u32_e32 vcc, 1, v0
	v_cndmask_b32_e32 v12, v2, v3, vcc
	v_cmp_lt_u32_e32 vcc, 4, v0
	v_cmp_eq_u32_e64 s[0:1], 2, v0
	ds_read_b32 v11, v10
	v_cndmask_b32_e64 v12, v12, v4, s[0:1]
	s_or_b64 s[2:3], vcc, s[2:3]
	v_cmp_eq_u32_e32 vcc, 3, v0
	v_cndmask_b32_e32 v12, v12, v5, vcc
	v_cmp_eq_u32_e32 vcc, 4, v0
	v_cndmask_b32_e32 v12, v12, v6, vcc
	v_cmp_eq_u32_e32 vcc, 5, v0
	v_cndmask_b32_e32 v12, v12, v7, vcc
	v_cmp_eq_u32_e32 vcc, 6, v0
	v_cndmask_b32_e32 v12, v12, v8, vcc
	v_add_u32_e32 v10, 4, v10
	s_waitcnt lgkmcnt(0)
	v_fmac_f32_e32 v9, v12, v11
	s_andn2_b64 exec, exec, s[2:3]
	s_cbranch_execnz .LBB70_129
; %bb.130:
	s_or_b64 exec, exec, s[2:3]
.LBB70_131:
	s_or_b64 exec, exec, s[6:7]
	v_mov_b32_e32 v0, 0
	ds_read_b32 v0, v0 offset:24
	s_waitcnt lgkmcnt(0)
	v_mul_f32_e32 v8, v9, v0
.LBB70_132:
	s_or_b64 exec, exec, s[4:5]
	v_mov_b32_e32 v15, v8
	v_mov_b32_e32 v14, v7
	;; [unrolled: 1-line block ×7, first 2 shown]
.LBB70_133:
	flat_store_dword v[16:17], v9
	flat_store_dword v[18:19], v10
	;; [unrolled: 1-line block ×7, first 2 shown]
.LBB70_134:
	s_endpgm
	.section	.rodata,"a",@progbits
	.p2align	6, 0x0
	.amdhsa_kernel _ZN9rocsolver6v33100L18trti2_kernel_smallILi7EfPKPfEEv13rocblas_fill_17rocblas_diagonal_T1_iil
		.amdhsa_group_segment_fixed_size 60
		.amdhsa_private_segment_fixed_size 0
		.amdhsa_kernarg_size 32
		.amdhsa_user_sgpr_count 6
		.amdhsa_user_sgpr_private_segment_buffer 1
		.amdhsa_user_sgpr_dispatch_ptr 0
		.amdhsa_user_sgpr_queue_ptr 0
		.amdhsa_user_sgpr_kernarg_segment_ptr 1
		.amdhsa_user_sgpr_dispatch_id 0
		.amdhsa_user_sgpr_flat_scratch_init 0
		.amdhsa_user_sgpr_private_segment_size 0
		.amdhsa_uses_dynamic_stack 0
		.amdhsa_system_sgpr_private_segment_wavefront_offset 0
		.amdhsa_system_sgpr_workgroup_id_x 1
		.amdhsa_system_sgpr_workgroup_id_y 0
		.amdhsa_system_sgpr_workgroup_id_z 0
		.amdhsa_system_sgpr_workgroup_info 0
		.amdhsa_system_vgpr_workitem_id 0
		.amdhsa_next_free_vgpr 43
		.amdhsa_next_free_sgpr 20
		.amdhsa_reserve_vcc 1
		.amdhsa_reserve_flat_scratch 0
		.amdhsa_float_round_mode_32 0
		.amdhsa_float_round_mode_16_64 0
		.amdhsa_float_denorm_mode_32 3
		.amdhsa_float_denorm_mode_16_64 3
		.amdhsa_dx10_clamp 1
		.amdhsa_ieee_mode 1
		.amdhsa_fp16_overflow 0
		.amdhsa_exception_fp_ieee_invalid_op 0
		.amdhsa_exception_fp_denorm_src 0
		.amdhsa_exception_fp_ieee_div_zero 0
		.amdhsa_exception_fp_ieee_overflow 0
		.amdhsa_exception_fp_ieee_underflow 0
		.amdhsa_exception_fp_ieee_inexact 0
		.amdhsa_exception_int_div_zero 0
	.end_amdhsa_kernel
	.section	.text._ZN9rocsolver6v33100L18trti2_kernel_smallILi7EfPKPfEEv13rocblas_fill_17rocblas_diagonal_T1_iil,"axG",@progbits,_ZN9rocsolver6v33100L18trti2_kernel_smallILi7EfPKPfEEv13rocblas_fill_17rocblas_diagonal_T1_iil,comdat
.Lfunc_end70:
	.size	_ZN9rocsolver6v33100L18trti2_kernel_smallILi7EfPKPfEEv13rocblas_fill_17rocblas_diagonal_T1_iil, .Lfunc_end70-_ZN9rocsolver6v33100L18trti2_kernel_smallILi7EfPKPfEEv13rocblas_fill_17rocblas_diagonal_T1_iil
                                        ; -- End function
	.set _ZN9rocsolver6v33100L18trti2_kernel_smallILi7EfPKPfEEv13rocblas_fill_17rocblas_diagonal_T1_iil.num_vgpr, 43
	.set _ZN9rocsolver6v33100L18trti2_kernel_smallILi7EfPKPfEEv13rocblas_fill_17rocblas_diagonal_T1_iil.num_agpr, 0
	.set _ZN9rocsolver6v33100L18trti2_kernel_smallILi7EfPKPfEEv13rocblas_fill_17rocblas_diagonal_T1_iil.numbered_sgpr, 20
	.set _ZN9rocsolver6v33100L18trti2_kernel_smallILi7EfPKPfEEv13rocblas_fill_17rocblas_diagonal_T1_iil.num_named_barrier, 0
	.set _ZN9rocsolver6v33100L18trti2_kernel_smallILi7EfPKPfEEv13rocblas_fill_17rocblas_diagonal_T1_iil.private_seg_size, 0
	.set _ZN9rocsolver6v33100L18trti2_kernel_smallILi7EfPKPfEEv13rocblas_fill_17rocblas_diagonal_T1_iil.uses_vcc, 1
	.set _ZN9rocsolver6v33100L18trti2_kernel_smallILi7EfPKPfEEv13rocblas_fill_17rocblas_diagonal_T1_iil.uses_flat_scratch, 0
	.set _ZN9rocsolver6v33100L18trti2_kernel_smallILi7EfPKPfEEv13rocblas_fill_17rocblas_diagonal_T1_iil.has_dyn_sized_stack, 0
	.set _ZN9rocsolver6v33100L18trti2_kernel_smallILi7EfPKPfEEv13rocblas_fill_17rocblas_diagonal_T1_iil.has_recursion, 0
	.set _ZN9rocsolver6v33100L18trti2_kernel_smallILi7EfPKPfEEv13rocblas_fill_17rocblas_diagonal_T1_iil.has_indirect_call, 0
	.section	.AMDGPU.csdata,"",@progbits
; Kernel info:
; codeLenInByte = 6724
; TotalNumSgprs: 24
; NumVgprs: 43
; ScratchSize: 0
; MemoryBound: 0
; FloatMode: 240
; IeeeMode: 1
; LDSByteSize: 60 bytes/workgroup (compile time only)
; SGPRBlocks: 2
; VGPRBlocks: 10
; NumSGPRsForWavesPerEU: 24
; NumVGPRsForWavesPerEU: 43
; Occupancy: 5
; WaveLimiterHint : 1
; COMPUTE_PGM_RSRC2:SCRATCH_EN: 0
; COMPUTE_PGM_RSRC2:USER_SGPR: 6
; COMPUTE_PGM_RSRC2:TRAP_HANDLER: 0
; COMPUTE_PGM_RSRC2:TGID_X_EN: 1
; COMPUTE_PGM_RSRC2:TGID_Y_EN: 0
; COMPUTE_PGM_RSRC2:TGID_Z_EN: 0
; COMPUTE_PGM_RSRC2:TIDIG_COMP_CNT: 0
	.section	.text._ZN9rocsolver6v33100L18trti2_kernel_smallILi8EfPKPfEEv13rocblas_fill_17rocblas_diagonal_T1_iil,"axG",@progbits,_ZN9rocsolver6v33100L18trti2_kernel_smallILi8EfPKPfEEv13rocblas_fill_17rocblas_diagonal_T1_iil,comdat
	.globl	_ZN9rocsolver6v33100L18trti2_kernel_smallILi8EfPKPfEEv13rocblas_fill_17rocblas_diagonal_T1_iil ; -- Begin function _ZN9rocsolver6v33100L18trti2_kernel_smallILi8EfPKPfEEv13rocblas_fill_17rocblas_diagonal_T1_iil
	.p2align	8
	.type	_ZN9rocsolver6v33100L18trti2_kernel_smallILi8EfPKPfEEv13rocblas_fill_17rocblas_diagonal_T1_iil,@function
_ZN9rocsolver6v33100L18trti2_kernel_smallILi8EfPKPfEEv13rocblas_fill_17rocblas_diagonal_T1_iil: ; @_ZN9rocsolver6v33100L18trti2_kernel_smallILi8EfPKPfEEv13rocblas_fill_17rocblas_diagonal_T1_iil
; %bb.0:
	v_cmp_gt_u32_e32 vcc, 8, v0
	s_and_saveexec_b64 s[0:1], vcc
	s_cbranch_execz .LBB71_160
; %bb.1:
	s_load_dwordx2 s[0:1], s[4:5], 0x10
	s_load_dwordx4 s[16:19], s[4:5], 0x0
	s_ashr_i32 s7, s6, 31
	s_lshl_b64 s[2:3], s[6:7], 3
	v_lshlrev_b32_e32 v10, 2, v0
	s_waitcnt lgkmcnt(0)
	s_ashr_i32 s5, s0, 31
	s_add_u32 s2, s18, s2
	s_addc_u32 s3, s19, s3
	s_load_dwordx2 s[2:3], s[2:3], 0x0
	s_mov_b32 s4, s0
	s_lshl_b64 s[4:5], s[4:5], 2
	v_mov_b32_e32 v11, -1.0
	s_waitcnt lgkmcnt(0)
	s_add_u32 s0, s2, s4
	s_addc_u32 s4, s3, s5
	v_mov_b32_e32 v1, s4
	v_add_co_u32_e32 v18, vcc, s0, v10
	s_add_i32 s5, s1, s1
	v_addc_co_u32_e32 v19, vcc, 0, v1, vcc
	v_add_u32_e32 v1, s5, v0
	v_ashrrev_i32_e32 v2, 31, v1
	v_lshlrev_b64 v[2:3], 2, v[1:2]
	v_add_u32_e32 v1, s1, v1
	v_mov_b32_e32 v4, s4
	v_add_co_u32_e32 v20, vcc, s0, v2
	v_ashrrev_i32_e32 v2, 31, v1
	v_addc_co_u32_e32 v21, vcc, v4, v3, vcc
	v_lshlrev_b64 v[2:3], 2, v[1:2]
	v_add_u32_e32 v1, s1, v1
	v_add_co_u32_e32 v22, vcc, s0, v2
	v_ashrrev_i32_e32 v2, 31, v1
	v_addc_co_u32_e32 v23, vcc, v4, v3, vcc
	v_lshlrev_b64 v[2:3], 2, v[1:2]
	v_add_u32_e32 v1, s1, v1
	;; [unrolled: 5-line block ×4, first 2 shown]
	v_add_co_u32_e32 v28, vcc, s0, v2
	v_ashrrev_i32_e32 v2, 31, v1
	v_lshlrev_b64 v[1:2], 2, v[1:2]
	v_addc_co_u32_e32 v29, vcc, v4, v3, vcc
	s_ashr_i32 s3, s1, 31
	s_mov_b32 s2, s1
	v_mov_b32_e32 v3, s4
	v_add_co_u32_e32 v30, vcc, s0, v1
	s_lshl_b64 s[2:3], s[2:3], 2
	v_addc_co_u32_e32 v31, vcc, v3, v2, vcc
	v_mov_b32_e32 v1, s3
	v_add_co_u32_e32 v32, vcc, s2, v18
	v_addc_co_u32_e32 v33, vcc, v19, v1, vcc
	flat_load_dword v2, v[18:19]
	flat_load_dword v3, v[32:33]
	;; [unrolled: 1-line block ×8, first 2 shown]
	s_cmpk_lg_i32 s17, 0x84
	v_mov_b32_e32 v1, 0
	s_cselect_b64 s[18:19], -1, 0
	s_cmpk_eq_i32 s17, 0x84
	v_cmp_eq_u32_e64 s[0:1], 0, v0
	s_cbranch_scc1 .LBB71_3
; %bb.2:
	v_cmp_eq_u32_e64 s[2:3], 1, v0
	s_waitcnt vmcnt(0) lgkmcnt(0)
	v_cndmask_b32_e64 v11, v2, v3, s[2:3]
	v_cmp_eq_u32_e64 s[4:5], 2, v0
	v_cndmask_b32_e64 v11, v11, v4, s[4:5]
	v_cmp_eq_u32_e64 s[6:7], 3, v0
	;; [unrolled: 2-line block ×6, first 2 shown]
	v_cndmask_b32_e64 v11, v11, v9, s[14:15]
	v_div_scale_f32 v12, s[20:21], v11, v11, 1.0
	v_div_scale_f32 v13, vcc, 1.0, v11, 1.0
	v_rcp_f32_e32 v14, v12
	v_fma_f32 v15, -v12, v14, 1.0
	v_fmac_f32_e32 v14, v15, v14
	v_mul_f32_e32 v15, v13, v14
	v_fma_f32 v16, -v12, v15, v13
	v_fmac_f32_e32 v15, v16, v14
	v_fma_f32 v12, -v12, v15, v13
	v_div_fmas_f32 v12, v12, v14, v15
	v_div_fixup_f32 v11, v12, v11, 1.0
	v_cndmask_b32_e64 v9, v9, v11, s[14:15]
	v_cndmask_b32_e64 v8, v8, v11, s[12:13]
	;; [unrolled: 1-line block ×8, first 2 shown]
	v_xor_b32_e32 v11, 0x80000000, v11
.LBB71_3:
	s_cmpk_eq_i32 s16, 0x79
	v_add_u32_e32 v34, 32, v10
	ds_write_b32 v10, v11
	s_cbranch_scc1 .LBB71_7
; %bb.4:
	s_waitcnt vmcnt(0) lgkmcnt(0)
	v_mov_b32_e32 v17, v9
	v_cmp_eq_u32_e64 s[0:1], 7, v0
	v_mov_b32_e32 v16, v8
	v_mov_b32_e32 v15, v7
	;; [unrolled: 1-line block ×7, first 2 shown]
	ds_write_b32 v34, v8
	s_waitcnt lgkmcnt(0)
	; wave barrier
	s_and_saveexec_b64 s[2:3], s[0:1]
	s_cbranch_execz .LBB71_11
; %bb.5:
	s_and_b64 vcc, exec, s[18:19]
	s_cbranch_vccz .LBB71_8
; %bb.6:
	v_cmp_eq_u32_e32 vcc, 1, v0
	v_cndmask_b32_e32 v10, v2, v3, vcc
	v_cmp_eq_u32_e32 vcc, 2, v0
	v_cndmask_b32_e32 v10, v10, v4, vcc
	;; [unrolled: 2-line block ×3, first 2 shown]
	v_cmp_eq_u32_e32 vcc, 4, v0
	ds_read_b32 v11, v34
	v_cndmask_b32_e32 v10, v10, v6, vcc
	v_cmp_eq_u32_e32 vcc, 5, v0
	v_cndmask_b32_e32 v10, v10, v7, vcc
	v_cmp_eq_u32_e32 vcc, 6, v0
	;; [unrolled: 2-line block ×3, first 2 shown]
	v_cndmask_b32_e32 v10, v10, v9, vcc
	s_waitcnt lgkmcnt(0)
	v_mul_f32_e32 v10, v10, v11
	s_cbranch_execz .LBB71_9
	s_branch .LBB71_10
.LBB71_7:
                                        ; implicit-def: $vgpr10_vgpr11_vgpr12_vgpr13_vgpr14_vgpr15_vgpr16_vgpr17
	s_cbranch_execnz .LBB71_98
	s_branch .LBB71_159
.LBB71_8:
                                        ; implicit-def: $vgpr10
.LBB71_9:
	ds_read_b32 v10, v34
.LBB71_10:
	v_mov_b32_e32 v11, 0
	ds_read_b32 v11, v11 offset:24
	s_waitcnt lgkmcnt(0)
	v_mul_f32_e32 v35, v10, v11
	v_mov_b32_e32 v17, v9
	v_mov_b32_e32 v16, v8
	;; [unrolled: 1-line block ×9, first 2 shown]
.LBB71_11:
	s_or_b64 exec, exec, s[2:3]
	v_cmp_lt_u32_e64 s[2:3], 5, v0
	ds_write_b32 v34, v15
	s_waitcnt lgkmcnt(0)
	; wave barrier
	s_and_saveexec_b64 s[4:5], s[2:3]
	s_cbranch_execz .LBB71_17
; %bb.12:
	s_andn2_b64 vcc, exec, s[18:19]
	s_cbranch_vccnz .LBB71_14
; %bb.13:
	v_cmp_eq_u32_e32 vcc, 1, v0
	v_cndmask_b32_e32 v35, v10, v11, vcc
	v_cmp_eq_u32_e32 vcc, 2, v0
	v_cndmask_b32_e32 v35, v35, v12, vcc
	;; [unrolled: 2-line block ×5, first 2 shown]
	ds_read_b32 v35, v34
	v_cmp_eq_u32_e32 vcc, 6, v0
	v_cndmask_b32_e32 v15, v15, v16, vcc
	v_cmp_eq_u32_e32 vcc, 7, v0
	v_cndmask_b32_e32 v15, v15, v17, vcc
	s_waitcnt lgkmcnt(0)
	v_mul_f32_e32 v15, v15, v35
	s_cbranch_execz .LBB71_15
	s_branch .LBB71_16
.LBB71_14:
                                        ; implicit-def: $vgpr15
.LBB71_15:
	ds_read_b32 v15, v34
.LBB71_16:
	v_mov_b32_e32 v35, 0
	ds_read2_b32 v[35:36], v35 offset0:5 offset1:14
	s_waitcnt lgkmcnt(0)
	v_fma_f32 v36, v16, v36, v15
	v_cndmask_b32_e64 v15, v15, v36, s[0:1]
	v_mul_f32_e32 v15, v15, v35
.LBB71_17:
	s_or_b64 exec, exec, s[4:5]
	v_cmp_lt_u32_e64 s[0:1], 4, v0
	ds_write_b32 v34, v14
	s_waitcnt lgkmcnt(0)
	; wave barrier
	s_and_saveexec_b64 s[4:5], s[0:1]
	s_cbranch_execz .LBB71_33
; %bb.18:
	s_andn2_b64 vcc, exec, s[18:19]
	s_cbranch_vccnz .LBB71_20
; %bb.19:
	v_cmp_eq_u32_e32 vcc, 1, v0
	v_cndmask_b32_e32 v35, v10, v11, vcc
	v_cmp_eq_u32_e32 vcc, 2, v0
	v_cndmask_b32_e32 v35, v35, v12, vcc
	v_cmp_eq_u32_e32 vcc, 3, v0
	v_cndmask_b32_e32 v35, v35, v13, vcc
	v_cmp_eq_u32_e32 vcc, 4, v0
	ds_read_b32 v36, v34
	v_cndmask_b32_e32 v35, v35, v14, vcc
	v_cmp_eq_u32_e32 vcc, 5, v0
	v_cndmask_b32_e32 v35, v35, v15, vcc
	v_cmp_eq_u32_e32 vcc, 6, v0
	;; [unrolled: 2-line block ×3, first 2 shown]
	v_cndmask_b32_e32 v35, v35, v17, vcc
	s_waitcnt lgkmcnt(0)
	v_mul_f32_e32 v35, v35, v36
	s_cbranch_execz .LBB71_21
	s_branch .LBB71_22
.LBB71_20:
                                        ; implicit-def: $vgpr35
.LBB71_21:
	ds_read_b32 v35, v34
.LBB71_22:
	s_and_saveexec_b64 s[6:7], s[2:3]
	s_cbranch_execz .LBB71_32
; %bb.23:
	v_add_u32_e32 v37, -6, v0
	v_add_u32_e32 v36, -5, v0
	v_cmp_lt_u32_e32 vcc, 6, v37
	v_mov_b32_e32 v38, 5
	s_and_saveexec_b64 s[2:3], vcc
	s_cbranch_execz .LBB71_27
; %bb.24:
	v_and_b32_e32 v37, -8, v36
	v_sub_u32_e32 v37, 0, v37
	s_mov_b64 s[8:9], 12
	s_mov_b32 s12, 52
	s_mov_b64 s[10:11], 0
.LBB71_25:                              ; =>This Inner Loop Header: Depth=1
	s_add_i32 s13, s8, -7
	s_cmp_eq_u32 s13, 1
	s_cselect_b64 vcc, -1, 0
	s_cmp_eq_u32 s13, 2
	v_cndmask_b32_e32 v46, v10, v11, vcc
	s_cselect_b64 vcc, -1, 0
	s_cmp_eq_u32 s13, 3
	v_cndmask_b32_e32 v46, v46, v12, vcc
	s_cselect_b64 vcc, -1, 0
	s_cmp_eq_u32 s13, 4
	v_cndmask_b32_e32 v46, v46, v13, vcc
	s_cselect_b64 vcc, -1, 0
	s_cmp_eq_u32 s13, 5
	v_cndmask_b32_e32 v46, v46, v14, vcc
	s_cselect_b64 vcc, -1, 0
	s_cmp_eq_u32 s13, 6
	v_cndmask_b32_e32 v46, v46, v15, vcc
	s_cselect_b64 vcc, -1, 0
	s_cmp_eq_u32 s13, 7
	v_mov_b32_e32 v44, s12
	v_cndmask_b32_e32 v46, v46, v16, vcc
	s_cselect_b64 vcc, -1, 0
	s_add_i32 s13, s8, -6
	ds_read2_b32 v[38:39], v44 offset1:1
	ds_read2_b32 v[40:41], v44 offset0:2 offset1:3
	ds_read2_b32 v[42:43], v44 offset0:4 offset1:5
	;; [unrolled: 1-line block ×3, first 2 shown]
	s_cmp_eq_u32 s13, 1
	v_cndmask_b32_e32 v46, v46, v17, vcc
	s_cselect_b64 vcc, -1, 0
	s_cmp_eq_u32 s13, 2
	s_waitcnt lgkmcnt(3)
	v_fmac_f32_e32 v35, v46, v38
	v_cndmask_b32_e32 v38, v10, v11, vcc
	s_cselect_b64 vcc, -1, 0
	s_cmp_eq_u32 s13, 3
	v_cndmask_b32_e32 v38, v38, v12, vcc
	s_cselect_b64 vcc, -1, 0
	s_cmp_eq_u32 s13, 4
	;; [unrolled: 3-line block ×5, first 2 shown]
	v_cndmask_b32_e32 v38, v38, v16, vcc
	s_cselect_b64 vcc, -1, 0
	s_add_i32 s13, s8, -5
	s_cmp_eq_u32 s13, 1
	v_cndmask_b32_e32 v38, v38, v17, vcc
	s_cselect_b64 vcc, -1, 0
	s_cmp_eq_u32 s13, 2
	v_fmac_f32_e32 v35, v38, v39
	v_cndmask_b32_e32 v38, v10, v11, vcc
	s_cselect_b64 vcc, -1, 0
	s_cmp_eq_u32 s13, 3
	v_cndmask_b32_e32 v38, v38, v12, vcc
	s_cselect_b64 vcc, -1, 0
	s_cmp_eq_u32 s13, 4
	;; [unrolled: 3-line block ×5, first 2 shown]
	v_cndmask_b32_e32 v38, v38, v16, vcc
	s_cselect_b64 vcc, -1, 0
	s_add_i32 s13, s8, -4
	s_cmp_eq_u32 s13, 1
	v_cndmask_b32_e32 v38, v38, v17, vcc
	s_cselect_b64 vcc, -1, 0
	s_cmp_eq_u32 s13, 2
	s_waitcnt lgkmcnt(2)
	v_fmac_f32_e32 v35, v38, v40
	v_cndmask_b32_e32 v38, v10, v11, vcc
	s_cselect_b64 vcc, -1, 0
	s_cmp_eq_u32 s13, 3
	v_cndmask_b32_e32 v38, v38, v12, vcc
	s_cselect_b64 vcc, -1, 0
	s_cmp_eq_u32 s13, 4
	;; [unrolled: 3-line block ×5, first 2 shown]
	v_cndmask_b32_e32 v38, v38, v16, vcc
	s_cselect_b64 vcc, -1, 0
	s_add_i32 s13, s8, -3
	s_cmp_eq_u32 s13, 1
	v_cndmask_b32_e32 v38, v38, v17, vcc
	s_cselect_b64 vcc, -1, 0
	s_cmp_eq_u32 s13, 2
	v_fmac_f32_e32 v35, v38, v41
	v_cndmask_b32_e32 v38, v10, v11, vcc
	s_cselect_b64 vcc, -1, 0
	s_cmp_eq_u32 s13, 3
	v_cndmask_b32_e32 v38, v38, v12, vcc
	s_cselect_b64 vcc, -1, 0
	s_cmp_eq_u32 s13, 4
	;; [unrolled: 3-line block ×5, first 2 shown]
	v_cndmask_b32_e32 v38, v38, v16, vcc
	s_cselect_b64 vcc, -1, 0
	s_add_i32 s13, s8, -2
	s_cmp_eq_u32 s13, 1
	v_cndmask_b32_e32 v38, v38, v17, vcc
	s_cselect_b64 vcc, -1, 0
	s_cmp_eq_u32 s13, 2
	s_waitcnt lgkmcnt(1)
	v_fmac_f32_e32 v35, v38, v42
	v_cndmask_b32_e32 v38, v10, v11, vcc
	s_cselect_b64 vcc, -1, 0
	s_cmp_eq_u32 s13, 3
	v_cndmask_b32_e32 v38, v38, v12, vcc
	s_cselect_b64 vcc, -1, 0
	s_cmp_eq_u32 s13, 4
	;; [unrolled: 3-line block ×5, first 2 shown]
	v_cndmask_b32_e32 v38, v38, v16, vcc
	s_cselect_b64 vcc, -1, 0
	s_add_i32 s13, s8, -1
	s_cmp_eq_u32 s13, 1
	v_cndmask_b32_e32 v38, v38, v17, vcc
	s_cselect_b64 vcc, -1, 0
	s_cmp_eq_u32 s13, 2
	v_fmac_f32_e32 v35, v38, v43
	v_cndmask_b32_e32 v38, v10, v11, vcc
	s_cselect_b64 vcc, -1, 0
	s_cmp_eq_u32 s13, 3
	v_cndmask_b32_e32 v38, v38, v12, vcc
	s_cselect_b64 vcc, -1, 0
	s_cmp_eq_u32 s13, 4
	;; [unrolled: 3-line block ×7, first 2 shown]
	s_waitcnt lgkmcnt(0)
	v_fmac_f32_e32 v35, v38, v44
	v_cndmask_b32_e32 v38, v10, v11, vcc
	s_cselect_b64 vcc, -1, 0
	s_cmp_eq_u32 s8, 3
	v_cndmask_b32_e32 v38, v38, v12, vcc
	s_cselect_b64 vcc, -1, 0
	s_cmp_eq_u32 s8, 4
	;; [unrolled: 3-line block ×5, first 2 shown]
	v_cndmask_b32_e32 v38, v38, v16, vcc
	s_cselect_b64 vcc, -1, 0
	s_add_u32 s8, s8, 8
	v_add_u32_e32 v39, s8, v37
	v_cndmask_b32_e32 v38, v38, v17, vcc
	s_addc_u32 s9, s9, 0
	s_add_i32 s12, s12, 32
	s_add_i32 s13, s8, -7
	v_cmp_eq_u32_e32 vcc, 12, v39
	v_fmac_f32_e32 v35, v38, v45
	s_or_b64 s[10:11], vcc, s[10:11]
	v_mov_b32_e32 v38, s13
	s_andn2_b64 exec, exec, s[10:11]
	s_cbranch_execnz .LBB71_25
; %bb.26:
	s_or_b64 exec, exec, s[10:11]
.LBB71_27:
	s_or_b64 exec, exec, s[2:3]
	v_and_b32_e32 v36, 7, v36
	v_cmp_ne_u32_e32 vcc, 0, v36
	s_and_saveexec_b64 s[8:9], vcc
	s_cbranch_execz .LBB71_31
; %bb.28:
	v_lshl_add_u32 v37, v38, 2, 32
	v_mov_b32_e32 v39, 0
	s_mov_b64 s[10:11], 0
.LBB71_29:                              ; =>This Inner Loop Header: Depth=1
	v_cmp_eq_u32_e32 vcc, 1, v38
	v_cndmask_b32_e32 v40, v10, v11, vcc
	v_add_u32_e32 v36, -1, v36
	v_cmp_eq_u32_e32 vcc, 2, v38
	v_cndmask_b32_e32 v40, v40, v12, vcc
	v_cmp_eq_u32_e32 vcc, 0, v36
	v_cmp_eq_u32_e64 s[2:3], 3, v38
	ds_read_b32 v41, v37
	v_cndmask_b32_e64 v40, v40, v13, s[2:3]
	s_or_b64 s[10:11], vcc, s[10:11]
	v_cmp_eq_u32_e32 vcc, 4, v38
	v_cndmask_b32_e32 v40, v40, v14, vcc
	v_cmp_eq_u32_e32 vcc, 5, v38
	v_cndmask_b32_e32 v40, v40, v15, vcc
	;; [unrolled: 2-line block ×3, first 2 shown]
	v_cmp_eq_u32_e32 vcc, 7, v38
	v_add_co_u32_e64 v38, s[2:3], 1, v38
	v_cndmask_b32_e32 v40, v40, v17, vcc
	v_add_u32_e32 v37, 4, v37
	v_addc_co_u32_e64 v39, s[2:3], 0, v39, s[2:3]
	s_waitcnt lgkmcnt(0)
	v_fmac_f32_e32 v35, v40, v41
	s_andn2_b64 exec, exec, s[10:11]
	s_cbranch_execnz .LBB71_29
; %bb.30:
	s_or_b64 exec, exec, s[10:11]
.LBB71_31:
	s_or_b64 exec, exec, s[8:9]
.LBB71_32:
	s_or_b64 exec, exec, s[6:7]
	v_mov_b32_e32 v14, 0
	ds_read_b32 v14, v14 offset:16
	s_waitcnt lgkmcnt(0)
	v_mul_f32_e32 v14, v35, v14
.LBB71_33:
	s_or_b64 exec, exec, s[4:5]
	v_cmp_lt_u32_e64 s[2:3], 3, v0
	ds_write_b32 v34, v13
	s_waitcnt lgkmcnt(0)
	; wave barrier
	s_and_saveexec_b64 s[4:5], s[2:3]
	s_cbranch_execz .LBB71_49
; %bb.34:
	s_andn2_b64 vcc, exec, s[18:19]
	s_cbranch_vccnz .LBB71_36
; %bb.35:
	v_cmp_eq_u32_e32 vcc, 1, v0
	v_cndmask_b32_e32 v35, v10, v11, vcc
	v_cmp_eq_u32_e32 vcc, 2, v0
	v_cndmask_b32_e32 v35, v35, v12, vcc
	v_cmp_eq_u32_e32 vcc, 3, v0
	v_cndmask_b32_e32 v35, v35, v13, vcc
	v_cmp_eq_u32_e32 vcc, 4, v0
	ds_read_b32 v36, v34
	v_cndmask_b32_e32 v35, v35, v14, vcc
	v_cmp_eq_u32_e32 vcc, 5, v0
	v_cndmask_b32_e32 v35, v35, v15, vcc
	v_cmp_eq_u32_e32 vcc, 6, v0
	;; [unrolled: 2-line block ×3, first 2 shown]
	v_cndmask_b32_e32 v35, v35, v17, vcc
	s_waitcnt lgkmcnt(0)
	v_mul_f32_e32 v35, v35, v36
	s_cbranch_execz .LBB71_37
	s_branch .LBB71_38
.LBB71_36:
                                        ; implicit-def: $vgpr35
.LBB71_37:
	ds_read_b32 v35, v34
.LBB71_38:
	s_and_saveexec_b64 s[6:7], s[0:1]
	s_cbranch_execz .LBB71_48
; %bb.39:
	v_add_u32_e32 v37, -5, v0
	v_add_u32_e32 v36, -4, v0
	v_cmp_lt_u32_e32 vcc, 6, v37
	v_mov_b32_e32 v38, 4
	s_and_saveexec_b64 s[0:1], vcc
	s_cbranch_execz .LBB71_43
; %bb.40:
	v_and_b32_e32 v37, -8, v36
	v_sub_u32_e32 v37, 0, v37
	s_mov_b64 s[8:9], 5
	s_mov_b32 s12, 48
	s_mov_b64 s[10:11], 0
.LBB71_41:                              ; =>This Inner Loop Header: Depth=1
	s_add_i32 s13, s8, -1
	s_cmp_eq_u32 s13, 1
	s_cselect_b64 vcc, -1, 0
	s_cmp_eq_u32 s13, 2
	v_cndmask_b32_e32 v46, v10, v11, vcc
	s_cselect_b64 vcc, -1, 0
	s_cmp_eq_u32 s13, 3
	v_cndmask_b32_e32 v46, v46, v12, vcc
	s_cselect_b64 vcc, -1, 0
	s_cmp_eq_u32 s13, 4
	v_mov_b32_e32 v42, s12
	v_cndmask_b32_e32 v46, v46, v13, vcc
	s_cselect_b64 vcc, -1, 0
	s_cmp_eq_u32 s13, 5
	ds_read_b128 v[38:41], v42
	ds_read_b128 v[42:45], v42 offset:16
	v_cndmask_b32_e32 v46, v46, v14, vcc
	s_cselect_b64 vcc, -1, 0
	s_cmp_eq_u32 s13, 6
	v_cndmask_b32_e32 v46, v46, v15, vcc
	s_cselect_b64 vcc, -1, 0
	s_cmp_eq_u32 s13, 7
	;; [unrolled: 3-line block ×4, first 2 shown]
	s_waitcnt lgkmcnt(1)
	v_fmac_f32_e32 v35, v46, v38
	v_cndmask_b32_e32 v38, v10, v11, vcc
	s_cselect_b64 vcc, -1, 0
	s_cmp_eq_u32 s8, 3
	v_cndmask_b32_e32 v38, v38, v12, vcc
	s_cselect_b64 vcc, -1, 0
	s_cmp_eq_u32 s8, 4
	v_cndmask_b32_e32 v38, v38, v13, vcc
	s_cselect_b64 vcc, -1, 0
	s_cmp_eq_u32 s8, 5
	v_cndmask_b32_e32 v38, v38, v14, vcc
	s_cselect_b64 vcc, -1, 0
	s_cmp_eq_u32 s8, 6
	v_cndmask_b32_e32 v38, v38, v15, vcc
	s_cselect_b64 vcc, -1, 0
	s_cmp_eq_u32 s8, 7
	v_cndmask_b32_e32 v38, v38, v16, vcc
	s_cselect_b64 vcc, -1, 0
	s_add_i32 s13, s8, 1
	s_cmp_eq_u32 s13, 1
	v_cndmask_b32_e32 v38, v38, v17, vcc
	s_cselect_b64 vcc, -1, 0
	s_cmp_eq_u32 s13, 2
	v_fmac_f32_e32 v35, v38, v39
	v_cndmask_b32_e32 v38, v10, v11, vcc
	s_cselect_b64 vcc, -1, 0
	s_cmp_eq_u32 s13, 3
	v_cndmask_b32_e32 v38, v38, v12, vcc
	s_cselect_b64 vcc, -1, 0
	s_cmp_eq_u32 s13, 4
	v_cndmask_b32_e32 v38, v38, v13, vcc
	s_cselect_b64 vcc, -1, 0
	s_cmp_eq_u32 s13, 5
	v_cndmask_b32_e32 v38, v38, v14, vcc
	s_cselect_b64 vcc, -1, 0
	s_cmp_eq_u32 s13, 6
	v_cndmask_b32_e32 v38, v38, v15, vcc
	s_cselect_b64 vcc, -1, 0
	s_cmp_eq_u32 s13, 7
	v_cndmask_b32_e32 v38, v38, v16, vcc
	s_cselect_b64 vcc, -1, 0
	s_add_i32 s13, s8, 2
	s_cmp_eq_u32 s13, 1
	v_cndmask_b32_e32 v38, v38, v17, vcc
	s_cselect_b64 vcc, -1, 0
	s_cmp_eq_u32 s13, 2
	;; [unrolled: 23-line block ×4, first 2 shown]
	s_waitcnt lgkmcnt(0)
	v_fmac_f32_e32 v35, v38, v42
	v_cndmask_b32_e32 v38, v10, v11, vcc
	s_cselect_b64 vcc, -1, 0
	s_cmp_eq_u32 s13, 3
	v_cndmask_b32_e32 v38, v38, v12, vcc
	s_cselect_b64 vcc, -1, 0
	s_cmp_eq_u32 s13, 4
	;; [unrolled: 3-line block ×5, first 2 shown]
	v_cndmask_b32_e32 v38, v38, v16, vcc
	s_cselect_b64 vcc, -1, 0
	s_add_i32 s13, s8, 5
	s_cmp_eq_u32 s13, 1
	v_cndmask_b32_e32 v38, v38, v17, vcc
	s_cselect_b64 vcc, -1, 0
	s_cmp_eq_u32 s13, 2
	v_fmac_f32_e32 v35, v38, v43
	v_cndmask_b32_e32 v38, v10, v11, vcc
	s_cselect_b64 vcc, -1, 0
	s_cmp_eq_u32 s13, 3
	v_cndmask_b32_e32 v38, v38, v12, vcc
	s_cselect_b64 vcc, -1, 0
	s_cmp_eq_u32 s13, 4
	;; [unrolled: 3-line block ×5, first 2 shown]
	v_cndmask_b32_e32 v38, v38, v16, vcc
	s_cselect_b64 vcc, -1, 0
	s_add_i32 s13, s8, 6
	s_cmp_eq_u32 s13, 1
	v_cndmask_b32_e32 v38, v38, v17, vcc
	s_cselect_b64 vcc, -1, 0
	s_cmp_eq_u32 s13, 2
	v_fmac_f32_e32 v35, v38, v44
	v_cndmask_b32_e32 v38, v10, v11, vcc
	s_cselect_b64 vcc, -1, 0
	s_cmp_eq_u32 s13, 3
	v_cndmask_b32_e32 v38, v38, v12, vcc
	s_cselect_b64 vcc, -1, 0
	s_cmp_eq_u32 s13, 4
	;; [unrolled: 3-line block ×5, first 2 shown]
	v_cndmask_b32_e32 v38, v38, v16, vcc
	s_cselect_b64 vcc, -1, 0
	v_cndmask_b32_e32 v38, v38, v17, vcc
	s_add_u32 s8, s8, 8
	v_fmac_f32_e32 v35, v38, v45
	v_add_u32_e32 v38, s8, v37
	s_addc_u32 s9, s9, 0
	s_add_i32 s12, s12, 32
	s_add_i32 s13, s8, -1
	v_cmp_eq_u32_e32 vcc, 5, v38
	s_or_b64 s[10:11], vcc, s[10:11]
	v_mov_b32_e32 v38, s13
	s_andn2_b64 exec, exec, s[10:11]
	s_cbranch_execnz .LBB71_41
; %bb.42:
	s_or_b64 exec, exec, s[10:11]
.LBB71_43:
	s_or_b64 exec, exec, s[0:1]
	v_and_b32_e32 v36, 7, v36
	v_cmp_ne_u32_e32 vcc, 0, v36
	s_and_saveexec_b64 s[8:9], vcc
	s_cbranch_execz .LBB71_47
; %bb.44:
	v_lshl_add_u32 v37, v38, 2, 32
	v_mov_b32_e32 v39, 0
	s_mov_b64 s[10:11], 0
.LBB71_45:                              ; =>This Inner Loop Header: Depth=1
	v_cmp_eq_u32_e32 vcc, 1, v38
	v_cndmask_b32_e32 v40, v10, v11, vcc
	v_add_u32_e32 v36, -1, v36
	v_cmp_eq_u32_e32 vcc, 2, v38
	v_cndmask_b32_e32 v40, v40, v12, vcc
	v_cmp_eq_u32_e32 vcc, 0, v36
	v_cmp_eq_u32_e64 s[0:1], 3, v38
	ds_read_b32 v41, v37
	v_cndmask_b32_e64 v40, v40, v13, s[0:1]
	s_or_b64 s[10:11], vcc, s[10:11]
	v_cmp_eq_u32_e32 vcc, 4, v38
	v_cndmask_b32_e32 v40, v40, v14, vcc
	v_cmp_eq_u32_e32 vcc, 5, v38
	v_cndmask_b32_e32 v40, v40, v15, vcc
	;; [unrolled: 2-line block ×3, first 2 shown]
	v_cmp_eq_u32_e32 vcc, 7, v38
	v_add_co_u32_e64 v38, s[0:1], 1, v38
	v_cndmask_b32_e32 v40, v40, v17, vcc
	v_add_u32_e32 v37, 4, v37
	v_addc_co_u32_e64 v39, s[0:1], 0, v39, s[0:1]
	s_waitcnt lgkmcnt(0)
	v_fmac_f32_e32 v35, v40, v41
	s_andn2_b64 exec, exec, s[10:11]
	s_cbranch_execnz .LBB71_45
; %bb.46:
	s_or_b64 exec, exec, s[10:11]
.LBB71_47:
	s_or_b64 exec, exec, s[8:9]
.LBB71_48:
	s_or_b64 exec, exec, s[6:7]
	v_mov_b32_e32 v13, 0
	ds_read_b32 v13, v13 offset:12
	s_waitcnt lgkmcnt(0)
	v_mul_f32_e32 v13, v35, v13
.LBB71_49:
	s_or_b64 exec, exec, s[4:5]
	v_cmp_lt_u32_e64 s[0:1], 2, v0
	ds_write_b32 v34, v12
	s_waitcnt lgkmcnt(0)
	; wave barrier
	s_and_saveexec_b64 s[4:5], s[0:1]
	s_cbranch_execz .LBB71_65
; %bb.50:
	s_andn2_b64 vcc, exec, s[18:19]
	s_cbranch_vccnz .LBB71_52
; %bb.51:
	v_cmp_eq_u32_e32 vcc, 1, v0
	v_cndmask_b32_e32 v35, v10, v11, vcc
	v_cmp_eq_u32_e32 vcc, 2, v0
	v_cndmask_b32_e32 v35, v35, v12, vcc
	;; [unrolled: 2-line block ×3, first 2 shown]
	v_cmp_eq_u32_e32 vcc, 4, v0
	ds_read_b32 v36, v34
	v_cndmask_b32_e32 v35, v35, v14, vcc
	v_cmp_eq_u32_e32 vcc, 5, v0
	v_cndmask_b32_e32 v35, v35, v15, vcc
	v_cmp_eq_u32_e32 vcc, 6, v0
	;; [unrolled: 2-line block ×3, first 2 shown]
	v_cndmask_b32_e32 v35, v35, v17, vcc
	s_waitcnt lgkmcnt(0)
	v_mul_f32_e32 v35, v35, v36
	s_cbranch_execz .LBB71_53
	s_branch .LBB71_54
.LBB71_52:
                                        ; implicit-def: $vgpr35
.LBB71_53:
	ds_read_b32 v35, v34
.LBB71_54:
	s_and_saveexec_b64 s[6:7], s[2:3]
	s_cbranch_execz .LBB71_64
; %bb.55:
	v_add_u32_e32 v37, -4, v0
	v_add_u32_e32 v36, -3, v0
	v_cmp_lt_u32_e32 vcc, 6, v37
	v_mov_b32_e32 v38, 3
	s_and_saveexec_b64 s[2:3], vcc
	s_cbranch_execz .LBB71_59
; %bb.56:
	v_and_b32_e32 v37, -8, v36
	v_sub_u32_e32 v37, 0, v37
	s_mov_b64 s[8:9], 10
	s_mov_b32 s12, 44
	s_mov_b64 s[10:11], 0
.LBB71_57:                              ; =>This Inner Loop Header: Depth=1
	s_add_i32 s13, s8, -7
	s_cmp_eq_u32 s13, 1
	s_cselect_b64 vcc, -1, 0
	s_cmp_eq_u32 s13, 2
	v_cndmask_b32_e32 v46, v10, v11, vcc
	s_cselect_b64 vcc, -1, 0
	s_cmp_eq_u32 s13, 3
	v_cndmask_b32_e32 v46, v46, v12, vcc
	;; [unrolled: 3-line block ×5, first 2 shown]
	s_cselect_b64 vcc, -1, 0
	s_cmp_eq_u32 s13, 7
	v_mov_b32_e32 v44, s12
	v_cndmask_b32_e32 v46, v46, v16, vcc
	s_cselect_b64 vcc, -1, 0
	s_add_i32 s13, s8, -6
	ds_read2_b32 v[38:39], v44 offset1:1
	ds_read2_b32 v[40:41], v44 offset0:2 offset1:3
	ds_read2_b32 v[42:43], v44 offset0:4 offset1:5
	;; [unrolled: 1-line block ×3, first 2 shown]
	s_cmp_eq_u32 s13, 1
	v_cndmask_b32_e32 v46, v46, v17, vcc
	s_cselect_b64 vcc, -1, 0
	s_cmp_eq_u32 s13, 2
	s_waitcnt lgkmcnt(3)
	v_fmac_f32_e32 v35, v46, v38
	v_cndmask_b32_e32 v38, v10, v11, vcc
	s_cselect_b64 vcc, -1, 0
	s_cmp_eq_u32 s13, 3
	v_cndmask_b32_e32 v38, v38, v12, vcc
	s_cselect_b64 vcc, -1, 0
	s_cmp_eq_u32 s13, 4
	;; [unrolled: 3-line block ×5, first 2 shown]
	v_cndmask_b32_e32 v38, v38, v16, vcc
	s_cselect_b64 vcc, -1, 0
	s_add_i32 s13, s8, -5
	s_cmp_eq_u32 s13, 1
	v_cndmask_b32_e32 v38, v38, v17, vcc
	s_cselect_b64 vcc, -1, 0
	s_cmp_eq_u32 s13, 2
	v_fmac_f32_e32 v35, v38, v39
	v_cndmask_b32_e32 v38, v10, v11, vcc
	s_cselect_b64 vcc, -1, 0
	s_cmp_eq_u32 s13, 3
	v_cndmask_b32_e32 v38, v38, v12, vcc
	s_cselect_b64 vcc, -1, 0
	s_cmp_eq_u32 s13, 4
	;; [unrolled: 3-line block ×5, first 2 shown]
	v_cndmask_b32_e32 v38, v38, v16, vcc
	s_cselect_b64 vcc, -1, 0
	s_add_i32 s13, s8, -4
	s_cmp_eq_u32 s13, 1
	v_cndmask_b32_e32 v38, v38, v17, vcc
	s_cselect_b64 vcc, -1, 0
	s_cmp_eq_u32 s13, 2
	s_waitcnt lgkmcnt(2)
	v_fmac_f32_e32 v35, v38, v40
	v_cndmask_b32_e32 v38, v10, v11, vcc
	s_cselect_b64 vcc, -1, 0
	s_cmp_eq_u32 s13, 3
	v_cndmask_b32_e32 v38, v38, v12, vcc
	s_cselect_b64 vcc, -1, 0
	s_cmp_eq_u32 s13, 4
	;; [unrolled: 3-line block ×5, first 2 shown]
	v_cndmask_b32_e32 v38, v38, v16, vcc
	s_cselect_b64 vcc, -1, 0
	s_add_i32 s13, s8, -3
	s_cmp_eq_u32 s13, 1
	v_cndmask_b32_e32 v38, v38, v17, vcc
	s_cselect_b64 vcc, -1, 0
	s_cmp_eq_u32 s13, 2
	v_fmac_f32_e32 v35, v38, v41
	v_cndmask_b32_e32 v38, v10, v11, vcc
	s_cselect_b64 vcc, -1, 0
	s_cmp_eq_u32 s13, 3
	v_cndmask_b32_e32 v38, v38, v12, vcc
	s_cselect_b64 vcc, -1, 0
	s_cmp_eq_u32 s13, 4
	;; [unrolled: 3-line block ×5, first 2 shown]
	v_cndmask_b32_e32 v38, v38, v16, vcc
	s_cselect_b64 vcc, -1, 0
	s_add_i32 s13, s8, -2
	s_cmp_eq_u32 s13, 1
	v_cndmask_b32_e32 v38, v38, v17, vcc
	s_cselect_b64 vcc, -1, 0
	s_cmp_eq_u32 s13, 2
	s_waitcnt lgkmcnt(1)
	v_fmac_f32_e32 v35, v38, v42
	v_cndmask_b32_e32 v38, v10, v11, vcc
	s_cselect_b64 vcc, -1, 0
	s_cmp_eq_u32 s13, 3
	v_cndmask_b32_e32 v38, v38, v12, vcc
	s_cselect_b64 vcc, -1, 0
	s_cmp_eq_u32 s13, 4
	;; [unrolled: 3-line block ×5, first 2 shown]
	v_cndmask_b32_e32 v38, v38, v16, vcc
	s_cselect_b64 vcc, -1, 0
	s_add_i32 s13, s8, -1
	s_cmp_eq_u32 s13, 1
	v_cndmask_b32_e32 v38, v38, v17, vcc
	s_cselect_b64 vcc, -1, 0
	s_cmp_eq_u32 s13, 2
	v_fmac_f32_e32 v35, v38, v43
	v_cndmask_b32_e32 v38, v10, v11, vcc
	s_cselect_b64 vcc, -1, 0
	s_cmp_eq_u32 s13, 3
	v_cndmask_b32_e32 v38, v38, v12, vcc
	s_cselect_b64 vcc, -1, 0
	s_cmp_eq_u32 s13, 4
	;; [unrolled: 3-line block ×7, first 2 shown]
	s_waitcnt lgkmcnt(0)
	v_fmac_f32_e32 v35, v38, v44
	v_cndmask_b32_e32 v38, v10, v11, vcc
	s_cselect_b64 vcc, -1, 0
	s_cmp_eq_u32 s8, 3
	v_cndmask_b32_e32 v38, v38, v12, vcc
	s_cselect_b64 vcc, -1, 0
	s_cmp_eq_u32 s8, 4
	;; [unrolled: 3-line block ×5, first 2 shown]
	v_cndmask_b32_e32 v38, v38, v16, vcc
	s_cselect_b64 vcc, -1, 0
	v_cndmask_b32_e32 v38, v38, v17, vcc
	s_add_u32 s8, s8, 8
	v_fmac_f32_e32 v35, v38, v45
	v_add_u32_e32 v38, s8, v37
	s_addc_u32 s9, s9, 0
	s_add_i32 s12, s12, 32
	s_add_i32 s13, s8, -7
	v_cmp_eq_u32_e32 vcc, 10, v38
	s_or_b64 s[10:11], vcc, s[10:11]
	v_mov_b32_e32 v38, s13
	s_andn2_b64 exec, exec, s[10:11]
	s_cbranch_execnz .LBB71_57
; %bb.58:
	s_or_b64 exec, exec, s[10:11]
.LBB71_59:
	s_or_b64 exec, exec, s[2:3]
	v_and_b32_e32 v36, 7, v36
	v_cmp_ne_u32_e32 vcc, 0, v36
	s_and_saveexec_b64 s[8:9], vcc
	s_cbranch_execz .LBB71_63
; %bb.60:
	v_lshl_add_u32 v37, v38, 2, 32
	v_mov_b32_e32 v39, 0
	s_mov_b64 s[10:11], 0
.LBB71_61:                              ; =>This Inner Loop Header: Depth=1
	v_cmp_eq_u32_e32 vcc, 1, v38
	v_cndmask_b32_e32 v40, v10, v11, vcc
	v_add_u32_e32 v36, -1, v36
	v_cmp_eq_u32_e32 vcc, 2, v38
	v_cndmask_b32_e32 v40, v40, v12, vcc
	v_cmp_eq_u32_e32 vcc, 0, v36
	v_cmp_eq_u32_e64 s[2:3], 3, v38
	ds_read_b32 v41, v37
	v_cndmask_b32_e64 v40, v40, v13, s[2:3]
	s_or_b64 s[10:11], vcc, s[10:11]
	v_cmp_eq_u32_e32 vcc, 4, v38
	v_cndmask_b32_e32 v40, v40, v14, vcc
	v_cmp_eq_u32_e32 vcc, 5, v38
	v_cndmask_b32_e32 v40, v40, v15, vcc
	;; [unrolled: 2-line block ×3, first 2 shown]
	v_cmp_eq_u32_e32 vcc, 7, v38
	v_add_co_u32_e64 v38, s[2:3], 1, v38
	v_cndmask_b32_e32 v40, v40, v17, vcc
	v_add_u32_e32 v37, 4, v37
	v_addc_co_u32_e64 v39, s[2:3], 0, v39, s[2:3]
	s_waitcnt lgkmcnt(0)
	v_fmac_f32_e32 v35, v40, v41
	s_andn2_b64 exec, exec, s[10:11]
	s_cbranch_execnz .LBB71_61
; %bb.62:
	s_or_b64 exec, exec, s[10:11]
.LBB71_63:
	s_or_b64 exec, exec, s[8:9]
.LBB71_64:
	s_or_b64 exec, exec, s[6:7]
	v_mov_b32_e32 v12, 0
	ds_read_b32 v12, v12 offset:8
	s_waitcnt lgkmcnt(0)
	v_mul_f32_e32 v12, v35, v12
.LBB71_65:
	s_or_b64 exec, exec, s[4:5]
	v_cmp_lt_u32_e64 s[2:3], 1, v0
	ds_write_b32 v34, v11
	s_waitcnt lgkmcnt(0)
	; wave barrier
	s_and_saveexec_b64 s[4:5], s[2:3]
	s_cbranch_execz .LBB71_81
; %bb.66:
	s_andn2_b64 vcc, exec, s[18:19]
	s_cbranch_vccnz .LBB71_68
; %bb.67:
	v_cmp_eq_u32_e32 vcc, 1, v0
	v_cndmask_b32_e32 v35, v10, v11, vcc
	v_cmp_eq_u32_e32 vcc, 2, v0
	v_cndmask_b32_e32 v35, v35, v12, vcc
	;; [unrolled: 2-line block ×3, first 2 shown]
	v_cmp_eq_u32_e32 vcc, 4, v0
	ds_read_b32 v36, v34
	v_cndmask_b32_e32 v35, v35, v14, vcc
	v_cmp_eq_u32_e32 vcc, 5, v0
	v_cndmask_b32_e32 v35, v35, v15, vcc
	v_cmp_eq_u32_e32 vcc, 6, v0
	;; [unrolled: 2-line block ×3, first 2 shown]
	v_cndmask_b32_e32 v35, v35, v17, vcc
	s_waitcnt lgkmcnt(0)
	v_mul_f32_e32 v35, v35, v36
	s_cbranch_execz .LBB71_69
	s_branch .LBB71_70
.LBB71_68:
                                        ; implicit-def: $vgpr35
.LBB71_69:
	ds_read_b32 v35, v34
.LBB71_70:
	s_and_saveexec_b64 s[6:7], s[0:1]
	s_cbranch_execz .LBB71_80
; %bb.71:
	v_add_u32_e32 v37, -3, v0
	v_add_u32_e32 v36, -2, v0
	v_cmp_lt_u32_e32 vcc, 6, v37
	v_mov_b32_e32 v38, 2
	s_and_saveexec_b64 s[0:1], vcc
	s_cbranch_execz .LBB71_75
; %bb.72:
	v_and_b32_e32 v37, -8, v36
	v_sub_u32_e32 v37, 0, v37
	s_mov_b64 s[8:9], 9
	s_mov_b32 s12, 40
	s_mov_b64 s[10:11], 0
.LBB71_73:                              ; =>This Inner Loop Header: Depth=1
	s_add_i32 s13, s8, -7
	s_cmp_eq_u32 s13, 1
	s_cselect_b64 vcc, -1, 0
	s_cmp_eq_u32 s13, 2
	v_cndmask_b32_e32 v46, v10, v11, vcc
	s_cselect_b64 vcc, -1, 0
	s_cmp_eq_u32 s13, 3
	v_cndmask_b32_e32 v46, v46, v12, vcc
	;; [unrolled: 3-line block ×3, first 2 shown]
	s_cselect_b64 vcc, -1, 0
	s_cmp_eq_u32 s13, 5
	v_mov_b32_e32 v42, s12
	v_cndmask_b32_e32 v46, v46, v14, vcc
	s_cselect_b64 vcc, -1, 0
	s_cmp_eq_u32 s13, 6
	ds_read2_b64 v[38:41], v42 offset1:1
	ds_read2_b64 v[42:45], v42 offset0:2 offset1:3
	v_cndmask_b32_e32 v46, v46, v15, vcc
	s_cselect_b64 vcc, -1, 0
	s_cmp_eq_u32 s13, 7
	v_cndmask_b32_e32 v46, v46, v16, vcc
	s_cselect_b64 vcc, -1, 0
	s_add_i32 s13, s8, -6
	s_cmp_eq_u32 s13, 1
	v_cndmask_b32_e32 v46, v46, v17, vcc
	s_cselect_b64 vcc, -1, 0
	s_cmp_eq_u32 s13, 2
	s_waitcnt lgkmcnt(1)
	v_fmac_f32_e32 v35, v46, v38
	v_cndmask_b32_e32 v38, v10, v11, vcc
	s_cselect_b64 vcc, -1, 0
	s_cmp_eq_u32 s13, 3
	v_cndmask_b32_e32 v38, v38, v12, vcc
	s_cselect_b64 vcc, -1, 0
	s_cmp_eq_u32 s13, 4
	v_cndmask_b32_e32 v38, v38, v13, vcc
	s_cselect_b64 vcc, -1, 0
	s_cmp_eq_u32 s13, 5
	v_cndmask_b32_e32 v38, v38, v14, vcc
	s_cselect_b64 vcc, -1, 0
	s_cmp_eq_u32 s13, 6
	v_cndmask_b32_e32 v38, v38, v15, vcc
	s_cselect_b64 vcc, -1, 0
	s_cmp_eq_u32 s13, 7
	v_cndmask_b32_e32 v38, v38, v16, vcc
	s_cselect_b64 vcc, -1, 0
	s_add_i32 s13, s8, -5
	s_cmp_eq_u32 s13, 1
	v_cndmask_b32_e32 v38, v38, v17, vcc
	s_cselect_b64 vcc, -1, 0
	s_cmp_eq_u32 s13, 2
	v_fmac_f32_e32 v35, v38, v39
	v_cndmask_b32_e32 v38, v10, v11, vcc
	s_cselect_b64 vcc, -1, 0
	s_cmp_eq_u32 s13, 3
	v_cndmask_b32_e32 v38, v38, v12, vcc
	s_cselect_b64 vcc, -1, 0
	s_cmp_eq_u32 s13, 4
	v_cndmask_b32_e32 v38, v38, v13, vcc
	s_cselect_b64 vcc, -1, 0
	s_cmp_eq_u32 s13, 5
	v_cndmask_b32_e32 v38, v38, v14, vcc
	s_cselect_b64 vcc, -1, 0
	s_cmp_eq_u32 s13, 6
	v_cndmask_b32_e32 v38, v38, v15, vcc
	s_cselect_b64 vcc, -1, 0
	s_cmp_eq_u32 s13, 7
	v_cndmask_b32_e32 v38, v38, v16, vcc
	s_cselect_b64 vcc, -1, 0
	s_add_i32 s13, s8, -4
	s_cmp_eq_u32 s13, 1
	v_cndmask_b32_e32 v38, v38, v17, vcc
	s_cselect_b64 vcc, -1, 0
	s_cmp_eq_u32 s13, 2
	;; [unrolled: 23-line block ×4, first 2 shown]
	s_waitcnt lgkmcnt(0)
	v_fmac_f32_e32 v35, v38, v42
	v_cndmask_b32_e32 v38, v10, v11, vcc
	s_cselect_b64 vcc, -1, 0
	s_cmp_eq_u32 s13, 3
	v_cndmask_b32_e32 v38, v38, v12, vcc
	s_cselect_b64 vcc, -1, 0
	s_cmp_eq_u32 s13, 4
	;; [unrolled: 3-line block ×5, first 2 shown]
	v_cndmask_b32_e32 v38, v38, v16, vcc
	s_cselect_b64 vcc, -1, 0
	s_add_i32 s13, s8, -1
	s_cmp_eq_u32 s13, 1
	v_cndmask_b32_e32 v38, v38, v17, vcc
	s_cselect_b64 vcc, -1, 0
	s_cmp_eq_u32 s13, 2
	v_fmac_f32_e32 v35, v38, v43
	v_cndmask_b32_e32 v38, v10, v11, vcc
	s_cselect_b64 vcc, -1, 0
	s_cmp_eq_u32 s13, 3
	v_cndmask_b32_e32 v38, v38, v12, vcc
	s_cselect_b64 vcc, -1, 0
	s_cmp_eq_u32 s13, 4
	;; [unrolled: 3-line block ×7, first 2 shown]
	v_fmac_f32_e32 v35, v38, v44
	v_cndmask_b32_e32 v38, v10, v11, vcc
	s_cselect_b64 vcc, -1, 0
	s_cmp_eq_u32 s8, 3
	v_cndmask_b32_e32 v38, v38, v12, vcc
	s_cselect_b64 vcc, -1, 0
	s_cmp_eq_u32 s8, 4
	;; [unrolled: 3-line block ×5, first 2 shown]
	v_cndmask_b32_e32 v38, v38, v16, vcc
	s_cselect_b64 vcc, -1, 0
	v_cndmask_b32_e32 v38, v38, v17, vcc
	s_add_u32 s8, s8, 8
	v_fmac_f32_e32 v35, v38, v45
	v_add_u32_e32 v38, s8, v37
	s_addc_u32 s9, s9, 0
	s_add_i32 s12, s12, 32
	s_add_i32 s13, s8, -7
	v_cmp_eq_u32_e32 vcc, 9, v38
	s_or_b64 s[10:11], vcc, s[10:11]
	v_mov_b32_e32 v38, s13
	s_andn2_b64 exec, exec, s[10:11]
	s_cbranch_execnz .LBB71_73
; %bb.74:
	s_or_b64 exec, exec, s[10:11]
.LBB71_75:
	s_or_b64 exec, exec, s[0:1]
	v_and_b32_e32 v36, 7, v36
	v_cmp_ne_u32_e32 vcc, 0, v36
	s_and_saveexec_b64 s[8:9], vcc
	s_cbranch_execz .LBB71_79
; %bb.76:
	v_lshl_add_u32 v37, v38, 2, 32
	v_mov_b32_e32 v39, 0
	s_mov_b64 s[10:11], 0
.LBB71_77:                              ; =>This Inner Loop Header: Depth=1
	v_cmp_eq_u32_e32 vcc, 1, v38
	v_cndmask_b32_e32 v40, v10, v11, vcc
	v_add_u32_e32 v36, -1, v36
	v_cmp_eq_u32_e32 vcc, 2, v38
	v_cndmask_b32_e32 v40, v40, v12, vcc
	v_cmp_eq_u32_e32 vcc, 0, v36
	v_cmp_eq_u32_e64 s[0:1], 3, v38
	ds_read_b32 v41, v37
	v_cndmask_b32_e64 v40, v40, v13, s[0:1]
	s_or_b64 s[10:11], vcc, s[10:11]
	v_cmp_eq_u32_e32 vcc, 4, v38
	v_cndmask_b32_e32 v40, v40, v14, vcc
	v_cmp_eq_u32_e32 vcc, 5, v38
	v_cndmask_b32_e32 v40, v40, v15, vcc
	;; [unrolled: 2-line block ×3, first 2 shown]
	v_cmp_eq_u32_e32 vcc, 7, v38
	v_add_co_u32_e64 v38, s[0:1], 1, v38
	v_cndmask_b32_e32 v40, v40, v17, vcc
	v_add_u32_e32 v37, 4, v37
	v_addc_co_u32_e64 v39, s[0:1], 0, v39, s[0:1]
	s_waitcnt lgkmcnt(0)
	v_fmac_f32_e32 v35, v40, v41
	s_andn2_b64 exec, exec, s[10:11]
	s_cbranch_execnz .LBB71_77
; %bb.78:
	s_or_b64 exec, exec, s[10:11]
.LBB71_79:
	s_or_b64 exec, exec, s[8:9]
.LBB71_80:
	s_or_b64 exec, exec, s[6:7]
	v_mov_b32_e32 v11, 0
	ds_read_b32 v11, v11 offset:4
	s_waitcnt lgkmcnt(0)
	v_mul_f32_e32 v11, v35, v11
.LBB71_81:
	s_or_b64 exec, exec, s[4:5]
	v_cmp_ne_u32_e32 vcc, 0, v0
	ds_write_b32 v34, v10
	s_waitcnt lgkmcnt(0)
	; wave barrier
	s_and_saveexec_b64 s[4:5], vcc
	s_cbranch_execz .LBB71_97
; %bb.82:
	s_andn2_b64 vcc, exec, s[18:19]
	s_cbranch_vccnz .LBB71_84
; %bb.83:
	v_cmp_eq_u32_e32 vcc, 1, v0
	v_cndmask_b32_e32 v35, v10, v11, vcc
	v_cmp_eq_u32_e32 vcc, 2, v0
	v_cndmask_b32_e32 v35, v35, v12, vcc
	;; [unrolled: 2-line block ×3, first 2 shown]
	v_cmp_eq_u32_e32 vcc, 4, v0
	ds_read_b32 v36, v34
	v_cndmask_b32_e32 v35, v35, v14, vcc
	v_cmp_eq_u32_e32 vcc, 5, v0
	v_cndmask_b32_e32 v35, v35, v15, vcc
	v_cmp_eq_u32_e32 vcc, 6, v0
	;; [unrolled: 2-line block ×3, first 2 shown]
	v_cndmask_b32_e32 v35, v35, v17, vcc
	s_waitcnt lgkmcnt(0)
	v_mul_f32_e32 v35, v35, v36
	s_cbranch_execz .LBB71_85
	s_branch .LBB71_86
.LBB71_84:
                                        ; implicit-def: $vgpr35
.LBB71_85:
	ds_read_b32 v35, v34
.LBB71_86:
	s_and_saveexec_b64 s[6:7], s[2:3]
	s_cbranch_execz .LBB71_96
; %bb.87:
	v_add_u32_e32 v37, -2, v0
	v_add_u32_e32 v36, -1, v0
	v_cmp_lt_u32_e32 vcc, 6, v37
	v_mov_b32_e32 v38, 1
	s_and_saveexec_b64 s[0:1], vcc
	s_cbranch_execz .LBB71_91
; %bb.88:
	v_and_b32_e32 v37, -8, v36
	v_sub_u32_e32 v37, 0, v37
	s_mov_b64 s[2:3], 8
	s_mov_b32 s10, 36
	s_mov_b64 s[8:9], 0
.LBB71_89:                              ; =>This Inner Loop Header: Depth=1
	s_add_i32 s11, s2, -7
	s_cmp_eq_u32 s11, 1
	s_cselect_b64 vcc, -1, 0
	s_cmp_eq_u32 s11, 2
	v_cndmask_b32_e32 v46, v10, v11, vcc
	s_cselect_b64 vcc, -1, 0
	s_cmp_eq_u32 s11, 3
	v_cndmask_b32_e32 v46, v46, v12, vcc
	;; [unrolled: 3-line block ×5, first 2 shown]
	s_cselect_b64 vcc, -1, 0
	s_cmp_eq_u32 s11, 7
	v_mov_b32_e32 v44, s10
	v_cndmask_b32_e32 v46, v46, v16, vcc
	s_cselect_b64 vcc, -1, 0
	s_add_i32 s11, s2, -6
	ds_read2_b32 v[38:39], v44 offset1:1
	ds_read2_b32 v[40:41], v44 offset0:2 offset1:3
	ds_read2_b32 v[42:43], v44 offset0:4 offset1:5
	;; [unrolled: 1-line block ×3, first 2 shown]
	s_cmp_eq_u32 s11, 1
	v_cndmask_b32_e32 v46, v46, v17, vcc
	s_cselect_b64 vcc, -1, 0
	s_cmp_eq_u32 s11, 2
	s_waitcnt lgkmcnt(3)
	v_fmac_f32_e32 v35, v46, v38
	v_cndmask_b32_e32 v38, v10, v11, vcc
	s_cselect_b64 vcc, -1, 0
	s_cmp_eq_u32 s11, 3
	v_cndmask_b32_e32 v38, v38, v12, vcc
	s_cselect_b64 vcc, -1, 0
	s_cmp_eq_u32 s11, 4
	;; [unrolled: 3-line block ×5, first 2 shown]
	v_cndmask_b32_e32 v38, v38, v16, vcc
	s_cselect_b64 vcc, -1, 0
	s_add_i32 s11, s2, -5
	s_cmp_eq_u32 s11, 1
	v_cndmask_b32_e32 v38, v38, v17, vcc
	s_cselect_b64 vcc, -1, 0
	s_cmp_eq_u32 s11, 2
	v_fmac_f32_e32 v35, v38, v39
	v_cndmask_b32_e32 v38, v10, v11, vcc
	s_cselect_b64 vcc, -1, 0
	s_cmp_eq_u32 s11, 3
	v_cndmask_b32_e32 v38, v38, v12, vcc
	s_cselect_b64 vcc, -1, 0
	s_cmp_eq_u32 s11, 4
	;; [unrolled: 3-line block ×5, first 2 shown]
	v_cndmask_b32_e32 v38, v38, v16, vcc
	s_cselect_b64 vcc, -1, 0
	s_add_i32 s11, s2, -4
	s_cmp_eq_u32 s11, 1
	v_cndmask_b32_e32 v38, v38, v17, vcc
	s_cselect_b64 vcc, -1, 0
	s_cmp_eq_u32 s11, 2
	s_waitcnt lgkmcnt(2)
	v_fmac_f32_e32 v35, v38, v40
	v_cndmask_b32_e32 v38, v10, v11, vcc
	s_cselect_b64 vcc, -1, 0
	s_cmp_eq_u32 s11, 3
	v_cndmask_b32_e32 v38, v38, v12, vcc
	s_cselect_b64 vcc, -1, 0
	s_cmp_eq_u32 s11, 4
	;; [unrolled: 3-line block ×5, first 2 shown]
	v_cndmask_b32_e32 v38, v38, v16, vcc
	s_cselect_b64 vcc, -1, 0
	s_add_i32 s11, s2, -3
	s_cmp_eq_u32 s11, 1
	v_cndmask_b32_e32 v38, v38, v17, vcc
	s_cselect_b64 vcc, -1, 0
	s_cmp_eq_u32 s11, 2
	v_fmac_f32_e32 v35, v38, v41
	v_cndmask_b32_e32 v38, v10, v11, vcc
	s_cselect_b64 vcc, -1, 0
	s_cmp_eq_u32 s11, 3
	v_cndmask_b32_e32 v38, v38, v12, vcc
	s_cselect_b64 vcc, -1, 0
	s_cmp_eq_u32 s11, 4
	;; [unrolled: 3-line block ×5, first 2 shown]
	v_cndmask_b32_e32 v38, v38, v16, vcc
	s_cselect_b64 vcc, -1, 0
	s_add_i32 s11, s2, -2
	s_cmp_eq_u32 s11, 1
	v_cndmask_b32_e32 v38, v38, v17, vcc
	s_cselect_b64 vcc, -1, 0
	s_cmp_eq_u32 s11, 2
	s_waitcnt lgkmcnt(1)
	v_fmac_f32_e32 v35, v38, v42
	v_cndmask_b32_e32 v38, v10, v11, vcc
	s_cselect_b64 vcc, -1, 0
	s_cmp_eq_u32 s11, 3
	v_cndmask_b32_e32 v38, v38, v12, vcc
	s_cselect_b64 vcc, -1, 0
	s_cmp_eq_u32 s11, 4
	v_cndmask_b32_e32 v38, v38, v13, vcc
	s_cselect_b64 vcc, -1, 0
	s_cmp_eq_u32 s11, 5
	v_cndmask_b32_e32 v38, v38, v14, vcc
	s_cselect_b64 vcc, -1, 0
	s_cmp_eq_u32 s11, 6
	v_cndmask_b32_e32 v38, v38, v15, vcc
	s_cselect_b64 vcc, -1, 0
	s_cmp_eq_u32 s11, 7
	v_cndmask_b32_e32 v38, v38, v16, vcc
	s_cselect_b64 vcc, -1, 0
	s_add_i32 s11, s2, -1
	s_cmp_eq_u32 s11, 1
	v_cndmask_b32_e32 v38, v38, v17, vcc
	s_cselect_b64 vcc, -1, 0
	s_cmp_eq_u32 s11, 2
	v_fmac_f32_e32 v35, v38, v43
	v_cndmask_b32_e32 v38, v10, v11, vcc
	s_cselect_b64 vcc, -1, 0
	s_cmp_eq_u32 s11, 3
	v_cndmask_b32_e32 v38, v38, v12, vcc
	s_cselect_b64 vcc, -1, 0
	s_cmp_eq_u32 s11, 4
	;; [unrolled: 3-line block ×7, first 2 shown]
	s_waitcnt lgkmcnt(0)
	v_fmac_f32_e32 v35, v38, v44
	v_cndmask_b32_e32 v38, v10, v11, vcc
	s_cselect_b64 vcc, -1, 0
	s_cmp_eq_u32 s2, 3
	v_cndmask_b32_e32 v38, v38, v12, vcc
	s_cselect_b64 vcc, -1, 0
	s_cmp_eq_u32 s2, 4
	;; [unrolled: 3-line block ×5, first 2 shown]
	v_cndmask_b32_e32 v38, v38, v16, vcc
	s_cselect_b64 vcc, -1, 0
	v_cndmask_b32_e32 v38, v38, v17, vcc
	s_add_u32 s2, s2, 8
	v_fmac_f32_e32 v35, v38, v45
	v_add_u32_e32 v38, s2, v37
	s_addc_u32 s3, s3, 0
	s_add_i32 s10, s10, 32
	s_add_i32 s11, s2, -7
	v_cmp_eq_u32_e32 vcc, 8, v38
	s_or_b64 s[8:9], vcc, s[8:9]
	v_mov_b32_e32 v38, s11
	s_andn2_b64 exec, exec, s[8:9]
	s_cbranch_execnz .LBB71_89
; %bb.90:
	s_or_b64 exec, exec, s[8:9]
.LBB71_91:
	s_or_b64 exec, exec, s[0:1]
	v_and_b32_e32 v36, 7, v36
	v_cmp_ne_u32_e32 vcc, 0, v36
	s_and_saveexec_b64 s[2:3], vcc
	s_cbranch_execz .LBB71_95
; %bb.92:
	v_lshl_add_u32 v37, v38, 2, 32
	v_mov_b32_e32 v39, 0
	s_mov_b64 s[8:9], 0
.LBB71_93:                              ; =>This Inner Loop Header: Depth=1
	v_cmp_eq_u32_e32 vcc, 1, v38
	v_cndmask_b32_e32 v40, v10, v11, vcc
	v_add_u32_e32 v36, -1, v36
	v_cmp_eq_u32_e32 vcc, 2, v38
	v_cndmask_b32_e32 v40, v40, v12, vcc
	v_cmp_eq_u32_e32 vcc, 0, v36
	v_cmp_eq_u32_e64 s[0:1], 3, v38
	ds_read_b32 v41, v37
	v_cndmask_b32_e64 v40, v40, v13, s[0:1]
	s_or_b64 s[8:9], vcc, s[8:9]
	v_cmp_eq_u32_e32 vcc, 4, v38
	v_cndmask_b32_e32 v40, v40, v14, vcc
	v_cmp_eq_u32_e32 vcc, 5, v38
	v_cndmask_b32_e32 v40, v40, v15, vcc
	;; [unrolled: 2-line block ×3, first 2 shown]
	v_cmp_eq_u32_e32 vcc, 7, v38
	v_add_co_u32_e64 v38, s[0:1], 1, v38
	v_cndmask_b32_e32 v40, v40, v17, vcc
	v_add_u32_e32 v37, 4, v37
	v_addc_co_u32_e64 v39, s[0:1], 0, v39, s[0:1]
	s_waitcnt lgkmcnt(0)
	v_fmac_f32_e32 v35, v40, v41
	s_andn2_b64 exec, exec, s[8:9]
	s_cbranch_execnz .LBB71_93
; %bb.94:
	s_or_b64 exec, exec, s[8:9]
.LBB71_95:
	s_or_b64 exec, exec, s[2:3]
.LBB71_96:
	s_or_b64 exec, exec, s[6:7]
	v_mov_b32_e32 v10, 0
	ds_read_b32 v10, v10
	s_waitcnt lgkmcnt(0)
	v_mul_f32_e32 v10, v35, v10
.LBB71_97:
	s_or_b64 exec, exec, s[4:5]
	s_branch .LBB71_159
.LBB71_98:
	v_cmp_eq_u32_e64 s[2:3], 0, v0
	s_waitcnt vmcnt(0) lgkmcnt(0)
	ds_write_b32 v34, v3
	s_waitcnt lgkmcnt(0)
	; wave barrier
	s_and_saveexec_b64 s[0:1], s[2:3]
	s_cbranch_execz .LBB71_104
; %bb.99:
	s_and_b64 vcc, exec, s[18:19]
	s_cbranch_vccz .LBB71_101
; %bb.100:
	v_cmp_eq_u32_e32 vcc, 1, v0
	v_cndmask_b32_e32 v3, v2, v3, vcc
	v_cmp_eq_u32_e32 vcc, 2, v0
	v_cndmask_b32_e32 v3, v3, v4, vcc
	;; [unrolled: 2-line block ×3, first 2 shown]
	v_cmp_eq_u32_e32 vcc, 4, v0
	ds_read_b32 v10, v34
	v_cndmask_b32_e32 v3, v3, v6, vcc
	v_cmp_eq_u32_e32 vcc, 5, v0
	v_cndmask_b32_e32 v3, v3, v7, vcc
	v_cmp_eq_u32_e32 vcc, 6, v0
	;; [unrolled: 2-line block ×3, first 2 shown]
	v_cndmask_b32_e32 v3, v3, v9, vcc
	s_waitcnt lgkmcnt(0)
	v_mul_f32_e32 v3, v3, v10
	s_cbranch_execz .LBB71_102
	s_branch .LBB71_103
.LBB71_101:
                                        ; implicit-def: $vgpr3
.LBB71_102:
	ds_read_b32 v3, v34
.LBB71_103:
	v_mov_b32_e32 v10, 0
	ds_read_b32 v10, v10 offset:4
	s_waitcnt lgkmcnt(0)
	v_mul_f32_e32 v3, v3, v10
.LBB71_104:
	s_or_b64 exec, exec, s[0:1]
	v_cndmask_b32_e64 v10, 0, 1, s[18:19]
	v_cmp_gt_u32_e32 vcc, 2, v0
	v_cmp_ne_u32_e64 s[0:1], 1, v10
	ds_write_b32 v34, v4
	s_waitcnt lgkmcnt(0)
	; wave barrier
	s_and_saveexec_b64 s[4:5], vcc
	s_cbranch_execz .LBB71_110
; %bb.105:
	s_and_b64 vcc, exec, s[0:1]
	s_cbranch_vccnz .LBB71_107
; %bb.106:
	v_cmp_eq_u32_e32 vcc, 1, v0
	v_cndmask_b32_e32 v10, v2, v3, vcc
	v_cmp_eq_u32_e32 vcc, 2, v0
	v_cndmask_b32_e32 v4, v10, v4, vcc
	;; [unrolled: 2-line block ×3, first 2 shown]
	v_cmp_eq_u32_e32 vcc, 4, v0
	ds_read_b32 v10, v34
	v_cndmask_b32_e32 v4, v4, v6, vcc
	v_cmp_eq_u32_e32 vcc, 5, v0
	v_cndmask_b32_e32 v4, v4, v7, vcc
	v_cmp_eq_u32_e32 vcc, 6, v0
	;; [unrolled: 2-line block ×3, first 2 shown]
	v_cndmask_b32_e32 v4, v4, v9, vcc
	s_waitcnt lgkmcnt(0)
	v_mul_f32_e32 v4, v4, v10
	s_cbranch_execz .LBB71_108
	s_branch .LBB71_109
.LBB71_107:
                                        ; implicit-def: $vgpr4
.LBB71_108:
	ds_read_b32 v4, v34
.LBB71_109:
	v_mov_b32_e32 v10, 0
	ds_read2_b32 v[10:11], v10 offset0:2 offset1:9
	s_waitcnt lgkmcnt(0)
	v_fma_f32 v11, v3, v11, v4
	v_cndmask_b32_e64 v4, v4, v11, s[2:3]
	v_mul_f32_e32 v4, v4, v10
.LBB71_110:
	s_or_b64 exec, exec, s[4:5]
	v_cmp_gt_u32_e32 vcc, 3, v0
	ds_write_b32 v34, v5
	s_waitcnt lgkmcnt(0)
	; wave barrier
	s_and_saveexec_b64 s[4:5], vcc
	s_cbranch_execz .LBB71_118
; %bb.111:
	s_and_b64 vcc, exec, s[0:1]
	s_cbranch_vccnz .LBB71_113
; %bb.112:
	v_cmp_eq_u32_e32 vcc, 1, v0
	v_cndmask_b32_e32 v10, v2, v3, vcc
	v_cmp_eq_u32_e32 vcc, 2, v0
	v_cndmask_b32_e32 v10, v10, v4, vcc
	;; [unrolled: 2-line block ×3, first 2 shown]
	v_cmp_eq_u32_e32 vcc, 4, v0
	ds_read_b32 v11, v34
	v_cndmask_b32_e32 v10, v10, v6, vcc
	v_cmp_eq_u32_e32 vcc, 5, v0
	v_cndmask_b32_e32 v10, v10, v7, vcc
	v_cmp_eq_u32_e32 vcc, 6, v0
	;; [unrolled: 2-line block ×3, first 2 shown]
	v_cndmask_b32_e32 v10, v10, v9, vcc
	s_waitcnt lgkmcnt(0)
	v_mul_f32_e32 v10, v10, v11
	s_cbranch_execz .LBB71_114
	s_branch .LBB71_115
.LBB71_113:
                                        ; implicit-def: $vgpr10
.LBB71_114:
	ds_read_b32 v10, v34
.LBB71_115:
	v_cmp_ne_u32_e32 vcc, 2, v0
	s_and_saveexec_b64 s[6:7], vcc
	s_cbranch_execz .LBB71_117
; %bb.116:
	v_add_u32_e32 v11, 1, v0
	v_cmp_eq_u32_e32 vcc, 1, v11
	v_cndmask_b32_e32 v12, v2, v3, vcc
	v_cmp_eq_u32_e32 vcc, 2, v11
	v_cndmask_b32_e32 v12, v12, v4, vcc
	;; [unrolled: 2-line block ×3, first 2 shown]
	v_cmp_eq_u32_e32 vcc, 4, v11
	v_mov_b32_e32 v12, 0
	v_cndmask_b32_e32 v5, v5, v6, vcc
	v_cmp_eq_u32_e32 vcc, 5, v11
	ds_read_b32 v13, v34 offset:4
	ds_read_b32 v12, v12 offset:40
	v_cndmask_b32_e32 v5, v5, v7, vcc
	v_cmp_eq_u32_e32 vcc, 6, v11
	v_cndmask_b32_e32 v5, v5, v8, vcc
	v_cmp_eq_u32_e32 vcc, 7, v11
	v_cndmask_b32_e32 v5, v5, v9, vcc
	s_waitcnt lgkmcnt(1)
	v_fmac_f32_e32 v10, v5, v13
	s_waitcnt lgkmcnt(0)
	v_fma_f32 v5, v4, v12, v10
	v_cndmask_b32_e64 v10, v10, v5, s[2:3]
.LBB71_117:
	s_or_b64 exec, exec, s[6:7]
	v_mov_b32_e32 v5, 0
	ds_read_b32 v5, v5 offset:12
	s_waitcnt lgkmcnt(0)
	v_mul_f32_e32 v5, v10, v5
.LBB71_118:
	s_or_b64 exec, exec, s[4:5]
	v_cmp_gt_u32_e32 vcc, 4, v0
	ds_write_b32 v34, v6
	s_waitcnt lgkmcnt(0)
	; wave barrier
	s_and_saveexec_b64 s[4:5], vcc
	s_cbranch_execz .LBB71_128
; %bb.119:
	s_and_b64 vcc, exec, s[0:1]
	s_cbranch_vccnz .LBB71_121
; %bb.120:
	v_cmp_eq_u32_e32 vcc, 1, v0
	v_cndmask_b32_e32 v10, v2, v3, vcc
	v_cmp_eq_u32_e32 vcc, 2, v0
	v_cndmask_b32_e32 v10, v10, v4, vcc
	;; [unrolled: 2-line block ×3, first 2 shown]
	v_cmp_eq_u32_e32 vcc, 4, v0
	ds_read_b32 v11, v34
	v_cndmask_b32_e32 v10, v10, v6, vcc
	v_cmp_eq_u32_e32 vcc, 5, v0
	v_cndmask_b32_e32 v10, v10, v7, vcc
	v_cmp_eq_u32_e32 vcc, 6, v0
	;; [unrolled: 2-line block ×3, first 2 shown]
	v_cndmask_b32_e32 v10, v10, v9, vcc
	s_waitcnt lgkmcnt(0)
	v_mul_f32_e32 v12, v10, v11
	s_cbranch_execz .LBB71_122
	s_branch .LBB71_123
.LBB71_121:
                                        ; implicit-def: $vgpr12
.LBB71_122:
	ds_read_b32 v12, v34
.LBB71_123:
	v_cmp_ne_u32_e32 vcc, 3, v0
	s_and_saveexec_b64 s[6:7], vcc
	s_cbranch_execz .LBB71_127
; %bb.124:
	v_mov_b32_e32 v11, v1
	v_lshl_add_u32 v13, v0, 2, 36
	s_mov_b64 s[8:9], 0
	v_mov_b32_e32 v10, v0
.LBB71_125:                             ; =>This Inner Loop Header: Depth=1
	v_add_co_u32_e32 v10, vcc, 1, v10
	v_addc_co_u32_e32 v11, vcc, 0, v11, vcc
	v_cmp_eq_u32_e32 vcc, 1, v10
	v_cndmask_b32_e32 v15, v2, v3, vcc
	v_cmp_lt_u32_e32 vcc, 2, v10
	v_cmp_eq_u32_e64 s[2:3], 2, v10
	v_cndmask_b32_e64 v15, v15, v4, s[2:3]
	s_or_b64 s[8:9], vcc, s[8:9]
	v_cmp_eq_u32_e32 vcc, 3, v10
	ds_read_b32 v14, v13
	v_cndmask_b32_e32 v15, v15, v5, vcc
	v_cmp_eq_u32_e32 vcc, 4, v10
	v_cndmask_b32_e32 v15, v15, v6, vcc
	v_cmp_eq_u32_e32 vcc, 5, v10
	;; [unrolled: 2-line block ×4, first 2 shown]
	v_cndmask_b32_e32 v15, v15, v9, vcc
	v_add_u32_e32 v13, 4, v13
	s_waitcnt lgkmcnt(0)
	v_fmac_f32_e32 v12, v15, v14
	s_andn2_b64 exec, exec, s[8:9]
	s_cbranch_execnz .LBB71_125
; %bb.126:
	s_or_b64 exec, exec, s[8:9]
.LBB71_127:
	s_or_b64 exec, exec, s[6:7]
	v_mov_b32_e32 v6, 0
	ds_read_b32 v6, v6 offset:16
	s_waitcnt lgkmcnt(0)
	v_mul_f32_e32 v6, v12, v6
.LBB71_128:
	s_or_b64 exec, exec, s[4:5]
	v_cmp_gt_u32_e32 vcc, 5, v0
	ds_write_b32 v34, v7
	s_waitcnt lgkmcnt(0)
	; wave barrier
	s_and_saveexec_b64 s[4:5], vcc
	s_cbranch_execz .LBB71_138
; %bb.129:
	s_and_b64 vcc, exec, s[0:1]
	s_cbranch_vccnz .LBB71_131
; %bb.130:
	v_cmp_eq_u32_e32 vcc, 1, v0
	v_cndmask_b32_e32 v10, v2, v3, vcc
	v_cmp_eq_u32_e32 vcc, 2, v0
	v_cndmask_b32_e32 v10, v10, v4, vcc
	;; [unrolled: 2-line block ×3, first 2 shown]
	v_cmp_eq_u32_e32 vcc, 4, v0
	ds_read_b32 v11, v34
	v_cndmask_b32_e32 v10, v10, v6, vcc
	v_cmp_eq_u32_e32 vcc, 5, v0
	v_cndmask_b32_e32 v10, v10, v7, vcc
	v_cmp_eq_u32_e32 vcc, 6, v0
	;; [unrolled: 2-line block ×3, first 2 shown]
	v_cndmask_b32_e32 v10, v10, v9, vcc
	s_waitcnt lgkmcnt(0)
	v_mul_f32_e32 v12, v10, v11
	s_cbranch_execz .LBB71_132
	s_branch .LBB71_133
.LBB71_131:
                                        ; implicit-def: $vgpr12
.LBB71_132:
	ds_read_b32 v12, v34
.LBB71_133:
	v_cmp_ne_u32_e32 vcc, 4, v0
	s_and_saveexec_b64 s[6:7], vcc
	s_cbranch_execz .LBB71_137
; %bb.134:
	v_mov_b32_e32 v11, v1
	v_lshl_add_u32 v13, v0, 2, 36
	s_mov_b64 s[8:9], 0
	v_mov_b32_e32 v10, v0
.LBB71_135:                             ; =>This Inner Loop Header: Depth=1
	v_add_co_u32_e32 v10, vcc, 1, v10
	v_addc_co_u32_e32 v11, vcc, 0, v11, vcc
	v_cmp_eq_u32_e32 vcc, 1, v10
	v_cndmask_b32_e32 v15, v2, v3, vcc
	v_cmp_lt_u32_e32 vcc, 3, v10
	v_cmp_eq_u32_e64 s[2:3], 2, v10
	v_cndmask_b32_e64 v15, v15, v4, s[2:3]
	s_or_b64 s[8:9], vcc, s[8:9]
	v_cmp_eq_u32_e32 vcc, 3, v10
	ds_read_b32 v14, v13
	v_cndmask_b32_e32 v15, v15, v5, vcc
	v_cmp_eq_u32_e32 vcc, 4, v10
	v_cndmask_b32_e32 v15, v15, v6, vcc
	v_cmp_eq_u32_e32 vcc, 5, v10
	;; [unrolled: 2-line block ×4, first 2 shown]
	v_cndmask_b32_e32 v15, v15, v9, vcc
	v_add_u32_e32 v13, 4, v13
	s_waitcnt lgkmcnt(0)
	v_fmac_f32_e32 v12, v15, v14
	s_andn2_b64 exec, exec, s[8:9]
	s_cbranch_execnz .LBB71_135
; %bb.136:
	s_or_b64 exec, exec, s[8:9]
.LBB71_137:
	s_or_b64 exec, exec, s[6:7]
	v_mov_b32_e32 v7, 0
	ds_read_b32 v7, v7 offset:20
	s_waitcnt lgkmcnt(0)
	v_mul_f32_e32 v7, v12, v7
.LBB71_138:
	s_or_b64 exec, exec, s[4:5]
	v_cmp_gt_u32_e64 s[2:3], 6, v0
	ds_write_b32 v34, v8
	s_waitcnt lgkmcnt(0)
	; wave barrier
	s_and_saveexec_b64 s[6:7], s[2:3]
	s_cbranch_execz .LBB71_148
; %bb.139:
	s_and_b64 vcc, exec, s[0:1]
	s_cbranch_vccnz .LBB71_141
; %bb.140:
	v_cmp_eq_u32_e32 vcc, 1, v0
	v_cndmask_b32_e32 v10, v2, v3, vcc
	v_cmp_eq_u32_e32 vcc, 2, v0
	v_cndmask_b32_e32 v10, v10, v4, vcc
	;; [unrolled: 2-line block ×3, first 2 shown]
	v_cmp_eq_u32_e32 vcc, 4, v0
	ds_read_b32 v11, v34
	v_cndmask_b32_e32 v10, v10, v6, vcc
	v_cmp_eq_u32_e32 vcc, 5, v0
	v_cndmask_b32_e32 v10, v10, v7, vcc
	v_cmp_eq_u32_e32 vcc, 6, v0
	;; [unrolled: 2-line block ×3, first 2 shown]
	v_cndmask_b32_e32 v10, v10, v9, vcc
	s_waitcnt lgkmcnt(0)
	v_mul_f32_e32 v12, v10, v11
	s_cbranch_execz .LBB71_142
	s_branch .LBB71_143
.LBB71_141:
                                        ; implicit-def: $vgpr12
.LBB71_142:
	ds_read_b32 v12, v34
.LBB71_143:
	v_cmp_ne_u32_e32 vcc, 5, v0
	s_and_saveexec_b64 s[8:9], vcc
	s_cbranch_execz .LBB71_147
; %bb.144:
	v_mov_b32_e32 v11, v1
	v_lshl_add_u32 v13, v0, 2, 36
	s_mov_b64 s[10:11], 0
	v_mov_b32_e32 v10, v0
.LBB71_145:                             ; =>This Inner Loop Header: Depth=1
	v_add_co_u32_e32 v10, vcc, 1, v10
	v_addc_co_u32_e32 v11, vcc, 0, v11, vcc
	v_cmp_eq_u32_e32 vcc, 1, v10
	v_cndmask_b32_e32 v15, v2, v3, vcc
	v_cmp_lt_u32_e32 vcc, 4, v10
	v_cmp_eq_u32_e64 s[4:5], 2, v10
	v_cndmask_b32_e64 v15, v15, v4, s[4:5]
	s_or_b64 s[10:11], vcc, s[10:11]
	v_cmp_eq_u32_e32 vcc, 3, v10
	ds_read_b32 v14, v13
	v_cndmask_b32_e32 v15, v15, v5, vcc
	v_cmp_eq_u32_e32 vcc, 4, v10
	v_cndmask_b32_e32 v15, v15, v6, vcc
	v_cmp_eq_u32_e32 vcc, 5, v10
	;; [unrolled: 2-line block ×4, first 2 shown]
	v_cndmask_b32_e32 v15, v15, v9, vcc
	v_add_u32_e32 v13, 4, v13
	s_waitcnt lgkmcnt(0)
	v_fmac_f32_e32 v12, v15, v14
	s_andn2_b64 exec, exec, s[10:11]
	s_cbranch_execnz .LBB71_145
; %bb.146:
	s_or_b64 exec, exec, s[10:11]
.LBB71_147:
	s_or_b64 exec, exec, s[8:9]
	v_mov_b32_e32 v8, 0
	ds_read_b32 v8, v8 offset:24
	s_waitcnt lgkmcnt(0)
	v_mul_f32_e32 v8, v12, v8
.LBB71_148:
	s_or_b64 exec, exec, s[6:7]
	v_cmp_ne_u32_e32 vcc, 7, v0
	ds_write_b32 v34, v9
	s_waitcnt lgkmcnt(0)
	; wave barrier
	s_and_saveexec_b64 s[4:5], vcc
	s_cbranch_execz .LBB71_158
; %bb.149:
	s_and_b64 vcc, exec, s[0:1]
	s_cbranch_vccnz .LBB71_151
; %bb.150:
	v_cmp_eq_u32_e32 vcc, 1, v0
	v_cndmask_b32_e32 v10, v2, v3, vcc
	v_cmp_eq_u32_e32 vcc, 2, v0
	v_cndmask_b32_e32 v10, v10, v4, vcc
	;; [unrolled: 2-line block ×3, first 2 shown]
	v_cmp_eq_u32_e32 vcc, 4, v0
	ds_read_b32 v11, v34
	v_cndmask_b32_e32 v10, v10, v6, vcc
	v_cmp_eq_u32_e32 vcc, 5, v0
	v_cndmask_b32_e32 v10, v10, v7, vcc
	v_cmp_eq_u32_e32 vcc, 6, v0
	;; [unrolled: 2-line block ×3, first 2 shown]
	v_cndmask_b32_e32 v10, v10, v9, vcc
	s_waitcnt lgkmcnt(0)
	v_mul_f32_e32 v10, v10, v11
	s_cbranch_execz .LBB71_152
	s_branch .LBB71_153
.LBB71_151:
                                        ; implicit-def: $vgpr10
.LBB71_152:
	ds_read_b32 v10, v34
.LBB71_153:
	s_and_saveexec_b64 s[6:7], s[2:3]
	s_cbranch_execz .LBB71_157
; %bb.154:
	v_lshl_add_u32 v11, v0, 2, 36
	s_mov_b64 s[2:3], 0
.LBB71_155:                             ; =>This Inner Loop Header: Depth=1
	v_add_co_u32_e32 v0, vcc, 1, v0
	v_addc_co_u32_e32 v1, vcc, 0, v1, vcc
	v_cmp_eq_u32_e32 vcc, 1, v0
	v_cndmask_b32_e32 v13, v2, v3, vcc
	v_cmp_lt_u32_e32 vcc, 5, v0
	v_cmp_eq_u32_e64 s[0:1], 2, v0
	v_cndmask_b32_e64 v13, v13, v4, s[0:1]
	s_or_b64 s[2:3], vcc, s[2:3]
	v_cmp_eq_u32_e32 vcc, 3, v0
	ds_read_b32 v12, v11
	v_cndmask_b32_e32 v13, v13, v5, vcc
	v_cmp_eq_u32_e32 vcc, 4, v0
	v_cndmask_b32_e32 v13, v13, v6, vcc
	v_cmp_eq_u32_e32 vcc, 5, v0
	;; [unrolled: 2-line block ×4, first 2 shown]
	v_cndmask_b32_e32 v13, v13, v9, vcc
	v_add_u32_e32 v11, 4, v11
	s_waitcnt lgkmcnt(0)
	v_fmac_f32_e32 v10, v13, v12
	s_andn2_b64 exec, exec, s[2:3]
	s_cbranch_execnz .LBB71_155
; %bb.156:
	s_or_b64 exec, exec, s[2:3]
.LBB71_157:
	s_or_b64 exec, exec, s[6:7]
	v_mov_b32_e32 v0, 0
	ds_read_b32 v0, v0 offset:28
	s_waitcnt lgkmcnt(0)
	v_mul_f32_e32 v9, v10, v0
.LBB71_158:
	s_or_b64 exec, exec, s[4:5]
	v_mov_b32_e32 v17, v9
	v_mov_b32_e32 v16, v8
	;; [unrolled: 1-line block ×8, first 2 shown]
.LBB71_159:
	flat_store_dword v[18:19], v10
	flat_store_dword v[32:33], v11
	;; [unrolled: 1-line block ×8, first 2 shown]
.LBB71_160:
	s_endpgm
	.section	.rodata,"a",@progbits
	.p2align	6, 0x0
	.amdhsa_kernel _ZN9rocsolver6v33100L18trti2_kernel_smallILi8EfPKPfEEv13rocblas_fill_17rocblas_diagonal_T1_iil
		.amdhsa_group_segment_fixed_size 64
		.amdhsa_private_segment_fixed_size 0
		.amdhsa_kernarg_size 32
		.amdhsa_user_sgpr_count 6
		.amdhsa_user_sgpr_private_segment_buffer 1
		.amdhsa_user_sgpr_dispatch_ptr 0
		.amdhsa_user_sgpr_queue_ptr 0
		.amdhsa_user_sgpr_kernarg_segment_ptr 1
		.amdhsa_user_sgpr_dispatch_id 0
		.amdhsa_user_sgpr_flat_scratch_init 0
		.amdhsa_user_sgpr_private_segment_size 0
		.amdhsa_uses_dynamic_stack 0
		.amdhsa_system_sgpr_private_segment_wavefront_offset 0
		.amdhsa_system_sgpr_workgroup_id_x 1
		.amdhsa_system_sgpr_workgroup_id_y 0
		.amdhsa_system_sgpr_workgroup_id_z 0
		.amdhsa_system_sgpr_workgroup_info 0
		.amdhsa_system_vgpr_workitem_id 0
		.amdhsa_next_free_vgpr 47
		.amdhsa_next_free_sgpr 22
		.amdhsa_reserve_vcc 1
		.amdhsa_reserve_flat_scratch 0
		.amdhsa_float_round_mode_32 0
		.amdhsa_float_round_mode_16_64 0
		.amdhsa_float_denorm_mode_32 3
		.amdhsa_float_denorm_mode_16_64 3
		.amdhsa_dx10_clamp 1
		.amdhsa_ieee_mode 1
		.amdhsa_fp16_overflow 0
		.amdhsa_exception_fp_ieee_invalid_op 0
		.amdhsa_exception_fp_denorm_src 0
		.amdhsa_exception_fp_ieee_div_zero 0
		.amdhsa_exception_fp_ieee_overflow 0
		.amdhsa_exception_fp_ieee_underflow 0
		.amdhsa_exception_fp_ieee_inexact 0
		.amdhsa_exception_int_div_zero 0
	.end_amdhsa_kernel
	.section	.text._ZN9rocsolver6v33100L18trti2_kernel_smallILi8EfPKPfEEv13rocblas_fill_17rocblas_diagonal_T1_iil,"axG",@progbits,_ZN9rocsolver6v33100L18trti2_kernel_smallILi8EfPKPfEEv13rocblas_fill_17rocblas_diagonal_T1_iil,comdat
.Lfunc_end71:
	.size	_ZN9rocsolver6v33100L18trti2_kernel_smallILi8EfPKPfEEv13rocblas_fill_17rocblas_diagonal_T1_iil, .Lfunc_end71-_ZN9rocsolver6v33100L18trti2_kernel_smallILi8EfPKPfEEv13rocblas_fill_17rocblas_diagonal_T1_iil
                                        ; -- End function
	.set _ZN9rocsolver6v33100L18trti2_kernel_smallILi8EfPKPfEEv13rocblas_fill_17rocblas_diagonal_T1_iil.num_vgpr, 47
	.set _ZN9rocsolver6v33100L18trti2_kernel_smallILi8EfPKPfEEv13rocblas_fill_17rocblas_diagonal_T1_iil.num_agpr, 0
	.set _ZN9rocsolver6v33100L18trti2_kernel_smallILi8EfPKPfEEv13rocblas_fill_17rocblas_diagonal_T1_iil.numbered_sgpr, 22
	.set _ZN9rocsolver6v33100L18trti2_kernel_smallILi8EfPKPfEEv13rocblas_fill_17rocblas_diagonal_T1_iil.num_named_barrier, 0
	.set _ZN9rocsolver6v33100L18trti2_kernel_smallILi8EfPKPfEEv13rocblas_fill_17rocblas_diagonal_T1_iil.private_seg_size, 0
	.set _ZN9rocsolver6v33100L18trti2_kernel_smallILi8EfPKPfEEv13rocblas_fill_17rocblas_diagonal_T1_iil.uses_vcc, 1
	.set _ZN9rocsolver6v33100L18trti2_kernel_smallILi8EfPKPfEEv13rocblas_fill_17rocblas_diagonal_T1_iil.uses_flat_scratch, 0
	.set _ZN9rocsolver6v33100L18trti2_kernel_smallILi8EfPKPfEEv13rocblas_fill_17rocblas_diagonal_T1_iil.has_dyn_sized_stack, 0
	.set _ZN9rocsolver6v33100L18trti2_kernel_smallILi8EfPKPfEEv13rocblas_fill_17rocblas_diagonal_T1_iil.has_recursion, 0
	.set _ZN9rocsolver6v33100L18trti2_kernel_smallILi8EfPKPfEEv13rocblas_fill_17rocblas_diagonal_T1_iil.has_indirect_call, 0
	.section	.AMDGPU.csdata,"",@progbits
; Kernel info:
; codeLenInByte = 8832
; TotalNumSgprs: 26
; NumVgprs: 47
; ScratchSize: 0
; MemoryBound: 0
; FloatMode: 240
; IeeeMode: 1
; LDSByteSize: 64 bytes/workgroup (compile time only)
; SGPRBlocks: 3
; VGPRBlocks: 11
; NumSGPRsForWavesPerEU: 26
; NumVGPRsForWavesPerEU: 47
; Occupancy: 5
; WaveLimiterHint : 1
; COMPUTE_PGM_RSRC2:SCRATCH_EN: 0
; COMPUTE_PGM_RSRC2:USER_SGPR: 6
; COMPUTE_PGM_RSRC2:TRAP_HANDLER: 0
; COMPUTE_PGM_RSRC2:TGID_X_EN: 1
; COMPUTE_PGM_RSRC2:TGID_Y_EN: 0
; COMPUTE_PGM_RSRC2:TGID_Z_EN: 0
; COMPUTE_PGM_RSRC2:TIDIG_COMP_CNT: 0
	.section	.text._ZN9rocsolver6v33100L18trti2_kernel_smallILi9EfPKPfEEv13rocblas_fill_17rocblas_diagonal_T1_iil,"axG",@progbits,_ZN9rocsolver6v33100L18trti2_kernel_smallILi9EfPKPfEEv13rocblas_fill_17rocblas_diagonal_T1_iil,comdat
	.globl	_ZN9rocsolver6v33100L18trti2_kernel_smallILi9EfPKPfEEv13rocblas_fill_17rocblas_diagonal_T1_iil ; -- Begin function _ZN9rocsolver6v33100L18trti2_kernel_smallILi9EfPKPfEEv13rocblas_fill_17rocblas_diagonal_T1_iil
	.p2align	8
	.type	_ZN9rocsolver6v33100L18trti2_kernel_smallILi9EfPKPfEEv13rocblas_fill_17rocblas_diagonal_T1_iil,@function
_ZN9rocsolver6v33100L18trti2_kernel_smallILi9EfPKPfEEv13rocblas_fill_17rocblas_diagonal_T1_iil: ; @_ZN9rocsolver6v33100L18trti2_kernel_smallILi9EfPKPfEEv13rocblas_fill_17rocblas_diagonal_T1_iil
; %bb.0:
	v_cmp_gt_u32_e32 vcc, 9, v0
	s_and_saveexec_b64 s[0:1], vcc
	s_cbranch_execz .LBB72_186
; %bb.1:
	s_load_dwordx2 s[0:1], s[4:5], 0x10
	s_load_dwordx4 s[20:23], s[4:5], 0x0
	s_ashr_i32 s7, s6, 31
	s_lshl_b64 s[2:3], s[6:7], 3
	v_lshlrev_b32_e32 v11, 2, v0
	s_waitcnt lgkmcnt(0)
	s_ashr_i32 s5, s0, 31
	s_add_u32 s2, s22, s2
	s_addc_u32 s3, s23, s3
	s_load_dwordx2 s[2:3], s[2:3], 0x0
	s_mov_b32 s4, s0
	s_lshl_b64 s[4:5], s[4:5], 2
	v_mov_b32_e32 v12, -1.0
	s_waitcnt lgkmcnt(0)
	s_add_u32 s0, s2, s4
	s_addc_u32 s2, s3, s5
	s_add_i32 s3, s1, s1
	v_add_u32_e32 v1, s3, v0
	v_ashrrev_i32_e32 v2, 31, v1
	v_lshlrev_b64 v[2:3], 2, v[1:2]
	v_add_u32_e32 v1, s1, v1
	v_mov_b32_e32 v4, s2
	v_add_co_u32_e32 v20, vcc, s0, v2
	v_ashrrev_i32_e32 v2, 31, v1
	v_addc_co_u32_e32 v21, vcc, v4, v3, vcc
	v_lshlrev_b64 v[2:3], 2, v[1:2]
	v_add_u32_e32 v1, s1, v1
	v_add_co_u32_e32 v22, vcc, s0, v2
	v_ashrrev_i32_e32 v2, 31, v1
	v_addc_co_u32_e32 v23, vcc, v4, v3, vcc
	v_lshlrev_b64 v[2:3], 2, v[1:2]
	v_add_u32_e32 v1, s1, v1
	;; [unrolled: 5-line block ×5, first 2 shown]
	v_add_co_u32_e32 v30, vcc, s0, v2
	v_ashrrev_i32_e32 v2, 31, v1
	v_lshlrev_b64 v[1:2], 2, v[1:2]
	v_addc_co_u32_e32 v31, vcc, v4, v3, vcc
	v_mov_b32_e32 v3, s2
	v_add_co_u32_e32 v32, vcc, s0, v1
	v_addc_co_u32_e32 v33, vcc, v3, v2, vcc
	v_mov_b32_e32 v1, s2
	v_add_co_u32_e32 v34, vcc, s0, v11
	s_ashr_i32 s3, s1, 31
	s_mov_b32 s2, s1
	v_addc_co_u32_e32 v35, vcc, 0, v1, vcc
	s_lshl_b64 s[0:1], s[2:3], 2
	v_mov_b32_e32 v1, s1
	v_add_co_u32_e32 v36, vcc, s0, v34
	v_addc_co_u32_e32 v37, vcc, v35, v1, vcc
	flat_load_dword v2, v[34:35]
	flat_load_dword v3, v[36:37]
	;; [unrolled: 1-line block ×9, first 2 shown]
	s_cmpk_lg_i32 s21, 0x84
	v_mov_b32_e32 v1, 0
	s_cselect_b64 s[18:19], -1, 0
	s_cmpk_eq_i32 s21, 0x84
	v_cmp_eq_u32_e64 s[0:1], 0, v0
	s_cbranch_scc1 .LBB72_3
; %bb.2:
	v_cmp_eq_u32_e64 s[2:3], 1, v0
	s_waitcnt vmcnt(0) lgkmcnt(0)
	v_cndmask_b32_e64 v12, v2, v3, s[2:3]
	v_cmp_eq_u32_e64 s[4:5], 2, v0
	v_cndmask_b32_e64 v12, v12, v4, s[4:5]
	v_cmp_eq_u32_e64 s[6:7], 3, v0
	;; [unrolled: 2-line block ×7, first 2 shown]
	v_cndmask_b32_e64 v12, v12, v10, s[16:17]
	v_div_scale_f32 v13, s[22:23], v12, v12, 1.0
	v_div_scale_f32 v14, vcc, 1.0, v12, 1.0
	v_rcp_f32_e32 v15, v13
	v_fma_f32 v16, -v13, v15, 1.0
	v_fmac_f32_e32 v15, v16, v15
	v_mul_f32_e32 v16, v14, v15
	v_fma_f32 v17, -v13, v16, v14
	v_fmac_f32_e32 v16, v17, v15
	v_fma_f32 v13, -v13, v16, v14
	v_div_fmas_f32 v13, v13, v15, v16
	v_div_fixup_f32 v12, v13, v12, 1.0
	v_cndmask_b32_e64 v10, v10, v12, s[16:17]
	v_cndmask_b32_e64 v9, v9, v12, s[14:15]
	;; [unrolled: 1-line block ×9, first 2 shown]
	v_xor_b32_e32 v12, 0x80000000, v12
.LBB72_3:
	s_cmpk_eq_i32 s20, 0x79
	v_add_u32_e32 v38, 48, v11
	ds_write_b32 v11, v12
	s_cbranch_scc1 .LBB72_7
; %bb.4:
	s_waitcnt vmcnt(0) lgkmcnt(0)
	v_mov_b32_e32 v19, v10
	v_mov_b32_e32 v18, v9
	;; [unrolled: 1-line block ×9, first 2 shown]
	v_cmp_eq_u32_e64 s[2:3], 8, v0
	ds_write_b32 v38, v9
	s_waitcnt lgkmcnt(0)
	; wave barrier
	s_and_saveexec_b64 s[0:1], s[2:3]
	s_cbranch_execz .LBB72_11
; %bb.5:
	s_and_b64 vcc, exec, s[18:19]
	s_cbranch_vccz .LBB72_8
; %bb.6:
	v_cmp_eq_u32_e32 vcc, 1, v0
	v_cndmask_b32_e32 v11, v2, v3, vcc
	v_cmp_eq_u32_e32 vcc, 2, v0
	v_cndmask_b32_e32 v11, v11, v4, vcc
	;; [unrolled: 2-line block ×4, first 2 shown]
	v_cmp_eq_u32_e32 vcc, 5, v0
	ds_read_b32 v12, v38
	v_cndmask_b32_e32 v11, v11, v7, vcc
	v_cmp_eq_u32_e32 vcc, 6, v0
	v_cndmask_b32_e32 v11, v11, v8, vcc
	v_cmp_eq_u32_e32 vcc, 7, v0
	;; [unrolled: 2-line block ×3, first 2 shown]
	v_cndmask_b32_e32 v11, v11, v10, vcc
	s_waitcnt lgkmcnt(0)
	v_mul_f32_e32 v11, v11, v12
	s_cbranch_execz .LBB72_9
	s_branch .LBB72_10
.LBB72_7:
                                        ; implicit-def: $vgpr11_vgpr12_vgpr13_vgpr14_vgpr15_vgpr16_vgpr17_vgpr18_vgpr19
	s_cbranch_execnz .LBB72_114
	s_branch .LBB72_185
.LBB72_8:
                                        ; implicit-def: $vgpr11
.LBB72_9:
	ds_read_b32 v11, v38
.LBB72_10:
	v_mov_b32_e32 v12, 0
	ds_read_b32 v12, v12 offset:28
	s_waitcnt lgkmcnt(0)
	v_mul_f32_e32 v39, v11, v12
	v_mov_b32_e32 v19, v10
	v_mov_b32_e32 v18, v9
	v_mov_b32_e32 v17, v8
	v_mov_b32_e32 v16, v7
	v_mov_b32_e32 v15, v6
	v_mov_b32_e32 v14, v5
	v_mov_b32_e32 v13, v4
	v_mov_b32_e32 v12, v3
	v_mov_b32_e32 v11, v2
	v_mov_b32_e32 v18, v39
.LBB72_11:
	s_or_b64 exec, exec, s[0:1]
	v_cmp_lt_u32_e64 s[0:1], 6, v0
	ds_write_b32 v38, v17
	s_waitcnt lgkmcnt(0)
	; wave barrier
	s_and_saveexec_b64 s[4:5], s[0:1]
	s_cbranch_execz .LBB72_17
; %bb.12:
	s_andn2_b64 vcc, exec, s[18:19]
	s_cbranch_vccnz .LBB72_14
; %bb.13:
	v_cmp_eq_u32_e32 vcc, 1, v0
	v_cndmask_b32_e32 v39, v11, v12, vcc
	v_cmp_eq_u32_e32 vcc, 2, v0
	v_cndmask_b32_e32 v39, v39, v13, vcc
	;; [unrolled: 2-line block ×6, first 2 shown]
	ds_read_b32 v39, v38
	v_cmp_eq_u32_e32 vcc, 7, v0
	v_cndmask_b32_e32 v17, v17, v18, vcc
	v_cmp_eq_u32_e32 vcc, 8, v0
	v_cndmask_b32_e32 v17, v17, v19, vcc
	s_waitcnt lgkmcnt(0)
	v_mul_f32_e32 v17, v17, v39
	s_cbranch_execz .LBB72_15
	s_branch .LBB72_16
.LBB72_14:
                                        ; implicit-def: $vgpr17
.LBB72_15:
	ds_read_b32 v17, v38
.LBB72_16:
	v_mov_b32_e32 v39, 0
	ds_read2_b32 v[39:40], v39 offset0:6 offset1:19
	s_waitcnt lgkmcnt(0)
	v_fma_f32 v40, v18, v40, v17
	v_cndmask_b32_e64 v17, v17, v40, s[2:3]
	v_mul_f32_e32 v17, v17, v39
.LBB72_17:
	s_or_b64 exec, exec, s[4:5]
	v_cmp_lt_u32_e64 s[2:3], 5, v0
	ds_write_b32 v38, v16
	s_waitcnt lgkmcnt(0)
	; wave barrier
	s_and_saveexec_b64 s[4:5], s[2:3]
	s_cbranch_execz .LBB72_33
; %bb.18:
	s_andn2_b64 vcc, exec, s[18:19]
	s_cbranch_vccnz .LBB72_20
; %bb.19:
	v_cmp_eq_u32_e32 vcc, 1, v0
	v_cndmask_b32_e32 v39, v11, v12, vcc
	v_cmp_eq_u32_e32 vcc, 2, v0
	v_cndmask_b32_e32 v39, v39, v13, vcc
	;; [unrolled: 2-line block ×4, first 2 shown]
	v_cmp_eq_u32_e32 vcc, 5, v0
	ds_read_b32 v40, v38
	v_cndmask_b32_e32 v39, v39, v16, vcc
	v_cmp_eq_u32_e32 vcc, 6, v0
	v_cndmask_b32_e32 v39, v39, v17, vcc
	v_cmp_eq_u32_e32 vcc, 7, v0
	;; [unrolled: 2-line block ×3, first 2 shown]
	v_cndmask_b32_e32 v39, v39, v19, vcc
	s_waitcnt lgkmcnt(0)
	v_mul_f32_e32 v39, v39, v40
	s_cbranch_execz .LBB72_21
	s_branch .LBB72_22
.LBB72_20:
                                        ; implicit-def: $vgpr39
.LBB72_21:
	ds_read_b32 v39, v38
.LBB72_22:
	s_and_saveexec_b64 s[6:7], s[0:1]
	s_cbranch_execz .LBB72_32
; %bb.23:
	v_add_u32_e32 v42, -7, v0
	v_add_u32_e32 v41, -6, v0
	v_mov_b32_e32 v40, 6
	v_cmp_lt_u32_e32 vcc, 6, v42
	s_and_saveexec_b64 s[0:1], vcc
	s_cbranch_execz .LBB72_27
; %bb.24:
	v_and_b32_e32 v40, -8, v41
	v_sub_u32_e32 v42, 0, v40
	s_mov_b64 s[8:9], 13
	s_movk_i32 s12, 0x48
	s_mov_b64 s[10:11], 0
.LBB72_25:                              ; =>This Inner Loop Header: Depth=1
	s_add_i32 s13, s8, -7
	v_mov_b32_e32 v40, s12
	s_add_i32 s14, s8, -6
	s_set_gpr_idx_on s13, gpr_idx(SRC0)
	v_mov_b32_e32 v51, v11
	s_set_gpr_idx_off
	ds_read2_b64 v[43:46], v40 offset1:1
	s_add_i32 s15, s8, -5
	s_set_gpr_idx_on s14, gpr_idx(SRC0)
	v_mov_b32_e32 v52, v11
	s_set_gpr_idx_off
	s_add_i32 s16, s8, -4
	s_set_gpr_idx_on s15, gpr_idx(SRC0)
	v_mov_b32_e32 v53, v11
	s_set_gpr_idx_off
	;; [unrolled: 4-line block ×4, first 2 shown]
	ds_read2_b64 v[47:50], v40 offset0:2 offset1:3
	s_add_i32 s21, s8, -1
	s_waitcnt lgkmcnt(1)
	v_fmac_f32_e32 v39, v51, v43
	s_set_gpr_idx_on s20, gpr_idx(SRC0)
	v_mov_b32_e32 v43, v11
	s_set_gpr_idx_off
	v_fmac_f32_e32 v39, v52, v44
	s_set_gpr_idx_on s21, gpr_idx(SRC0)
	v_mov_b32_e32 v44, v11
	s_set_gpr_idx_off
	;; [unrolled: 4-line block ×3, first 2 shown]
	v_fmac_f32_e32 v39, v54, v46
	s_add_u32 s8, s8, 8
	s_waitcnt lgkmcnt(0)
	v_fmac_f32_e32 v39, v55, v47
	v_add_u32_e32 v40, s8, v42
	v_fmac_f32_e32 v39, v43, v48
	s_addc_u32 s9, s9, 0
	s_add_i32 s12, s12, 32
	s_add_i32 s13, s8, -7
	v_cmp_eq_u32_e32 vcc, 13, v40
	v_fmac_f32_e32 v39, v44, v49
	v_mov_b32_e32 v40, s13
	s_or_b64 s[10:11], vcc, s[10:11]
	v_fmac_f32_e32 v39, v45, v50
	s_andn2_b64 exec, exec, s[10:11]
	s_cbranch_execnz .LBB72_25
; %bb.26:
	s_or_b64 exec, exec, s[10:11]
.LBB72_27:
	s_or_b64 exec, exec, s[0:1]
	v_and_b32_e32 v41, 7, v41
	v_cmp_ne_u32_e32 vcc, 0, v41
	s_and_saveexec_b64 s[8:9], vcc
	s_cbranch_execz .LBB72_31
; %bb.28:
	v_lshl_add_u32 v42, v40, 2, 48
	v_mov_b32_e32 v43, 0
	s_mov_b64 s[10:11], 0
.LBB72_29:                              ; =>This Inner Loop Header: Depth=1
	v_cmp_eq_u32_e32 vcc, 1, v40
	v_cndmask_b32_e32 v44, v11, v12, vcc
	v_add_u32_e32 v41, -1, v41
	v_cmp_eq_u32_e32 vcc, 2, v40
	v_cndmask_b32_e32 v44, v44, v13, vcc
	v_cmp_eq_u32_e32 vcc, 0, v41
	v_cmp_eq_u32_e64 s[0:1], 3, v40
	v_cndmask_b32_e64 v44, v44, v14, s[0:1]
	s_or_b64 s[10:11], vcc, s[10:11]
	v_cmp_eq_u32_e32 vcc, 4, v40
	ds_read_b32 v45, v42
	v_cndmask_b32_e32 v44, v44, v15, vcc
	v_cmp_eq_u32_e32 vcc, 5, v40
	v_cndmask_b32_e32 v44, v44, v16, vcc
	v_cmp_eq_u32_e32 vcc, 6, v40
	;; [unrolled: 2-line block ×4, first 2 shown]
	v_add_co_u32_e64 v40, s[0:1], 1, v40
	v_cndmask_b32_e32 v44, v44, v19, vcc
	v_add_u32_e32 v42, 4, v42
	v_addc_co_u32_e64 v43, s[0:1], 0, v43, s[0:1]
	s_waitcnt lgkmcnt(0)
	v_fmac_f32_e32 v39, v44, v45
	s_andn2_b64 exec, exec, s[10:11]
	s_cbranch_execnz .LBB72_29
; %bb.30:
	s_or_b64 exec, exec, s[10:11]
.LBB72_31:
	s_or_b64 exec, exec, s[8:9]
.LBB72_32:
	s_or_b64 exec, exec, s[6:7]
	v_mov_b32_e32 v16, 0
	ds_read_b32 v16, v16 offset:20
	s_waitcnt lgkmcnt(0)
	v_mul_f32_e32 v16, v39, v16
.LBB72_33:
	s_or_b64 exec, exec, s[4:5]
	v_cmp_lt_u32_e64 s[0:1], 4, v0
	ds_write_b32 v38, v15
	s_waitcnt lgkmcnt(0)
	; wave barrier
	s_and_saveexec_b64 s[4:5], s[0:1]
	s_cbranch_execz .LBB72_49
; %bb.34:
	s_andn2_b64 vcc, exec, s[18:19]
	s_cbranch_vccnz .LBB72_36
; %bb.35:
	v_cmp_eq_u32_e32 vcc, 1, v0
	v_cndmask_b32_e32 v39, v11, v12, vcc
	v_cmp_eq_u32_e32 vcc, 2, v0
	v_cndmask_b32_e32 v39, v39, v13, vcc
	;; [unrolled: 2-line block ×4, first 2 shown]
	v_cmp_eq_u32_e32 vcc, 5, v0
	ds_read_b32 v40, v38
	v_cndmask_b32_e32 v39, v39, v16, vcc
	v_cmp_eq_u32_e32 vcc, 6, v0
	v_cndmask_b32_e32 v39, v39, v17, vcc
	v_cmp_eq_u32_e32 vcc, 7, v0
	;; [unrolled: 2-line block ×3, first 2 shown]
	v_cndmask_b32_e32 v39, v39, v19, vcc
	s_waitcnt lgkmcnt(0)
	v_mul_f32_e32 v39, v39, v40
	s_cbranch_execz .LBB72_37
	s_branch .LBB72_38
.LBB72_36:
                                        ; implicit-def: $vgpr39
.LBB72_37:
	ds_read_b32 v39, v38
.LBB72_38:
	s_and_saveexec_b64 s[6:7], s[2:3]
	s_cbranch_execz .LBB72_48
; %bb.39:
	v_add_u32_e32 v41, -6, v0
	v_add_u32_e32 v40, -5, v0
	v_cmp_lt_u32_e32 vcc, 6, v41
	v_mov_b32_e32 v41, 5
	s_and_saveexec_b64 s[2:3], vcc
	s_cbranch_execz .LBB72_43
; %bb.40:
	v_and_b32_e32 v41, -8, v40
	v_sub_u32_e32 v42, 0, v41
	s_mov_b64 s[8:9], 12
	s_movk_i32 s12, 0x44
	s_mov_b64 s[10:11], 0
.LBB72_41:                              ; =>This Inner Loop Header: Depth=1
	s_add_i32 s13, s8, -7
	v_mov_b32_e32 v41, s12
	s_add_i32 s14, s8, -6
	s_set_gpr_idx_on s13, gpr_idx(SRC0)
	v_mov_b32_e32 v49, v11
	s_set_gpr_idx_off
	ds_read2_b32 v[43:44], v41 offset1:1
	s_add_i32 s15, s8, -5
	s_set_gpr_idx_on s14, gpr_idx(SRC0)
	v_mov_b32_e32 v50, v11
	s_set_gpr_idx_off
	s_add_i32 s16, s8, -4
	s_set_gpr_idx_on s15, gpr_idx(SRC0)
	v_mov_b32_e32 v51, v11
	s_set_gpr_idx_off
	ds_read2_b32 v[45:46], v41 offset0:2 offset1:3
	s_add_i32 s17, s8, -3
	s_set_gpr_idx_on s16, gpr_idx(SRC0)
	v_mov_b32_e32 v52, v11
	s_set_gpr_idx_off
	s_add_i32 s20, s8, -2
	s_set_gpr_idx_on s17, gpr_idx(SRC0)
	v_mov_b32_e32 v53, v11
	s_set_gpr_idx_off
	ds_read2_b32 v[47:48], v41 offset0:4 offset1:5
	s_add_i32 s21, s8, -1
	s_waitcnt lgkmcnt(2)
	v_fmac_f32_e32 v39, v49, v43
	s_set_gpr_idx_on s20, gpr_idx(SRC0)
	v_mov_b32_e32 v49, v11
	s_set_gpr_idx_off
	v_fmac_f32_e32 v39, v50, v44
	s_set_gpr_idx_on s21, gpr_idx(SRC0)
	v_mov_b32_e32 v50, v11
	s_set_gpr_idx_off
	ds_read2_b32 v[43:44], v41 offset0:6 offset1:7
	s_waitcnt lgkmcnt(2)
	v_fmac_f32_e32 v39, v51, v45
	s_set_gpr_idx_on s8, gpr_idx(SRC0)
	v_mov_b32_e32 v45, v11
	s_set_gpr_idx_off
	v_fmac_f32_e32 v39, v52, v46
	s_add_u32 s8, s8, 8
	s_waitcnt lgkmcnt(1)
	v_fmac_f32_e32 v39, v53, v47
	v_add_u32_e32 v41, s8, v42
	v_fmac_f32_e32 v39, v49, v48
	s_addc_u32 s9, s9, 0
	s_add_i32 s12, s12, 32
	s_add_i32 s13, s8, -7
	v_cmp_eq_u32_e32 vcc, 12, v41
	s_waitcnt lgkmcnt(0)
	v_fmac_f32_e32 v39, v50, v43
	v_mov_b32_e32 v41, s13
	s_or_b64 s[10:11], vcc, s[10:11]
	v_fmac_f32_e32 v39, v45, v44
	s_andn2_b64 exec, exec, s[10:11]
	s_cbranch_execnz .LBB72_41
; %bb.42:
	s_or_b64 exec, exec, s[10:11]
.LBB72_43:
	s_or_b64 exec, exec, s[2:3]
	v_and_b32_e32 v40, 7, v40
	v_cmp_ne_u32_e32 vcc, 0, v40
	s_and_saveexec_b64 s[8:9], vcc
	s_cbranch_execz .LBB72_47
; %bb.44:
	v_lshl_add_u32 v42, v41, 2, 48
	v_mov_b32_e32 v43, 0
	s_mov_b64 s[10:11], 0
.LBB72_45:                              ; =>This Inner Loop Header: Depth=1
	v_cmp_eq_u32_e32 vcc, 1, v41
	v_cndmask_b32_e32 v44, v11, v12, vcc
	v_add_u32_e32 v40, -1, v40
	v_cmp_eq_u32_e32 vcc, 2, v41
	v_cndmask_b32_e32 v44, v44, v13, vcc
	v_cmp_eq_u32_e32 vcc, 0, v40
	v_cmp_eq_u32_e64 s[2:3], 3, v41
	v_cndmask_b32_e64 v44, v44, v14, s[2:3]
	s_or_b64 s[10:11], vcc, s[10:11]
	v_cmp_eq_u32_e32 vcc, 4, v41
	ds_read_b32 v45, v42
	v_cndmask_b32_e32 v44, v44, v15, vcc
	v_cmp_eq_u32_e32 vcc, 5, v41
	v_cndmask_b32_e32 v44, v44, v16, vcc
	v_cmp_eq_u32_e32 vcc, 6, v41
	;; [unrolled: 2-line block ×4, first 2 shown]
	v_add_co_u32_e64 v41, s[2:3], 1, v41
	v_cndmask_b32_e32 v44, v44, v19, vcc
	v_add_u32_e32 v42, 4, v42
	v_addc_co_u32_e64 v43, s[2:3], 0, v43, s[2:3]
	s_waitcnt lgkmcnt(0)
	v_fmac_f32_e32 v39, v44, v45
	s_andn2_b64 exec, exec, s[10:11]
	s_cbranch_execnz .LBB72_45
; %bb.46:
	s_or_b64 exec, exec, s[10:11]
.LBB72_47:
	s_or_b64 exec, exec, s[8:9]
.LBB72_48:
	s_or_b64 exec, exec, s[6:7]
	v_mov_b32_e32 v15, 0
	ds_read_b32 v15, v15 offset:16
	s_waitcnt lgkmcnt(0)
	v_mul_f32_e32 v15, v39, v15
.LBB72_49:
	s_or_b64 exec, exec, s[4:5]
	v_cmp_lt_u32_e64 s[2:3], 3, v0
	ds_write_b32 v38, v14
	s_waitcnt lgkmcnt(0)
	; wave barrier
	s_and_saveexec_b64 s[4:5], s[2:3]
	s_cbranch_execz .LBB72_65
; %bb.50:
	s_andn2_b64 vcc, exec, s[18:19]
	s_cbranch_vccnz .LBB72_52
; %bb.51:
	v_cmp_eq_u32_e32 vcc, 1, v0
	v_cndmask_b32_e32 v39, v11, v12, vcc
	v_cmp_eq_u32_e32 vcc, 2, v0
	v_cndmask_b32_e32 v39, v39, v13, vcc
	;; [unrolled: 2-line block ×4, first 2 shown]
	v_cmp_eq_u32_e32 vcc, 5, v0
	ds_read_b32 v40, v38
	v_cndmask_b32_e32 v39, v39, v16, vcc
	v_cmp_eq_u32_e32 vcc, 6, v0
	v_cndmask_b32_e32 v39, v39, v17, vcc
	v_cmp_eq_u32_e32 vcc, 7, v0
	;; [unrolled: 2-line block ×3, first 2 shown]
	v_cndmask_b32_e32 v39, v39, v19, vcc
	s_waitcnt lgkmcnt(0)
	v_mul_f32_e32 v39, v39, v40
	s_cbranch_execz .LBB72_53
	s_branch .LBB72_54
.LBB72_52:
                                        ; implicit-def: $vgpr39
.LBB72_53:
	ds_read_b32 v39, v38
.LBB72_54:
	s_and_saveexec_b64 s[6:7], s[0:1]
	s_cbranch_execz .LBB72_64
; %bb.55:
	v_add_u32_e32 v40, -5, v0
	v_add_u32_e32 v41, -4, v0
	v_cmp_lt_u32_e32 vcc, 6, v40
	v_mov_b32_e32 v40, 4
	s_and_saveexec_b64 s[0:1], vcc
	s_cbranch_execz .LBB72_59
; %bb.56:
	v_and_b32_e32 v40, -8, v41
	v_sub_u32_e32 v42, 0, v40
	s_mov_b64 s[8:9], 5
	s_mov_b32 s12, 64
	s_mov_b64 s[10:11], 0
.LBB72_57:                              ; =>This Inner Loop Header: Depth=1
	s_add_i32 s13, s8, -1
	v_mov_b32_e32 v40, s12
	s_set_gpr_idx_on s13, gpr_idx(SRC0)
	v_mov_b32_e32 v51, v11
	s_set_gpr_idx_off
	s_add_i32 s14, s8, 1
	ds_read_b128 v[43:46], v40
	ds_read_b128 v[47:50], v40 offset:16
	s_set_gpr_idx_on s8, gpr_idx(SRC0)
	v_mov_b32_e32 v52, v11
	s_set_gpr_idx_off
	s_add_i32 s15, s8, 2
	s_set_gpr_idx_on s14, gpr_idx(SRC0)
	v_mov_b32_e32 v53, v11
	s_set_gpr_idx_off
	s_add_i32 s16, s8, 3
	;; [unrolled: 4-line block ×4, first 2 shown]
	s_waitcnt lgkmcnt(1)
	v_fmac_f32_e32 v39, v51, v43
	s_set_gpr_idx_on s17, gpr_idx(SRC0)
	v_mov_b32_e32 v43, v11
	s_set_gpr_idx_off
	s_add_i32 s21, s8, 6
	v_fmac_f32_e32 v39, v52, v44
	s_set_gpr_idx_on s20, gpr_idx(SRC0)
	v_mov_b32_e32 v44, v11
	s_set_gpr_idx_off
	v_fmac_f32_e32 v39, v53, v45
	s_set_gpr_idx_on s21, gpr_idx(SRC0)
	v_mov_b32_e32 v45, v11
	s_set_gpr_idx_off
	v_fmac_f32_e32 v39, v54, v46
	s_add_u32 s8, s8, 8
	s_waitcnt lgkmcnt(0)
	v_fmac_f32_e32 v39, v55, v47
	v_add_u32_e32 v40, s8, v42
	v_fmac_f32_e32 v39, v43, v48
	s_addc_u32 s9, s9, 0
	s_add_i32 s12, s12, 32
	s_add_i32 s13, s8, -1
	v_cmp_eq_u32_e32 vcc, 5, v40
	v_fmac_f32_e32 v39, v44, v49
	v_mov_b32_e32 v40, s13
	s_or_b64 s[10:11], vcc, s[10:11]
	v_fmac_f32_e32 v39, v45, v50
	s_andn2_b64 exec, exec, s[10:11]
	s_cbranch_execnz .LBB72_57
; %bb.58:
	s_or_b64 exec, exec, s[10:11]
.LBB72_59:
	s_or_b64 exec, exec, s[0:1]
	v_and_b32_e32 v41, 7, v41
	v_cmp_ne_u32_e32 vcc, 0, v41
	s_and_saveexec_b64 s[8:9], vcc
	s_cbranch_execz .LBB72_63
; %bb.60:
	v_lshl_add_u32 v42, v40, 2, 48
	v_mov_b32_e32 v43, 0
	s_mov_b64 s[10:11], 0
.LBB72_61:                              ; =>This Inner Loop Header: Depth=1
	v_cmp_eq_u32_e32 vcc, 1, v40
	v_cndmask_b32_e32 v44, v11, v12, vcc
	v_add_u32_e32 v41, -1, v41
	v_cmp_eq_u32_e32 vcc, 2, v40
	v_cndmask_b32_e32 v44, v44, v13, vcc
	v_cmp_eq_u32_e32 vcc, 0, v41
	v_cmp_eq_u32_e64 s[0:1], 3, v40
	v_cndmask_b32_e64 v44, v44, v14, s[0:1]
	s_or_b64 s[10:11], vcc, s[10:11]
	v_cmp_eq_u32_e32 vcc, 4, v40
	ds_read_b32 v45, v42
	v_cndmask_b32_e32 v44, v44, v15, vcc
	v_cmp_eq_u32_e32 vcc, 5, v40
	v_cndmask_b32_e32 v44, v44, v16, vcc
	v_cmp_eq_u32_e32 vcc, 6, v40
	v_cndmask_b32_e32 v44, v44, v17, vcc
	v_cmp_eq_u32_e32 vcc, 7, v40
	v_cndmask_b32_e32 v44, v44, v18, vcc
	v_cmp_eq_u32_e32 vcc, 8, v40
	v_add_co_u32_e64 v40, s[0:1], 1, v40
	v_cndmask_b32_e32 v44, v44, v19, vcc
	v_add_u32_e32 v42, 4, v42
	v_addc_co_u32_e64 v43, s[0:1], 0, v43, s[0:1]
	s_waitcnt lgkmcnt(0)
	v_fmac_f32_e32 v39, v44, v45
	s_andn2_b64 exec, exec, s[10:11]
	s_cbranch_execnz .LBB72_61
; %bb.62:
	s_or_b64 exec, exec, s[10:11]
.LBB72_63:
	s_or_b64 exec, exec, s[8:9]
.LBB72_64:
	s_or_b64 exec, exec, s[6:7]
	v_mov_b32_e32 v14, 0
	ds_read_b32 v14, v14 offset:12
	s_waitcnt lgkmcnt(0)
	v_mul_f32_e32 v14, v39, v14
.LBB72_65:
	s_or_b64 exec, exec, s[4:5]
	v_cmp_lt_u32_e64 s[0:1], 2, v0
	ds_write_b32 v38, v13
	s_waitcnt lgkmcnt(0)
	; wave barrier
	s_and_saveexec_b64 s[4:5], s[0:1]
	s_cbranch_execz .LBB72_81
; %bb.66:
	s_andn2_b64 vcc, exec, s[18:19]
	s_cbranch_vccnz .LBB72_68
; %bb.67:
	v_cmp_eq_u32_e32 vcc, 1, v0
	v_cndmask_b32_e32 v39, v11, v12, vcc
	v_cmp_eq_u32_e32 vcc, 2, v0
	v_cndmask_b32_e32 v39, v39, v13, vcc
	;; [unrolled: 2-line block ×4, first 2 shown]
	v_cmp_eq_u32_e32 vcc, 5, v0
	ds_read_b32 v40, v38
	v_cndmask_b32_e32 v39, v39, v16, vcc
	v_cmp_eq_u32_e32 vcc, 6, v0
	v_cndmask_b32_e32 v39, v39, v17, vcc
	v_cmp_eq_u32_e32 vcc, 7, v0
	;; [unrolled: 2-line block ×3, first 2 shown]
	v_cndmask_b32_e32 v39, v39, v19, vcc
	s_waitcnt lgkmcnt(0)
	v_mul_f32_e32 v39, v39, v40
	s_cbranch_execz .LBB72_69
	s_branch .LBB72_70
.LBB72_68:
                                        ; implicit-def: $vgpr39
.LBB72_69:
	ds_read_b32 v39, v38
.LBB72_70:
	s_and_saveexec_b64 s[6:7], s[2:3]
	s_cbranch_execz .LBB72_80
; %bb.71:
	v_add_u32_e32 v41, -4, v0
	v_add_u32_e32 v40, -3, v0
	v_cmp_lt_u32_e32 vcc, 6, v41
	v_mov_b32_e32 v41, 3
	s_and_saveexec_b64 s[2:3], vcc
	s_cbranch_execz .LBB72_75
; %bb.72:
	v_and_b32_e32 v41, -8, v40
	v_sub_u32_e32 v42, 0, v41
	s_mov_b64 s[8:9], 10
	s_mov_b32 s12, 60
	s_mov_b64 s[10:11], 0
.LBB72_73:                              ; =>This Inner Loop Header: Depth=1
	s_add_i32 s13, s8, -7
	v_mov_b32_e32 v41, s12
	s_add_i32 s14, s8, -6
	s_set_gpr_idx_on s13, gpr_idx(SRC0)
	v_mov_b32_e32 v49, v11
	s_set_gpr_idx_off
	ds_read2_b32 v[43:44], v41 offset1:1
	s_add_i32 s15, s8, -5
	s_set_gpr_idx_on s14, gpr_idx(SRC0)
	v_mov_b32_e32 v50, v11
	s_set_gpr_idx_off
	s_add_i32 s16, s8, -4
	s_set_gpr_idx_on s15, gpr_idx(SRC0)
	v_mov_b32_e32 v51, v11
	s_set_gpr_idx_off
	ds_read2_b32 v[45:46], v41 offset0:2 offset1:3
	s_add_i32 s17, s8, -3
	s_set_gpr_idx_on s16, gpr_idx(SRC0)
	v_mov_b32_e32 v52, v11
	s_set_gpr_idx_off
	s_add_i32 s20, s8, -2
	s_set_gpr_idx_on s17, gpr_idx(SRC0)
	v_mov_b32_e32 v53, v11
	s_set_gpr_idx_off
	ds_read2_b32 v[47:48], v41 offset0:4 offset1:5
	s_add_i32 s21, s8, -1
	s_waitcnt lgkmcnt(2)
	v_fmac_f32_e32 v39, v49, v43
	s_set_gpr_idx_on s20, gpr_idx(SRC0)
	v_mov_b32_e32 v49, v11
	s_set_gpr_idx_off
	v_fmac_f32_e32 v39, v50, v44
	s_set_gpr_idx_on s21, gpr_idx(SRC0)
	v_mov_b32_e32 v50, v11
	s_set_gpr_idx_off
	ds_read2_b32 v[43:44], v41 offset0:6 offset1:7
	s_waitcnt lgkmcnt(2)
	v_fmac_f32_e32 v39, v51, v45
	s_set_gpr_idx_on s8, gpr_idx(SRC0)
	v_mov_b32_e32 v45, v11
	s_set_gpr_idx_off
	v_fmac_f32_e32 v39, v52, v46
	s_add_u32 s8, s8, 8
	s_waitcnt lgkmcnt(1)
	v_fmac_f32_e32 v39, v53, v47
	v_add_u32_e32 v41, s8, v42
	v_fmac_f32_e32 v39, v49, v48
	s_addc_u32 s9, s9, 0
	s_add_i32 s12, s12, 32
	s_add_i32 s13, s8, -7
	v_cmp_eq_u32_e32 vcc, 10, v41
	s_waitcnt lgkmcnt(0)
	v_fmac_f32_e32 v39, v50, v43
	v_mov_b32_e32 v41, s13
	s_or_b64 s[10:11], vcc, s[10:11]
	v_fmac_f32_e32 v39, v45, v44
	s_andn2_b64 exec, exec, s[10:11]
	s_cbranch_execnz .LBB72_73
; %bb.74:
	s_or_b64 exec, exec, s[10:11]
.LBB72_75:
	s_or_b64 exec, exec, s[2:3]
	v_and_b32_e32 v40, 7, v40
	v_cmp_ne_u32_e32 vcc, 0, v40
	s_and_saveexec_b64 s[8:9], vcc
	s_cbranch_execz .LBB72_79
; %bb.76:
	v_lshl_add_u32 v42, v41, 2, 48
	v_mov_b32_e32 v43, 0
	s_mov_b64 s[10:11], 0
.LBB72_77:                              ; =>This Inner Loop Header: Depth=1
	v_cmp_eq_u32_e32 vcc, 1, v41
	v_cndmask_b32_e32 v44, v11, v12, vcc
	v_add_u32_e32 v40, -1, v40
	v_cmp_eq_u32_e32 vcc, 2, v41
	v_cndmask_b32_e32 v44, v44, v13, vcc
	v_cmp_eq_u32_e32 vcc, 0, v40
	v_cmp_eq_u32_e64 s[2:3], 3, v41
	v_cndmask_b32_e64 v44, v44, v14, s[2:3]
	s_or_b64 s[10:11], vcc, s[10:11]
	v_cmp_eq_u32_e32 vcc, 4, v41
	ds_read_b32 v45, v42
	v_cndmask_b32_e32 v44, v44, v15, vcc
	v_cmp_eq_u32_e32 vcc, 5, v41
	v_cndmask_b32_e32 v44, v44, v16, vcc
	v_cmp_eq_u32_e32 vcc, 6, v41
	;; [unrolled: 2-line block ×4, first 2 shown]
	v_add_co_u32_e64 v41, s[2:3], 1, v41
	v_cndmask_b32_e32 v44, v44, v19, vcc
	v_add_u32_e32 v42, 4, v42
	v_addc_co_u32_e64 v43, s[2:3], 0, v43, s[2:3]
	s_waitcnt lgkmcnt(0)
	v_fmac_f32_e32 v39, v44, v45
	s_andn2_b64 exec, exec, s[10:11]
	s_cbranch_execnz .LBB72_77
; %bb.78:
	s_or_b64 exec, exec, s[10:11]
.LBB72_79:
	s_or_b64 exec, exec, s[8:9]
.LBB72_80:
	s_or_b64 exec, exec, s[6:7]
	v_mov_b32_e32 v13, 0
	ds_read_b32 v13, v13 offset:8
	s_waitcnt lgkmcnt(0)
	v_mul_f32_e32 v13, v39, v13
.LBB72_81:
	s_or_b64 exec, exec, s[4:5]
	v_cmp_lt_u32_e64 s[2:3], 1, v0
	ds_write_b32 v38, v12
	s_waitcnt lgkmcnt(0)
	; wave barrier
	s_and_saveexec_b64 s[4:5], s[2:3]
	s_cbranch_execz .LBB72_97
; %bb.82:
	s_andn2_b64 vcc, exec, s[18:19]
	s_cbranch_vccnz .LBB72_84
; %bb.83:
	v_cmp_eq_u32_e32 vcc, 1, v0
	v_cndmask_b32_e32 v39, v11, v12, vcc
	v_cmp_eq_u32_e32 vcc, 2, v0
	v_cndmask_b32_e32 v39, v39, v13, vcc
	v_cmp_eq_u32_e32 vcc, 3, v0
	v_cndmask_b32_e32 v39, v39, v14, vcc
	v_cmp_eq_u32_e32 vcc, 4, v0
	v_cndmask_b32_e32 v39, v39, v15, vcc
	v_cmp_eq_u32_e32 vcc, 5, v0
	ds_read_b32 v40, v38
	v_cndmask_b32_e32 v39, v39, v16, vcc
	v_cmp_eq_u32_e32 vcc, 6, v0
	v_cndmask_b32_e32 v39, v39, v17, vcc
	v_cmp_eq_u32_e32 vcc, 7, v0
	;; [unrolled: 2-line block ×3, first 2 shown]
	v_cndmask_b32_e32 v39, v39, v19, vcc
	s_waitcnt lgkmcnt(0)
	v_mul_f32_e32 v39, v39, v40
	s_cbranch_execz .LBB72_85
	s_branch .LBB72_86
.LBB72_84:
                                        ; implicit-def: $vgpr39
.LBB72_85:
	ds_read_b32 v39, v38
.LBB72_86:
	s_and_saveexec_b64 s[6:7], s[0:1]
	s_cbranch_execz .LBB72_96
; %bb.87:
	v_add_u32_e32 v40, -3, v0
	v_add_u32_e32 v41, -2, v0
	v_cmp_lt_u32_e32 vcc, 6, v40
	v_mov_b32_e32 v40, 2
	s_and_saveexec_b64 s[0:1], vcc
	s_cbranch_execz .LBB72_91
; %bb.88:
	v_and_b32_e32 v40, -8, v41
	v_sub_u32_e32 v42, 0, v40
	s_mov_b64 s[8:9], 9
	s_mov_b32 s12, 56
	s_mov_b64 s[10:11], 0
.LBB72_89:                              ; =>This Inner Loop Header: Depth=1
	s_add_i32 s13, s8, -7
	v_mov_b32_e32 v40, s12
	s_add_i32 s14, s8, -6
	s_set_gpr_idx_on s13, gpr_idx(SRC0)
	v_mov_b32_e32 v51, v11
	s_set_gpr_idx_off
	ds_read2_b64 v[43:46], v40 offset1:1
	s_add_i32 s15, s8, -5
	s_set_gpr_idx_on s14, gpr_idx(SRC0)
	v_mov_b32_e32 v52, v11
	s_set_gpr_idx_off
	s_add_i32 s16, s8, -4
	s_set_gpr_idx_on s15, gpr_idx(SRC0)
	v_mov_b32_e32 v53, v11
	s_set_gpr_idx_off
	;; [unrolled: 4-line block ×4, first 2 shown]
	ds_read2_b64 v[47:50], v40 offset0:2 offset1:3
	s_add_i32 s21, s8, -1
	s_waitcnt lgkmcnt(1)
	v_fmac_f32_e32 v39, v51, v43
	s_set_gpr_idx_on s20, gpr_idx(SRC0)
	v_mov_b32_e32 v43, v11
	s_set_gpr_idx_off
	v_fmac_f32_e32 v39, v52, v44
	s_set_gpr_idx_on s21, gpr_idx(SRC0)
	v_mov_b32_e32 v44, v11
	s_set_gpr_idx_off
	;; [unrolled: 4-line block ×3, first 2 shown]
	v_fmac_f32_e32 v39, v54, v46
	s_add_u32 s8, s8, 8
	s_waitcnt lgkmcnt(0)
	v_fmac_f32_e32 v39, v55, v47
	v_add_u32_e32 v40, s8, v42
	v_fmac_f32_e32 v39, v43, v48
	s_addc_u32 s9, s9, 0
	s_add_i32 s12, s12, 32
	s_add_i32 s13, s8, -7
	v_cmp_eq_u32_e32 vcc, 9, v40
	v_fmac_f32_e32 v39, v44, v49
	v_mov_b32_e32 v40, s13
	s_or_b64 s[10:11], vcc, s[10:11]
	v_fmac_f32_e32 v39, v45, v50
	s_andn2_b64 exec, exec, s[10:11]
	s_cbranch_execnz .LBB72_89
; %bb.90:
	s_or_b64 exec, exec, s[10:11]
.LBB72_91:
	s_or_b64 exec, exec, s[0:1]
	v_and_b32_e32 v41, 7, v41
	v_cmp_ne_u32_e32 vcc, 0, v41
	s_and_saveexec_b64 s[8:9], vcc
	s_cbranch_execz .LBB72_95
; %bb.92:
	v_lshl_add_u32 v42, v40, 2, 48
	v_mov_b32_e32 v43, 0
	s_mov_b64 s[10:11], 0
.LBB72_93:                              ; =>This Inner Loop Header: Depth=1
	v_cmp_eq_u32_e32 vcc, 1, v40
	v_cndmask_b32_e32 v44, v11, v12, vcc
	v_add_u32_e32 v41, -1, v41
	v_cmp_eq_u32_e32 vcc, 2, v40
	v_cndmask_b32_e32 v44, v44, v13, vcc
	v_cmp_eq_u32_e32 vcc, 0, v41
	v_cmp_eq_u32_e64 s[0:1], 3, v40
	v_cndmask_b32_e64 v44, v44, v14, s[0:1]
	s_or_b64 s[10:11], vcc, s[10:11]
	v_cmp_eq_u32_e32 vcc, 4, v40
	ds_read_b32 v45, v42
	v_cndmask_b32_e32 v44, v44, v15, vcc
	v_cmp_eq_u32_e32 vcc, 5, v40
	v_cndmask_b32_e32 v44, v44, v16, vcc
	v_cmp_eq_u32_e32 vcc, 6, v40
	;; [unrolled: 2-line block ×4, first 2 shown]
	v_add_co_u32_e64 v40, s[0:1], 1, v40
	v_cndmask_b32_e32 v44, v44, v19, vcc
	v_add_u32_e32 v42, 4, v42
	v_addc_co_u32_e64 v43, s[0:1], 0, v43, s[0:1]
	s_waitcnt lgkmcnt(0)
	v_fmac_f32_e32 v39, v44, v45
	s_andn2_b64 exec, exec, s[10:11]
	s_cbranch_execnz .LBB72_93
; %bb.94:
	s_or_b64 exec, exec, s[10:11]
.LBB72_95:
	s_or_b64 exec, exec, s[8:9]
.LBB72_96:
	s_or_b64 exec, exec, s[6:7]
	v_mov_b32_e32 v12, 0
	ds_read_b32 v12, v12 offset:4
	s_waitcnt lgkmcnt(0)
	v_mul_f32_e32 v12, v39, v12
.LBB72_97:
	s_or_b64 exec, exec, s[4:5]
	v_cmp_ne_u32_e32 vcc, 0, v0
	ds_write_b32 v38, v11
	s_waitcnt lgkmcnt(0)
	; wave barrier
	s_and_saveexec_b64 s[4:5], vcc
	s_cbranch_execz .LBB72_113
; %bb.98:
	s_andn2_b64 vcc, exec, s[18:19]
	s_cbranch_vccnz .LBB72_100
; %bb.99:
	v_cmp_eq_u32_e32 vcc, 1, v0
	v_cndmask_b32_e32 v39, v11, v12, vcc
	v_cmp_eq_u32_e32 vcc, 2, v0
	v_cndmask_b32_e32 v39, v39, v13, vcc
	;; [unrolled: 2-line block ×4, first 2 shown]
	v_cmp_eq_u32_e32 vcc, 5, v0
	ds_read_b32 v40, v38
	v_cndmask_b32_e32 v39, v39, v16, vcc
	v_cmp_eq_u32_e32 vcc, 6, v0
	v_cndmask_b32_e32 v39, v39, v17, vcc
	v_cmp_eq_u32_e32 vcc, 7, v0
	;; [unrolled: 2-line block ×3, first 2 shown]
	v_cndmask_b32_e32 v39, v39, v19, vcc
	s_waitcnt lgkmcnt(0)
	v_mul_f32_e32 v39, v39, v40
	s_cbranch_execz .LBB72_101
	s_branch .LBB72_102
.LBB72_100:
                                        ; implicit-def: $vgpr39
.LBB72_101:
	ds_read_b32 v39, v38
.LBB72_102:
	s_and_saveexec_b64 s[6:7], s[2:3]
	s_cbranch_execz .LBB72_112
; %bb.103:
	v_add_u32_e32 v41, -2, v0
	v_add_u32_e32 v40, -1, v0
	v_cmp_lt_u32_e32 vcc, 6, v41
	v_mov_b32_e32 v41, 1
	s_and_saveexec_b64 s[0:1], vcc
	s_cbranch_execz .LBB72_107
; %bb.104:
	v_and_b32_e32 v41, -8, v40
	v_sub_u32_e32 v42, 0, v41
	s_mov_b64 s[2:3], 8
	s_mov_b32 s10, 52
	s_mov_b64 s[8:9], 0
.LBB72_105:                             ; =>This Inner Loop Header: Depth=1
	s_add_i32 s11, s2, -7
	v_mov_b32_e32 v41, s10
	s_add_i32 s12, s2, -6
	s_set_gpr_idx_on s11, gpr_idx(SRC0)
	v_mov_b32_e32 v49, v11
	s_set_gpr_idx_off
	ds_read2_b32 v[43:44], v41 offset1:1
	s_add_i32 s13, s2, -5
	s_set_gpr_idx_on s12, gpr_idx(SRC0)
	v_mov_b32_e32 v50, v11
	s_set_gpr_idx_off
	s_add_i32 s14, s2, -4
	s_set_gpr_idx_on s13, gpr_idx(SRC0)
	v_mov_b32_e32 v51, v11
	s_set_gpr_idx_off
	ds_read2_b32 v[45:46], v41 offset0:2 offset1:3
	s_add_i32 s15, s2, -3
	s_set_gpr_idx_on s14, gpr_idx(SRC0)
	v_mov_b32_e32 v52, v11
	s_set_gpr_idx_off
	s_add_i32 s16, s2, -2
	s_set_gpr_idx_on s15, gpr_idx(SRC0)
	v_mov_b32_e32 v53, v11
	s_set_gpr_idx_off
	ds_read2_b32 v[47:48], v41 offset0:4 offset1:5
	s_add_i32 s17, s2, -1
	s_waitcnt lgkmcnt(2)
	v_fmac_f32_e32 v39, v49, v43
	s_set_gpr_idx_on s16, gpr_idx(SRC0)
	v_mov_b32_e32 v49, v11
	s_set_gpr_idx_off
	v_fmac_f32_e32 v39, v50, v44
	s_set_gpr_idx_on s17, gpr_idx(SRC0)
	v_mov_b32_e32 v50, v11
	s_set_gpr_idx_off
	ds_read2_b32 v[43:44], v41 offset0:6 offset1:7
	s_waitcnt lgkmcnt(2)
	v_fmac_f32_e32 v39, v51, v45
	s_set_gpr_idx_on s2, gpr_idx(SRC0)
	v_mov_b32_e32 v45, v11
	s_set_gpr_idx_off
	v_fmac_f32_e32 v39, v52, v46
	s_add_u32 s2, s2, 8
	s_waitcnt lgkmcnt(1)
	v_fmac_f32_e32 v39, v53, v47
	v_add_u32_e32 v41, s2, v42
	v_fmac_f32_e32 v39, v49, v48
	s_addc_u32 s3, s3, 0
	s_add_i32 s10, s10, 32
	s_add_i32 s11, s2, -7
	v_cmp_eq_u32_e32 vcc, 8, v41
	s_waitcnt lgkmcnt(0)
	v_fmac_f32_e32 v39, v50, v43
	v_mov_b32_e32 v41, s11
	s_or_b64 s[8:9], vcc, s[8:9]
	v_fmac_f32_e32 v39, v45, v44
	s_andn2_b64 exec, exec, s[8:9]
	s_cbranch_execnz .LBB72_105
; %bb.106:
	s_or_b64 exec, exec, s[8:9]
.LBB72_107:
	s_or_b64 exec, exec, s[0:1]
	v_and_b32_e32 v40, 7, v40
	v_cmp_ne_u32_e32 vcc, 0, v40
	s_and_saveexec_b64 s[2:3], vcc
	s_cbranch_execz .LBB72_111
; %bb.108:
	v_lshl_add_u32 v42, v41, 2, 48
	v_mov_b32_e32 v43, 0
	s_mov_b64 s[8:9], 0
.LBB72_109:                             ; =>This Inner Loop Header: Depth=1
	v_cmp_eq_u32_e32 vcc, 1, v41
	v_cndmask_b32_e32 v44, v11, v12, vcc
	v_add_u32_e32 v40, -1, v40
	v_cmp_eq_u32_e32 vcc, 2, v41
	v_cndmask_b32_e32 v44, v44, v13, vcc
	v_cmp_eq_u32_e32 vcc, 0, v40
	v_cmp_eq_u32_e64 s[0:1], 3, v41
	v_cndmask_b32_e64 v44, v44, v14, s[0:1]
	s_or_b64 s[8:9], vcc, s[8:9]
	v_cmp_eq_u32_e32 vcc, 4, v41
	ds_read_b32 v45, v42
	v_cndmask_b32_e32 v44, v44, v15, vcc
	v_cmp_eq_u32_e32 vcc, 5, v41
	v_cndmask_b32_e32 v44, v44, v16, vcc
	v_cmp_eq_u32_e32 vcc, 6, v41
	;; [unrolled: 2-line block ×4, first 2 shown]
	v_add_co_u32_e64 v41, s[0:1], 1, v41
	v_cndmask_b32_e32 v44, v44, v19, vcc
	v_add_u32_e32 v42, 4, v42
	v_addc_co_u32_e64 v43, s[0:1], 0, v43, s[0:1]
	s_waitcnt lgkmcnt(0)
	v_fmac_f32_e32 v39, v44, v45
	s_andn2_b64 exec, exec, s[8:9]
	s_cbranch_execnz .LBB72_109
; %bb.110:
	s_or_b64 exec, exec, s[8:9]
.LBB72_111:
	s_or_b64 exec, exec, s[2:3]
.LBB72_112:
	s_or_b64 exec, exec, s[6:7]
	v_mov_b32_e32 v11, 0
	ds_read_b32 v11, v11
	s_waitcnt lgkmcnt(0)
	v_mul_f32_e32 v11, v39, v11
.LBB72_113:
	s_or_b64 exec, exec, s[4:5]
	s_branch .LBB72_185
.LBB72_114:
	v_cmp_eq_u32_e64 s[2:3], 0, v0
	s_waitcnt vmcnt(0) lgkmcnt(0)
	ds_write_b32 v38, v3
	s_waitcnt lgkmcnt(0)
	; wave barrier
	s_and_saveexec_b64 s[0:1], s[2:3]
	s_cbranch_execz .LBB72_120
; %bb.115:
	s_and_b64 vcc, exec, s[18:19]
	s_cbranch_vccz .LBB72_117
; %bb.116:
	v_cmp_eq_u32_e32 vcc, 1, v0
	v_cndmask_b32_e32 v3, v2, v3, vcc
	v_cmp_eq_u32_e32 vcc, 2, v0
	v_cndmask_b32_e32 v3, v3, v4, vcc
	;; [unrolled: 2-line block ×4, first 2 shown]
	v_cmp_eq_u32_e32 vcc, 5, v0
	ds_read_b32 v11, v38
	v_cndmask_b32_e32 v3, v3, v7, vcc
	v_cmp_eq_u32_e32 vcc, 6, v0
	v_cndmask_b32_e32 v3, v3, v8, vcc
	v_cmp_eq_u32_e32 vcc, 7, v0
	;; [unrolled: 2-line block ×3, first 2 shown]
	v_cndmask_b32_e32 v3, v3, v10, vcc
	s_waitcnt lgkmcnt(0)
	v_mul_f32_e32 v3, v3, v11
	s_cbranch_execz .LBB72_118
	s_branch .LBB72_119
.LBB72_117:
                                        ; implicit-def: $vgpr3
.LBB72_118:
	ds_read_b32 v3, v38
.LBB72_119:
	v_mov_b32_e32 v11, 0
	ds_read_b32 v11, v11 offset:4
	s_waitcnt lgkmcnt(0)
	v_mul_f32_e32 v3, v3, v11
.LBB72_120:
	s_or_b64 exec, exec, s[0:1]
	v_cndmask_b32_e64 v11, 0, 1, s[18:19]
	v_cmp_gt_u32_e32 vcc, 2, v0
	v_cmp_ne_u32_e64 s[0:1], 1, v11
	ds_write_b32 v38, v4
	s_waitcnt lgkmcnt(0)
	; wave barrier
	s_and_saveexec_b64 s[4:5], vcc
	s_cbranch_execz .LBB72_126
; %bb.121:
	s_and_b64 vcc, exec, s[0:1]
	s_cbranch_vccnz .LBB72_123
; %bb.122:
	v_cmp_eq_u32_e32 vcc, 1, v0
	v_cndmask_b32_e32 v11, v2, v3, vcc
	v_cmp_eq_u32_e32 vcc, 2, v0
	v_cndmask_b32_e32 v4, v11, v4, vcc
	;; [unrolled: 2-line block ×4, first 2 shown]
	v_cmp_eq_u32_e32 vcc, 5, v0
	ds_read_b32 v11, v38
	v_cndmask_b32_e32 v4, v4, v7, vcc
	v_cmp_eq_u32_e32 vcc, 6, v0
	v_cndmask_b32_e32 v4, v4, v8, vcc
	v_cmp_eq_u32_e32 vcc, 7, v0
	;; [unrolled: 2-line block ×3, first 2 shown]
	v_cndmask_b32_e32 v4, v4, v10, vcc
	s_waitcnt lgkmcnt(0)
	v_mul_f32_e32 v4, v4, v11
	s_cbranch_execz .LBB72_124
	s_branch .LBB72_125
.LBB72_123:
                                        ; implicit-def: $vgpr4
.LBB72_124:
	ds_read_b32 v4, v38
.LBB72_125:
	v_mov_b32_e32 v11, 0
	ds_read2_b32 v[11:12], v11 offset0:2 offset1:13
	s_waitcnt lgkmcnt(0)
	v_fma_f32 v12, v3, v12, v4
	v_cndmask_b32_e64 v4, v4, v12, s[2:3]
	v_mul_f32_e32 v4, v4, v11
.LBB72_126:
	s_or_b64 exec, exec, s[4:5]
	v_cmp_gt_u32_e32 vcc, 3, v0
	ds_write_b32 v38, v5
	s_waitcnt lgkmcnt(0)
	; wave barrier
	s_and_saveexec_b64 s[4:5], vcc
	s_cbranch_execz .LBB72_134
; %bb.127:
	s_and_b64 vcc, exec, s[0:1]
	s_cbranch_vccnz .LBB72_129
; %bb.128:
	v_cmp_eq_u32_e32 vcc, 1, v0
	v_cndmask_b32_e32 v11, v2, v3, vcc
	v_cmp_eq_u32_e32 vcc, 2, v0
	v_cndmask_b32_e32 v11, v11, v4, vcc
	;; [unrolled: 2-line block ×4, first 2 shown]
	v_cmp_eq_u32_e32 vcc, 5, v0
	ds_read_b32 v12, v38
	v_cndmask_b32_e32 v11, v11, v7, vcc
	v_cmp_eq_u32_e32 vcc, 6, v0
	v_cndmask_b32_e32 v11, v11, v8, vcc
	v_cmp_eq_u32_e32 vcc, 7, v0
	;; [unrolled: 2-line block ×3, first 2 shown]
	v_cndmask_b32_e32 v11, v11, v10, vcc
	s_waitcnt lgkmcnt(0)
	v_mul_f32_e32 v11, v11, v12
	s_cbranch_execz .LBB72_130
	s_branch .LBB72_131
.LBB72_129:
                                        ; implicit-def: $vgpr11
.LBB72_130:
	ds_read_b32 v11, v38
.LBB72_131:
	v_cmp_ne_u32_e32 vcc, 2, v0
	s_and_saveexec_b64 s[6:7], vcc
	s_cbranch_execz .LBB72_133
; %bb.132:
	v_add_u32_e32 v12, 1, v0
	v_cmp_eq_u32_e32 vcc, 1, v12
	v_cndmask_b32_e32 v13, v2, v3, vcc
	v_cmp_eq_u32_e32 vcc, 2, v12
	v_cndmask_b32_e32 v13, v13, v4, vcc
	;; [unrolled: 2-line block ×4, first 2 shown]
	v_cmp_eq_u32_e32 vcc, 5, v12
	v_mov_b32_e32 v13, 0
	v_cndmask_b32_e32 v5, v5, v7, vcc
	v_cmp_eq_u32_e32 vcc, 6, v12
	ds_read_b32 v14, v38 offset:4
	ds_read_b32 v13, v13 offset:56
	v_cndmask_b32_e32 v5, v5, v8, vcc
	v_cmp_eq_u32_e32 vcc, 7, v12
	v_cndmask_b32_e32 v5, v5, v9, vcc
	v_cmp_eq_u32_e32 vcc, 8, v12
	v_cndmask_b32_e32 v5, v5, v10, vcc
	s_waitcnt lgkmcnt(1)
	v_fmac_f32_e32 v11, v5, v14
	s_waitcnt lgkmcnt(0)
	v_fma_f32 v5, v4, v13, v11
	v_cndmask_b32_e64 v11, v11, v5, s[2:3]
.LBB72_133:
	s_or_b64 exec, exec, s[6:7]
	v_mov_b32_e32 v5, 0
	ds_read_b32 v5, v5 offset:12
	s_waitcnt lgkmcnt(0)
	v_mul_f32_e32 v5, v11, v5
.LBB72_134:
	s_or_b64 exec, exec, s[4:5]
	v_cmp_gt_u32_e32 vcc, 4, v0
	ds_write_b32 v38, v6
	s_waitcnt lgkmcnt(0)
	; wave barrier
	s_and_saveexec_b64 s[4:5], vcc
	s_cbranch_execz .LBB72_144
; %bb.135:
	s_and_b64 vcc, exec, s[0:1]
	s_cbranch_vccnz .LBB72_137
; %bb.136:
	v_cmp_eq_u32_e32 vcc, 1, v0
	v_cndmask_b32_e32 v11, v2, v3, vcc
	v_cmp_eq_u32_e32 vcc, 2, v0
	v_cndmask_b32_e32 v11, v11, v4, vcc
	;; [unrolled: 2-line block ×4, first 2 shown]
	v_cmp_eq_u32_e32 vcc, 5, v0
	ds_read_b32 v12, v38
	v_cndmask_b32_e32 v11, v11, v7, vcc
	v_cmp_eq_u32_e32 vcc, 6, v0
	v_cndmask_b32_e32 v11, v11, v8, vcc
	v_cmp_eq_u32_e32 vcc, 7, v0
	v_cndmask_b32_e32 v11, v11, v9, vcc
	v_cmp_eq_u32_e32 vcc, 8, v0
	v_cndmask_b32_e32 v11, v11, v10, vcc
	s_waitcnt lgkmcnt(0)
	v_mul_f32_e32 v13, v11, v12
	s_cbranch_execz .LBB72_138
	s_branch .LBB72_139
.LBB72_137:
                                        ; implicit-def: $vgpr13
.LBB72_138:
	ds_read_b32 v13, v38
.LBB72_139:
	v_cmp_ne_u32_e32 vcc, 3, v0
	s_and_saveexec_b64 s[6:7], vcc
	s_cbranch_execz .LBB72_143
; %bb.140:
	v_mov_b32_e32 v12, v1
	v_lshl_add_u32 v14, v0, 2, 52
	s_mov_b64 s[8:9], 0
	v_mov_b32_e32 v11, v0
.LBB72_141:                             ; =>This Inner Loop Header: Depth=1
	v_add_co_u32_e32 v11, vcc, 1, v11
	v_addc_co_u32_e32 v12, vcc, 0, v12, vcc
	v_cmp_eq_u32_e32 vcc, 1, v11
	v_cndmask_b32_e32 v16, v2, v3, vcc
	v_cmp_lt_u32_e32 vcc, 2, v11
	v_cmp_eq_u32_e64 s[2:3], 2, v11
	v_cndmask_b32_e64 v16, v16, v4, s[2:3]
	s_or_b64 s[8:9], vcc, s[8:9]
	v_cmp_eq_u32_e32 vcc, 3, v11
	v_cndmask_b32_e32 v16, v16, v5, vcc
	v_cmp_eq_u32_e32 vcc, 4, v11
	ds_read_b32 v15, v14
	v_cndmask_b32_e32 v16, v16, v6, vcc
	v_cmp_eq_u32_e32 vcc, 5, v11
	v_cndmask_b32_e32 v16, v16, v7, vcc
	v_cmp_eq_u32_e32 vcc, 6, v11
	;; [unrolled: 2-line block ×4, first 2 shown]
	v_cndmask_b32_e32 v16, v16, v10, vcc
	v_add_u32_e32 v14, 4, v14
	s_waitcnt lgkmcnt(0)
	v_fmac_f32_e32 v13, v16, v15
	s_andn2_b64 exec, exec, s[8:9]
	s_cbranch_execnz .LBB72_141
; %bb.142:
	s_or_b64 exec, exec, s[8:9]
.LBB72_143:
	s_or_b64 exec, exec, s[6:7]
	v_mov_b32_e32 v6, 0
	ds_read_b32 v6, v6 offset:16
	s_waitcnt lgkmcnt(0)
	v_mul_f32_e32 v6, v13, v6
.LBB72_144:
	s_or_b64 exec, exec, s[4:5]
	v_cmp_gt_u32_e32 vcc, 5, v0
	ds_write_b32 v38, v7
	s_waitcnt lgkmcnt(0)
	; wave barrier
	s_and_saveexec_b64 s[4:5], vcc
	s_cbranch_execz .LBB72_154
; %bb.145:
	s_and_b64 vcc, exec, s[0:1]
	s_cbranch_vccnz .LBB72_147
; %bb.146:
	v_cmp_eq_u32_e32 vcc, 1, v0
	v_cndmask_b32_e32 v11, v2, v3, vcc
	v_cmp_eq_u32_e32 vcc, 2, v0
	v_cndmask_b32_e32 v11, v11, v4, vcc
	;; [unrolled: 2-line block ×4, first 2 shown]
	v_cmp_eq_u32_e32 vcc, 5, v0
	ds_read_b32 v12, v38
	v_cndmask_b32_e32 v11, v11, v7, vcc
	v_cmp_eq_u32_e32 vcc, 6, v0
	v_cndmask_b32_e32 v11, v11, v8, vcc
	v_cmp_eq_u32_e32 vcc, 7, v0
	;; [unrolled: 2-line block ×3, first 2 shown]
	v_cndmask_b32_e32 v11, v11, v10, vcc
	s_waitcnt lgkmcnt(0)
	v_mul_f32_e32 v13, v11, v12
	s_cbranch_execz .LBB72_148
	s_branch .LBB72_149
.LBB72_147:
                                        ; implicit-def: $vgpr13
.LBB72_148:
	ds_read_b32 v13, v38
.LBB72_149:
	v_cmp_ne_u32_e32 vcc, 4, v0
	s_and_saveexec_b64 s[6:7], vcc
	s_cbranch_execz .LBB72_153
; %bb.150:
	v_mov_b32_e32 v12, v1
	v_lshl_add_u32 v14, v0, 2, 52
	s_mov_b64 s[8:9], 0
	v_mov_b32_e32 v11, v0
.LBB72_151:                             ; =>This Inner Loop Header: Depth=1
	v_add_co_u32_e32 v11, vcc, 1, v11
	v_addc_co_u32_e32 v12, vcc, 0, v12, vcc
	v_cmp_eq_u32_e32 vcc, 1, v11
	v_cndmask_b32_e32 v16, v2, v3, vcc
	v_cmp_lt_u32_e32 vcc, 3, v11
	v_cmp_eq_u32_e64 s[2:3], 2, v11
	v_cndmask_b32_e64 v16, v16, v4, s[2:3]
	s_or_b64 s[8:9], vcc, s[8:9]
	v_cmp_eq_u32_e32 vcc, 3, v11
	v_cndmask_b32_e32 v16, v16, v5, vcc
	v_cmp_eq_u32_e32 vcc, 4, v11
	ds_read_b32 v15, v14
	v_cndmask_b32_e32 v16, v16, v6, vcc
	v_cmp_eq_u32_e32 vcc, 5, v11
	v_cndmask_b32_e32 v16, v16, v7, vcc
	v_cmp_eq_u32_e32 vcc, 6, v11
	;; [unrolled: 2-line block ×4, first 2 shown]
	v_cndmask_b32_e32 v16, v16, v10, vcc
	v_add_u32_e32 v14, 4, v14
	s_waitcnt lgkmcnt(0)
	v_fmac_f32_e32 v13, v16, v15
	s_andn2_b64 exec, exec, s[8:9]
	s_cbranch_execnz .LBB72_151
; %bb.152:
	s_or_b64 exec, exec, s[8:9]
.LBB72_153:
	s_or_b64 exec, exec, s[6:7]
	v_mov_b32_e32 v7, 0
	ds_read_b32 v7, v7 offset:20
	s_waitcnt lgkmcnt(0)
	v_mul_f32_e32 v7, v13, v7
.LBB72_154:
	s_or_b64 exec, exec, s[4:5]
	v_cmp_gt_u32_e32 vcc, 6, v0
	ds_write_b32 v38, v8
	s_waitcnt lgkmcnt(0)
	; wave barrier
	s_and_saveexec_b64 s[4:5], vcc
	s_cbranch_execz .LBB72_164
; %bb.155:
	s_and_b64 vcc, exec, s[0:1]
	s_cbranch_vccnz .LBB72_157
; %bb.156:
	v_cmp_eq_u32_e32 vcc, 1, v0
	v_cndmask_b32_e32 v11, v2, v3, vcc
	v_cmp_eq_u32_e32 vcc, 2, v0
	v_cndmask_b32_e32 v11, v11, v4, vcc
	v_cmp_eq_u32_e32 vcc, 3, v0
	v_cndmask_b32_e32 v11, v11, v5, vcc
	v_cmp_eq_u32_e32 vcc, 4, v0
	v_cndmask_b32_e32 v11, v11, v6, vcc
	v_cmp_eq_u32_e32 vcc, 5, v0
	ds_read_b32 v12, v38
	v_cndmask_b32_e32 v11, v11, v7, vcc
	v_cmp_eq_u32_e32 vcc, 6, v0
	v_cndmask_b32_e32 v11, v11, v8, vcc
	v_cmp_eq_u32_e32 vcc, 7, v0
	;; [unrolled: 2-line block ×3, first 2 shown]
	v_cndmask_b32_e32 v11, v11, v10, vcc
	s_waitcnt lgkmcnt(0)
	v_mul_f32_e32 v13, v11, v12
	s_cbranch_execz .LBB72_158
	s_branch .LBB72_159
.LBB72_157:
                                        ; implicit-def: $vgpr13
.LBB72_158:
	ds_read_b32 v13, v38
.LBB72_159:
	v_cmp_ne_u32_e32 vcc, 5, v0
	s_and_saveexec_b64 s[6:7], vcc
	s_cbranch_execz .LBB72_163
; %bb.160:
	v_mov_b32_e32 v12, v1
	v_lshl_add_u32 v14, v0, 2, 52
	s_mov_b64 s[8:9], 0
	v_mov_b32_e32 v11, v0
.LBB72_161:                             ; =>This Inner Loop Header: Depth=1
	v_add_co_u32_e32 v11, vcc, 1, v11
	v_addc_co_u32_e32 v12, vcc, 0, v12, vcc
	v_cmp_eq_u32_e32 vcc, 1, v11
	v_cndmask_b32_e32 v16, v2, v3, vcc
	v_cmp_lt_u32_e32 vcc, 4, v11
	v_cmp_eq_u32_e64 s[2:3], 2, v11
	v_cndmask_b32_e64 v16, v16, v4, s[2:3]
	s_or_b64 s[8:9], vcc, s[8:9]
	v_cmp_eq_u32_e32 vcc, 3, v11
	v_cndmask_b32_e32 v16, v16, v5, vcc
	v_cmp_eq_u32_e32 vcc, 4, v11
	ds_read_b32 v15, v14
	v_cndmask_b32_e32 v16, v16, v6, vcc
	v_cmp_eq_u32_e32 vcc, 5, v11
	v_cndmask_b32_e32 v16, v16, v7, vcc
	v_cmp_eq_u32_e32 vcc, 6, v11
	;; [unrolled: 2-line block ×4, first 2 shown]
	v_cndmask_b32_e32 v16, v16, v10, vcc
	v_add_u32_e32 v14, 4, v14
	s_waitcnt lgkmcnt(0)
	v_fmac_f32_e32 v13, v16, v15
	s_andn2_b64 exec, exec, s[8:9]
	s_cbranch_execnz .LBB72_161
; %bb.162:
	s_or_b64 exec, exec, s[8:9]
.LBB72_163:
	s_or_b64 exec, exec, s[6:7]
	v_mov_b32_e32 v8, 0
	ds_read_b32 v8, v8 offset:24
	s_waitcnt lgkmcnt(0)
	v_mul_f32_e32 v8, v13, v8
.LBB72_164:
	s_or_b64 exec, exec, s[4:5]
	v_cmp_gt_u32_e64 s[2:3], 7, v0
	ds_write_b32 v38, v9
	s_waitcnt lgkmcnt(0)
	; wave barrier
	s_and_saveexec_b64 s[6:7], s[2:3]
	s_cbranch_execz .LBB72_174
; %bb.165:
	s_and_b64 vcc, exec, s[0:1]
	s_cbranch_vccnz .LBB72_167
; %bb.166:
	v_cmp_eq_u32_e32 vcc, 1, v0
	v_cndmask_b32_e32 v11, v2, v3, vcc
	v_cmp_eq_u32_e32 vcc, 2, v0
	v_cndmask_b32_e32 v11, v11, v4, vcc
	;; [unrolled: 2-line block ×4, first 2 shown]
	v_cmp_eq_u32_e32 vcc, 5, v0
	ds_read_b32 v12, v38
	v_cndmask_b32_e32 v11, v11, v7, vcc
	v_cmp_eq_u32_e32 vcc, 6, v0
	v_cndmask_b32_e32 v11, v11, v8, vcc
	v_cmp_eq_u32_e32 vcc, 7, v0
	;; [unrolled: 2-line block ×3, first 2 shown]
	v_cndmask_b32_e32 v11, v11, v10, vcc
	s_waitcnt lgkmcnt(0)
	v_mul_f32_e32 v13, v11, v12
	s_cbranch_execz .LBB72_168
	s_branch .LBB72_169
.LBB72_167:
                                        ; implicit-def: $vgpr13
.LBB72_168:
	ds_read_b32 v13, v38
.LBB72_169:
	v_cmp_ne_u32_e32 vcc, 6, v0
	s_and_saveexec_b64 s[8:9], vcc
	s_cbranch_execz .LBB72_173
; %bb.170:
	v_mov_b32_e32 v12, v1
	v_lshl_add_u32 v14, v0, 2, 52
	s_mov_b64 s[10:11], 0
	v_mov_b32_e32 v11, v0
.LBB72_171:                             ; =>This Inner Loop Header: Depth=1
	v_add_co_u32_e32 v11, vcc, 1, v11
	v_addc_co_u32_e32 v12, vcc, 0, v12, vcc
	v_cmp_eq_u32_e32 vcc, 1, v11
	v_cndmask_b32_e32 v16, v2, v3, vcc
	v_cmp_lt_u32_e32 vcc, 5, v11
	v_cmp_eq_u32_e64 s[4:5], 2, v11
	v_cndmask_b32_e64 v16, v16, v4, s[4:5]
	s_or_b64 s[10:11], vcc, s[10:11]
	v_cmp_eq_u32_e32 vcc, 3, v11
	v_cndmask_b32_e32 v16, v16, v5, vcc
	v_cmp_eq_u32_e32 vcc, 4, v11
	ds_read_b32 v15, v14
	v_cndmask_b32_e32 v16, v16, v6, vcc
	v_cmp_eq_u32_e32 vcc, 5, v11
	v_cndmask_b32_e32 v16, v16, v7, vcc
	v_cmp_eq_u32_e32 vcc, 6, v11
	;; [unrolled: 2-line block ×4, first 2 shown]
	v_cndmask_b32_e32 v16, v16, v10, vcc
	v_add_u32_e32 v14, 4, v14
	s_waitcnt lgkmcnt(0)
	v_fmac_f32_e32 v13, v16, v15
	s_andn2_b64 exec, exec, s[10:11]
	s_cbranch_execnz .LBB72_171
; %bb.172:
	s_or_b64 exec, exec, s[10:11]
.LBB72_173:
	s_or_b64 exec, exec, s[8:9]
	v_mov_b32_e32 v9, 0
	ds_read_b32 v9, v9 offset:28
	s_waitcnt lgkmcnt(0)
	v_mul_f32_e32 v9, v13, v9
.LBB72_174:
	s_or_b64 exec, exec, s[6:7]
	v_cmp_ne_u32_e32 vcc, 8, v0
	ds_write_b32 v38, v10
	s_waitcnt lgkmcnt(0)
	; wave barrier
	s_and_saveexec_b64 s[4:5], vcc
	s_cbranch_execz .LBB72_184
; %bb.175:
	s_and_b64 vcc, exec, s[0:1]
	s_cbranch_vccnz .LBB72_177
; %bb.176:
	v_cmp_eq_u32_e32 vcc, 1, v0
	v_cndmask_b32_e32 v11, v2, v3, vcc
	v_cmp_eq_u32_e32 vcc, 2, v0
	v_cndmask_b32_e32 v11, v11, v4, vcc
	v_cmp_eq_u32_e32 vcc, 3, v0
	v_cndmask_b32_e32 v11, v11, v5, vcc
	v_cmp_eq_u32_e32 vcc, 4, v0
	v_cndmask_b32_e32 v11, v11, v6, vcc
	v_cmp_eq_u32_e32 vcc, 5, v0
	ds_read_b32 v12, v38
	v_cndmask_b32_e32 v11, v11, v7, vcc
	v_cmp_eq_u32_e32 vcc, 6, v0
	v_cndmask_b32_e32 v11, v11, v8, vcc
	v_cmp_eq_u32_e32 vcc, 7, v0
	;; [unrolled: 2-line block ×3, first 2 shown]
	v_cndmask_b32_e32 v11, v11, v10, vcc
	s_waitcnt lgkmcnt(0)
	v_mul_f32_e32 v11, v11, v12
	s_cbranch_execz .LBB72_178
	s_branch .LBB72_179
.LBB72_177:
                                        ; implicit-def: $vgpr11
.LBB72_178:
	ds_read_b32 v11, v38
.LBB72_179:
	s_and_saveexec_b64 s[6:7], s[2:3]
	s_cbranch_execz .LBB72_183
; %bb.180:
	v_lshl_add_u32 v12, v0, 2, 52
	s_mov_b64 s[2:3], 0
.LBB72_181:                             ; =>This Inner Loop Header: Depth=1
	v_add_co_u32_e32 v0, vcc, 1, v0
	v_addc_co_u32_e32 v1, vcc, 0, v1, vcc
	v_cmp_eq_u32_e32 vcc, 1, v0
	v_cndmask_b32_e32 v14, v2, v3, vcc
	v_cmp_lt_u32_e32 vcc, 6, v0
	v_cmp_eq_u32_e64 s[0:1], 2, v0
	v_cndmask_b32_e64 v14, v14, v4, s[0:1]
	s_or_b64 s[2:3], vcc, s[2:3]
	v_cmp_eq_u32_e32 vcc, 3, v0
	v_cndmask_b32_e32 v14, v14, v5, vcc
	v_cmp_eq_u32_e32 vcc, 4, v0
	ds_read_b32 v13, v12
	v_cndmask_b32_e32 v14, v14, v6, vcc
	v_cmp_eq_u32_e32 vcc, 5, v0
	v_cndmask_b32_e32 v14, v14, v7, vcc
	v_cmp_eq_u32_e32 vcc, 6, v0
	;; [unrolled: 2-line block ×4, first 2 shown]
	v_cndmask_b32_e32 v14, v14, v10, vcc
	v_add_u32_e32 v12, 4, v12
	s_waitcnt lgkmcnt(0)
	v_fmac_f32_e32 v11, v14, v13
	s_andn2_b64 exec, exec, s[2:3]
	s_cbranch_execnz .LBB72_181
; %bb.182:
	s_or_b64 exec, exec, s[2:3]
.LBB72_183:
	s_or_b64 exec, exec, s[6:7]
	v_mov_b32_e32 v0, 0
	ds_read_b32 v0, v0 offset:32
	s_waitcnt lgkmcnt(0)
	v_mul_f32_e32 v10, v11, v0
.LBB72_184:
	s_or_b64 exec, exec, s[4:5]
	v_mov_b32_e32 v19, v10
	v_mov_b32_e32 v18, v9
	;; [unrolled: 1-line block ×9, first 2 shown]
.LBB72_185:
	flat_store_dword v[34:35], v11
	flat_store_dword v[36:37], v12
	;; [unrolled: 1-line block ×9, first 2 shown]
.LBB72_186:
	s_endpgm
	.section	.rodata,"a",@progbits
	.p2align	6, 0x0
	.amdhsa_kernel _ZN9rocsolver6v33100L18trti2_kernel_smallILi9EfPKPfEEv13rocblas_fill_17rocblas_diagonal_T1_iil
		.amdhsa_group_segment_fixed_size 84
		.amdhsa_private_segment_fixed_size 0
		.amdhsa_kernarg_size 32
		.amdhsa_user_sgpr_count 6
		.amdhsa_user_sgpr_private_segment_buffer 1
		.amdhsa_user_sgpr_dispatch_ptr 0
		.amdhsa_user_sgpr_queue_ptr 0
		.amdhsa_user_sgpr_kernarg_segment_ptr 1
		.amdhsa_user_sgpr_dispatch_id 0
		.amdhsa_user_sgpr_flat_scratch_init 0
		.amdhsa_user_sgpr_private_segment_size 0
		.amdhsa_uses_dynamic_stack 0
		.amdhsa_system_sgpr_private_segment_wavefront_offset 0
		.amdhsa_system_sgpr_workgroup_id_x 1
		.amdhsa_system_sgpr_workgroup_id_y 0
		.amdhsa_system_sgpr_workgroup_id_z 0
		.amdhsa_system_sgpr_workgroup_info 0
		.amdhsa_system_vgpr_workitem_id 0
		.amdhsa_next_free_vgpr 56
		.amdhsa_next_free_sgpr 24
		.amdhsa_reserve_vcc 1
		.amdhsa_reserve_flat_scratch 0
		.amdhsa_float_round_mode_32 0
		.amdhsa_float_round_mode_16_64 0
		.amdhsa_float_denorm_mode_32 3
		.amdhsa_float_denorm_mode_16_64 3
		.amdhsa_dx10_clamp 1
		.amdhsa_ieee_mode 1
		.amdhsa_fp16_overflow 0
		.amdhsa_exception_fp_ieee_invalid_op 0
		.amdhsa_exception_fp_denorm_src 0
		.amdhsa_exception_fp_ieee_div_zero 0
		.amdhsa_exception_fp_ieee_overflow 0
		.amdhsa_exception_fp_ieee_underflow 0
		.amdhsa_exception_fp_ieee_inexact 0
		.amdhsa_exception_int_div_zero 0
	.end_amdhsa_kernel
	.section	.text._ZN9rocsolver6v33100L18trti2_kernel_smallILi9EfPKPfEEv13rocblas_fill_17rocblas_diagonal_T1_iil,"axG",@progbits,_ZN9rocsolver6v33100L18trti2_kernel_smallILi9EfPKPfEEv13rocblas_fill_17rocblas_diagonal_T1_iil,comdat
.Lfunc_end72:
	.size	_ZN9rocsolver6v33100L18trti2_kernel_smallILi9EfPKPfEEv13rocblas_fill_17rocblas_diagonal_T1_iil, .Lfunc_end72-_ZN9rocsolver6v33100L18trti2_kernel_smallILi9EfPKPfEEv13rocblas_fill_17rocblas_diagonal_T1_iil
                                        ; -- End function
	.set _ZN9rocsolver6v33100L18trti2_kernel_smallILi9EfPKPfEEv13rocblas_fill_17rocblas_diagonal_T1_iil.num_vgpr, 56
	.set _ZN9rocsolver6v33100L18trti2_kernel_smallILi9EfPKPfEEv13rocblas_fill_17rocblas_diagonal_T1_iil.num_agpr, 0
	.set _ZN9rocsolver6v33100L18trti2_kernel_smallILi9EfPKPfEEv13rocblas_fill_17rocblas_diagonal_T1_iil.numbered_sgpr, 24
	.set _ZN9rocsolver6v33100L18trti2_kernel_smallILi9EfPKPfEEv13rocblas_fill_17rocblas_diagonal_T1_iil.num_named_barrier, 0
	.set _ZN9rocsolver6v33100L18trti2_kernel_smallILi9EfPKPfEEv13rocblas_fill_17rocblas_diagonal_T1_iil.private_seg_size, 0
	.set _ZN9rocsolver6v33100L18trti2_kernel_smallILi9EfPKPfEEv13rocblas_fill_17rocblas_diagonal_T1_iil.uses_vcc, 1
	.set _ZN9rocsolver6v33100L18trti2_kernel_smallILi9EfPKPfEEv13rocblas_fill_17rocblas_diagonal_T1_iil.uses_flat_scratch, 0
	.set _ZN9rocsolver6v33100L18trti2_kernel_smallILi9EfPKPfEEv13rocblas_fill_17rocblas_diagonal_T1_iil.has_dyn_sized_stack, 0
	.set _ZN9rocsolver6v33100L18trti2_kernel_smallILi9EfPKPfEEv13rocblas_fill_17rocblas_diagonal_T1_iil.has_recursion, 0
	.set _ZN9rocsolver6v33100L18trti2_kernel_smallILi9EfPKPfEEv13rocblas_fill_17rocblas_diagonal_T1_iil.has_indirect_call, 0
	.section	.AMDGPU.csdata,"",@progbits
; Kernel info:
; codeLenInByte = 7140
; TotalNumSgprs: 28
; NumVgprs: 56
; ScratchSize: 0
; MemoryBound: 0
; FloatMode: 240
; IeeeMode: 1
; LDSByteSize: 84 bytes/workgroup (compile time only)
; SGPRBlocks: 3
; VGPRBlocks: 13
; NumSGPRsForWavesPerEU: 28
; NumVGPRsForWavesPerEU: 56
; Occupancy: 4
; WaveLimiterHint : 1
; COMPUTE_PGM_RSRC2:SCRATCH_EN: 0
; COMPUTE_PGM_RSRC2:USER_SGPR: 6
; COMPUTE_PGM_RSRC2:TRAP_HANDLER: 0
; COMPUTE_PGM_RSRC2:TGID_X_EN: 1
; COMPUTE_PGM_RSRC2:TGID_Y_EN: 0
; COMPUTE_PGM_RSRC2:TGID_Z_EN: 0
; COMPUTE_PGM_RSRC2:TIDIG_COMP_CNT: 0
	.section	.text._ZN9rocsolver6v33100L18trti2_kernel_smallILi10EfPKPfEEv13rocblas_fill_17rocblas_diagonal_T1_iil,"axG",@progbits,_ZN9rocsolver6v33100L18trti2_kernel_smallILi10EfPKPfEEv13rocblas_fill_17rocblas_diagonal_T1_iil,comdat
	.globl	_ZN9rocsolver6v33100L18trti2_kernel_smallILi10EfPKPfEEv13rocblas_fill_17rocblas_diagonal_T1_iil ; -- Begin function _ZN9rocsolver6v33100L18trti2_kernel_smallILi10EfPKPfEEv13rocblas_fill_17rocblas_diagonal_T1_iil
	.p2align	8
	.type	_ZN9rocsolver6v33100L18trti2_kernel_smallILi10EfPKPfEEv13rocblas_fill_17rocblas_diagonal_T1_iil,@function
_ZN9rocsolver6v33100L18trti2_kernel_smallILi10EfPKPfEEv13rocblas_fill_17rocblas_diagonal_T1_iil: ; @_ZN9rocsolver6v33100L18trti2_kernel_smallILi10EfPKPfEEv13rocblas_fill_17rocblas_diagonal_T1_iil
; %bb.0:
	v_cmp_gt_u32_e32 vcc, 10, v0
	s_and_saveexec_b64 s[0:1], vcc
	s_cbranch_execz .LBB73_224
; %bb.1:
	s_load_dwordx2 s[0:1], s[4:5], 0x10
	s_load_dwordx4 s[20:23], s[4:5], 0x0
	s_ashr_i32 s7, s6, 31
	s_lshl_b64 s[2:3], s[6:7], 3
	v_lshlrev_b32_e32 v12, 2, v0
	s_waitcnt lgkmcnt(0)
	s_ashr_i32 s5, s0, 31
	s_add_u32 s2, s22, s2
	s_addc_u32 s3, s23, s3
	s_load_dwordx2 s[2:3], s[2:3], 0x0
	s_mov_b32 s4, s0
	s_lshl_b64 s[4:5], s[4:5], 2
	v_mov_b32_e32 v13, -1.0
	s_waitcnt lgkmcnt(0)
	s_add_u32 s0, s2, s4
	s_addc_u32 s2, s3, s5
	s_add_i32 s3, s1, s1
	v_add_u32_e32 v1, s3, v0
	v_ashrrev_i32_e32 v2, 31, v1
	v_lshlrev_b64 v[2:3], 2, v[1:2]
	v_add_u32_e32 v1, s1, v1
	v_mov_b32_e32 v4, s2
	v_add_co_u32_e32 v22, vcc, s0, v2
	v_ashrrev_i32_e32 v2, 31, v1
	v_addc_co_u32_e32 v23, vcc, v4, v3, vcc
	v_lshlrev_b64 v[2:3], 2, v[1:2]
	v_add_u32_e32 v1, s1, v1
	v_add_co_u32_e32 v24, vcc, s0, v2
	v_ashrrev_i32_e32 v2, 31, v1
	v_addc_co_u32_e32 v25, vcc, v4, v3, vcc
	v_lshlrev_b64 v[2:3], 2, v[1:2]
	v_add_u32_e32 v1, s1, v1
	;; [unrolled: 5-line block ×6, first 2 shown]
	v_add_co_u32_e32 v34, vcc, s0, v2
	v_ashrrev_i32_e32 v2, 31, v1
	v_lshlrev_b64 v[1:2], 2, v[1:2]
	v_addc_co_u32_e32 v35, vcc, v4, v3, vcc
	v_mov_b32_e32 v3, s2
	v_add_co_u32_e32 v36, vcc, s0, v1
	v_addc_co_u32_e32 v37, vcc, v3, v2, vcc
	v_mov_b32_e32 v1, s2
	v_add_co_u32_e32 v38, vcc, s0, v12
	s_ashr_i32 s3, s1, 31
	s_mov_b32 s2, s1
	v_addc_co_u32_e32 v39, vcc, 0, v1, vcc
	s_lshl_b64 s[0:1], s[2:3], 2
	v_mov_b32_e32 v1, s1
	v_add_co_u32_e32 v40, vcc, s0, v38
	v_addc_co_u32_e32 v41, vcc, v39, v1, vcc
	flat_load_dword v2, v[38:39]
	flat_load_dword v3, v[40:41]
	;; [unrolled: 1-line block ×10, first 2 shown]
	s_cmpk_lg_i32 s21, 0x84
	v_mov_b32_e32 v1, 0
	s_cselect_b64 s[22:23], -1, 0
	s_cmpk_eq_i32 s21, 0x84
	v_cmp_eq_u32_e64 s[0:1], 0, v0
	s_cbranch_scc1 .LBB73_3
; %bb.2:
	v_cmp_eq_u32_e64 s[2:3], 1, v0
	s_waitcnt vmcnt(0) lgkmcnt(0)
	v_cndmask_b32_e64 v13, v2, v3, s[2:3]
	v_cmp_eq_u32_e64 s[4:5], 2, v0
	v_cndmask_b32_e64 v13, v13, v4, s[4:5]
	v_cmp_eq_u32_e64 s[6:7], 3, v0
	;; [unrolled: 2-line block ×8, first 2 shown]
	v_cndmask_b32_e64 v13, v13, v11, s[18:19]
	v_div_scale_f32 v14, s[24:25], v13, v13, 1.0
	v_div_scale_f32 v15, vcc, 1.0, v13, 1.0
	v_rcp_f32_e32 v16, v14
	v_fma_f32 v17, -v14, v16, 1.0
	v_fmac_f32_e32 v16, v17, v16
	v_mul_f32_e32 v17, v15, v16
	v_fma_f32 v18, -v14, v17, v15
	v_fmac_f32_e32 v17, v18, v16
	v_fma_f32 v14, -v14, v17, v15
	v_div_fmas_f32 v14, v14, v16, v17
	v_div_fixup_f32 v13, v14, v13, 1.0
	v_cndmask_b32_e64 v11, v11, v13, s[18:19]
	v_cndmask_b32_e64 v10, v10, v13, s[16:17]
	;; [unrolled: 1-line block ×10, first 2 shown]
	v_xor_b32_e32 v13, 0x80000000, v13
.LBB73_3:
	s_cmpk_eq_i32 s20, 0x79
	v_add_u32_e32 v42, 48, v12
	ds_write_b32 v12, v13
	s_cbranch_scc1 .LBB73_7
; %bb.4:
	s_waitcnt vmcnt(0) lgkmcnt(0)
	v_mov_b32_e32 v21, v11
	v_mov_b32_e32 v20, v10
	;; [unrolled: 1-line block ×10, first 2 shown]
	v_cmp_eq_u32_e64 s[0:1], 9, v0
	ds_write_b32 v42, v10
	s_waitcnt lgkmcnt(0)
	; wave barrier
	s_and_saveexec_b64 s[2:3], s[0:1]
	s_cbranch_execz .LBB73_11
; %bb.5:
	s_and_b64 vcc, exec, s[22:23]
	s_cbranch_vccz .LBB73_8
; %bb.6:
	v_cmp_eq_u32_e32 vcc, 1, v0
	v_cndmask_b32_e32 v12, v2, v3, vcc
	v_cmp_eq_u32_e32 vcc, 2, v0
	v_cndmask_b32_e32 v12, v12, v4, vcc
	;; [unrolled: 2-line block ×5, first 2 shown]
	v_cmp_eq_u32_e32 vcc, 6, v0
	ds_read_b32 v13, v42
	v_cndmask_b32_e32 v12, v12, v8, vcc
	v_cmp_eq_u32_e32 vcc, 7, v0
	v_cndmask_b32_e32 v12, v12, v9, vcc
	v_cmp_eq_u32_e32 vcc, 8, v0
	;; [unrolled: 2-line block ×3, first 2 shown]
	v_cndmask_b32_e32 v12, v12, v11, vcc
	s_waitcnt lgkmcnt(0)
	v_mul_f32_e32 v12, v12, v13
	s_cbranch_execz .LBB73_9
	s_branch .LBB73_10
.LBB73_7:
                                        ; implicit-def: $vgpr12_vgpr13_vgpr14_vgpr15_vgpr16_vgpr17_vgpr18_vgpr19_vgpr20_vgpr21
	s_cbranch_execnz .LBB73_130
	s_branch .LBB73_223
.LBB73_8:
                                        ; implicit-def: $vgpr12
.LBB73_9:
	ds_read_b32 v12, v42
.LBB73_10:
	v_mov_b32_e32 v13, 0
	ds_read_b32 v13, v13 offset:32
	s_waitcnt lgkmcnt(0)
	v_mul_f32_e32 v43, v12, v13
	v_mov_b32_e32 v21, v11
	v_mov_b32_e32 v20, v10
	;; [unrolled: 1-line block ×11, first 2 shown]
.LBB73_11:
	s_or_b64 exec, exec, s[2:3]
	v_cmp_lt_u32_e64 s[2:3], 7, v0
	ds_write_b32 v42, v19
	s_waitcnt lgkmcnt(0)
	; wave barrier
	s_and_saveexec_b64 s[4:5], s[2:3]
	s_cbranch_execz .LBB73_17
; %bb.12:
	s_andn2_b64 vcc, exec, s[22:23]
	s_cbranch_vccnz .LBB73_14
; %bb.13:
	v_cmp_eq_u32_e32 vcc, 1, v0
	v_cndmask_b32_e32 v43, v12, v13, vcc
	v_cmp_eq_u32_e32 vcc, 2, v0
	v_cndmask_b32_e32 v43, v43, v14, vcc
	;; [unrolled: 2-line block ×7, first 2 shown]
	ds_read_b32 v43, v42
	v_cmp_eq_u32_e32 vcc, 8, v0
	v_cndmask_b32_e32 v19, v19, v20, vcc
	v_cmp_eq_u32_e32 vcc, 9, v0
	v_cndmask_b32_e32 v19, v19, v21, vcc
	s_waitcnt lgkmcnt(0)
	v_mul_f32_e32 v19, v19, v43
	s_cbranch_execz .LBB73_15
	s_branch .LBB73_16
.LBB73_14:
                                        ; implicit-def: $vgpr19
.LBB73_15:
	ds_read_b32 v19, v42
.LBB73_16:
	v_mov_b32_e32 v43, 0
	ds_read2_b32 v[43:44], v43 offset0:7 offset1:20
	s_waitcnt lgkmcnt(0)
	v_fma_f32 v44, v20, v44, v19
	v_cndmask_b32_e64 v19, v19, v44, s[0:1]
	v_mul_f32_e32 v19, v19, v43
.LBB73_17:
	s_or_b64 exec, exec, s[4:5]
	v_cmp_lt_u32_e64 s[0:1], 6, v0
	ds_write_b32 v42, v18
	s_waitcnt lgkmcnt(0)
	; wave barrier
	s_and_saveexec_b64 s[4:5], s[0:1]
	s_cbranch_execz .LBB73_33
; %bb.18:
	s_andn2_b64 vcc, exec, s[22:23]
	s_cbranch_vccnz .LBB73_20
; %bb.19:
	v_cmp_eq_u32_e32 vcc, 1, v0
	v_cndmask_b32_e32 v43, v12, v13, vcc
	v_cmp_eq_u32_e32 vcc, 2, v0
	v_cndmask_b32_e32 v43, v43, v14, vcc
	;; [unrolled: 2-line block ×5, first 2 shown]
	v_cmp_eq_u32_e32 vcc, 6, v0
	ds_read_b32 v44, v42
	v_cndmask_b32_e32 v43, v43, v18, vcc
	v_cmp_eq_u32_e32 vcc, 7, v0
	v_cndmask_b32_e32 v43, v43, v19, vcc
	v_cmp_eq_u32_e32 vcc, 8, v0
	;; [unrolled: 2-line block ×3, first 2 shown]
	v_cndmask_b32_e32 v43, v43, v21, vcc
	s_waitcnt lgkmcnt(0)
	v_mul_f32_e32 v43, v43, v44
	s_cbranch_execz .LBB73_21
	s_branch .LBB73_22
.LBB73_20:
                                        ; implicit-def: $vgpr43
.LBB73_21:
	ds_read_b32 v43, v42
.LBB73_22:
	s_and_saveexec_b64 s[6:7], s[2:3]
	s_cbranch_execz .LBB73_32
; %bb.23:
	v_add_u32_e32 v44, -8, v0
	v_add_u32_e32 v45, -7, v0
	v_cmp_lt_u32_e32 vcc, 6, v44
	v_mov_b32_e32 v44, 7
	s_and_saveexec_b64 s[2:3], vcc
	s_cbranch_execz .LBB73_27
; %bb.24:
	v_and_b32_e32 v44, -8, v45
	v_sub_u32_e32 v46, 0, v44
	s_mov_b64 s[8:9], 14
	s_movk_i32 s12, 0x4c
	s_mov_b64 s[10:11], 0
.LBB73_25:                              ; =>This Inner Loop Header: Depth=1
	s_add_i32 s13, s8, -7
	v_mov_b32_e32 v44, s12
	s_add_i32 s14, s8, -6
	s_set_gpr_idx_on s13, gpr_idx(SRC0)
	v_mov_b32_e32 v53, v12
	s_set_gpr_idx_off
	ds_read2_b32 v[47:48], v44 offset1:1
	s_add_i32 s15, s8, -5
	s_set_gpr_idx_on s14, gpr_idx(SRC0)
	v_mov_b32_e32 v54, v12
	s_set_gpr_idx_off
	s_add_i32 s16, s8, -4
	s_set_gpr_idx_on s15, gpr_idx(SRC0)
	v_mov_b32_e32 v55, v12
	s_set_gpr_idx_off
	ds_read2_b32 v[49:50], v44 offset0:2 offset1:3
	s_add_i32 s17, s8, -3
	s_set_gpr_idx_on s16, gpr_idx(SRC0)
	v_mov_b32_e32 v56, v12
	s_set_gpr_idx_off
	s_add_i32 s18, s8, -2
	s_set_gpr_idx_on s17, gpr_idx(SRC0)
	v_mov_b32_e32 v57, v12
	s_set_gpr_idx_off
	ds_read2_b32 v[51:52], v44 offset0:4 offset1:5
	s_add_i32 s19, s8, -1
	s_waitcnt lgkmcnt(2)
	v_fmac_f32_e32 v43, v53, v47
	s_set_gpr_idx_on s18, gpr_idx(SRC0)
	v_mov_b32_e32 v53, v12
	s_set_gpr_idx_off
	v_fmac_f32_e32 v43, v54, v48
	s_set_gpr_idx_on s19, gpr_idx(SRC0)
	v_mov_b32_e32 v54, v12
	s_set_gpr_idx_off
	ds_read2_b32 v[47:48], v44 offset0:6 offset1:7
	s_waitcnt lgkmcnt(2)
	v_fmac_f32_e32 v43, v55, v49
	s_set_gpr_idx_on s8, gpr_idx(SRC0)
	v_mov_b32_e32 v49, v12
	s_set_gpr_idx_off
	v_fmac_f32_e32 v43, v56, v50
	s_add_u32 s8, s8, 8
	s_waitcnt lgkmcnt(1)
	v_fmac_f32_e32 v43, v57, v51
	v_add_u32_e32 v44, s8, v46
	v_fmac_f32_e32 v43, v53, v52
	s_addc_u32 s9, s9, 0
	s_add_i32 s12, s12, 32
	s_add_i32 s13, s8, -7
	v_cmp_eq_u32_e32 vcc, 14, v44
	s_waitcnt lgkmcnt(0)
	v_fmac_f32_e32 v43, v54, v47
	v_mov_b32_e32 v44, s13
	s_or_b64 s[10:11], vcc, s[10:11]
	v_fmac_f32_e32 v43, v49, v48
	s_andn2_b64 exec, exec, s[10:11]
	s_cbranch_execnz .LBB73_25
; %bb.26:
	s_or_b64 exec, exec, s[10:11]
.LBB73_27:
	s_or_b64 exec, exec, s[2:3]
	v_and_b32_e32 v45, 7, v45
	v_cmp_ne_u32_e32 vcc, 0, v45
	s_and_saveexec_b64 s[8:9], vcc
	s_cbranch_execz .LBB73_31
; %bb.28:
	v_lshl_add_u32 v46, v44, 2, 48
	v_mov_b32_e32 v47, 0
	s_mov_b64 s[10:11], 0
.LBB73_29:                              ; =>This Inner Loop Header: Depth=1
	v_cmp_eq_u32_e32 vcc, 1, v44
	v_cndmask_b32_e32 v48, v12, v13, vcc
	v_add_u32_e32 v45, -1, v45
	v_cmp_eq_u32_e32 vcc, 2, v44
	v_cndmask_b32_e32 v48, v48, v14, vcc
	v_cmp_eq_u32_e32 vcc, 0, v45
	v_cmp_eq_u32_e64 s[2:3], 3, v44
	v_cndmask_b32_e64 v48, v48, v15, s[2:3]
	s_or_b64 s[10:11], vcc, s[10:11]
	v_cmp_eq_u32_e32 vcc, 4, v44
	v_cndmask_b32_e32 v48, v48, v16, vcc
	v_cmp_eq_u32_e32 vcc, 5, v44
	ds_read_b32 v49, v46
	v_cndmask_b32_e32 v48, v48, v17, vcc
	v_cmp_eq_u32_e32 vcc, 6, v44
	v_cndmask_b32_e32 v48, v48, v18, vcc
	v_cmp_eq_u32_e32 vcc, 7, v44
	v_cndmask_b32_e32 v48, v48, v19, vcc
	v_cmp_eq_u32_e32 vcc, 8, v44
	v_cndmask_b32_e32 v48, v48, v20, vcc
	v_cmp_eq_u32_e32 vcc, 9, v44
	v_add_co_u32_e64 v44, s[2:3], 1, v44
	v_cndmask_b32_e32 v48, v48, v21, vcc
	v_add_u32_e32 v46, 4, v46
	v_addc_co_u32_e64 v47, s[2:3], 0, v47, s[2:3]
	s_waitcnt lgkmcnt(0)
	v_fmac_f32_e32 v43, v48, v49
	s_andn2_b64 exec, exec, s[10:11]
	s_cbranch_execnz .LBB73_29
; %bb.30:
	s_or_b64 exec, exec, s[10:11]
.LBB73_31:
	s_or_b64 exec, exec, s[8:9]
.LBB73_32:
	s_or_b64 exec, exec, s[6:7]
	v_mov_b32_e32 v18, 0
	ds_read_b32 v18, v18 offset:24
	s_waitcnt lgkmcnt(0)
	v_mul_f32_e32 v18, v43, v18
.LBB73_33:
	s_or_b64 exec, exec, s[4:5]
	v_cmp_lt_u32_e64 s[2:3], 5, v0
	ds_write_b32 v42, v17
	s_waitcnt lgkmcnt(0)
	; wave barrier
	s_and_saveexec_b64 s[4:5], s[2:3]
	s_cbranch_execz .LBB73_49
; %bb.34:
	s_andn2_b64 vcc, exec, s[22:23]
	s_cbranch_vccnz .LBB73_36
; %bb.35:
	v_cmp_eq_u32_e32 vcc, 1, v0
	v_cndmask_b32_e32 v43, v12, v13, vcc
	v_cmp_eq_u32_e32 vcc, 2, v0
	v_cndmask_b32_e32 v43, v43, v14, vcc
	;; [unrolled: 2-line block ×5, first 2 shown]
	v_cmp_eq_u32_e32 vcc, 6, v0
	ds_read_b32 v44, v42
	v_cndmask_b32_e32 v43, v43, v18, vcc
	v_cmp_eq_u32_e32 vcc, 7, v0
	v_cndmask_b32_e32 v43, v43, v19, vcc
	v_cmp_eq_u32_e32 vcc, 8, v0
	;; [unrolled: 2-line block ×3, first 2 shown]
	v_cndmask_b32_e32 v43, v43, v21, vcc
	s_waitcnt lgkmcnt(0)
	v_mul_f32_e32 v43, v43, v44
	s_cbranch_execz .LBB73_37
	s_branch .LBB73_38
.LBB73_36:
                                        ; implicit-def: $vgpr43
.LBB73_37:
	ds_read_b32 v43, v42
.LBB73_38:
	s_and_saveexec_b64 s[6:7], s[0:1]
	s_cbranch_execz .LBB73_48
; %bb.39:
	v_add_u32_e32 v46, -7, v0
	v_add_u32_e32 v45, -6, v0
	v_mov_b32_e32 v44, 6
	v_cmp_lt_u32_e32 vcc, 6, v46
	s_and_saveexec_b64 s[0:1], vcc
	s_cbranch_execz .LBB73_43
; %bb.40:
	v_and_b32_e32 v44, -8, v45
	v_sub_u32_e32 v46, 0, v44
	s_mov_b64 s[8:9], 13
	s_movk_i32 s12, 0x48
	s_mov_b64 s[10:11], 0
.LBB73_41:                              ; =>This Inner Loop Header: Depth=1
	s_add_i32 s13, s8, -7
	v_mov_b32_e32 v44, s12
	s_add_i32 s14, s8, -6
	s_set_gpr_idx_on s13, gpr_idx(SRC0)
	v_mov_b32_e32 v55, v12
	s_set_gpr_idx_off
	ds_read2_b64 v[47:50], v44 offset1:1
	s_add_i32 s15, s8, -5
	s_set_gpr_idx_on s14, gpr_idx(SRC0)
	v_mov_b32_e32 v56, v12
	s_set_gpr_idx_off
	s_add_i32 s16, s8, -4
	s_set_gpr_idx_on s15, gpr_idx(SRC0)
	v_mov_b32_e32 v57, v12
	s_set_gpr_idx_off
	;; [unrolled: 4-line block ×4, first 2 shown]
	ds_read2_b64 v[51:54], v44 offset0:2 offset1:3
	s_add_i32 s19, s8, -1
	s_waitcnt lgkmcnt(1)
	v_fmac_f32_e32 v43, v55, v47
	s_set_gpr_idx_on s18, gpr_idx(SRC0)
	v_mov_b32_e32 v47, v12
	s_set_gpr_idx_off
	v_fmac_f32_e32 v43, v56, v48
	s_set_gpr_idx_on s19, gpr_idx(SRC0)
	v_mov_b32_e32 v48, v12
	s_set_gpr_idx_off
	;; [unrolled: 4-line block ×3, first 2 shown]
	v_fmac_f32_e32 v43, v58, v50
	s_add_u32 s8, s8, 8
	s_waitcnt lgkmcnt(0)
	v_fmac_f32_e32 v43, v59, v51
	v_add_u32_e32 v44, s8, v46
	v_fmac_f32_e32 v43, v47, v52
	s_addc_u32 s9, s9, 0
	s_add_i32 s12, s12, 32
	s_add_i32 s13, s8, -7
	v_cmp_eq_u32_e32 vcc, 13, v44
	v_fmac_f32_e32 v43, v48, v53
	v_mov_b32_e32 v44, s13
	s_or_b64 s[10:11], vcc, s[10:11]
	v_fmac_f32_e32 v43, v49, v54
	s_andn2_b64 exec, exec, s[10:11]
	s_cbranch_execnz .LBB73_41
; %bb.42:
	s_or_b64 exec, exec, s[10:11]
.LBB73_43:
	s_or_b64 exec, exec, s[0:1]
	v_and_b32_e32 v45, 7, v45
	v_cmp_ne_u32_e32 vcc, 0, v45
	s_and_saveexec_b64 s[8:9], vcc
	s_cbranch_execz .LBB73_47
; %bb.44:
	v_lshl_add_u32 v46, v44, 2, 48
	v_mov_b32_e32 v47, 0
	s_mov_b64 s[10:11], 0
.LBB73_45:                              ; =>This Inner Loop Header: Depth=1
	v_cmp_eq_u32_e32 vcc, 1, v44
	v_cndmask_b32_e32 v48, v12, v13, vcc
	v_add_u32_e32 v45, -1, v45
	v_cmp_eq_u32_e32 vcc, 2, v44
	v_cndmask_b32_e32 v48, v48, v14, vcc
	v_cmp_eq_u32_e32 vcc, 0, v45
	v_cmp_eq_u32_e64 s[0:1], 3, v44
	v_cndmask_b32_e64 v48, v48, v15, s[0:1]
	s_or_b64 s[10:11], vcc, s[10:11]
	v_cmp_eq_u32_e32 vcc, 4, v44
	v_cndmask_b32_e32 v48, v48, v16, vcc
	v_cmp_eq_u32_e32 vcc, 5, v44
	ds_read_b32 v49, v46
	v_cndmask_b32_e32 v48, v48, v17, vcc
	v_cmp_eq_u32_e32 vcc, 6, v44
	v_cndmask_b32_e32 v48, v48, v18, vcc
	v_cmp_eq_u32_e32 vcc, 7, v44
	v_cndmask_b32_e32 v48, v48, v19, vcc
	v_cmp_eq_u32_e32 vcc, 8, v44
	v_cndmask_b32_e32 v48, v48, v20, vcc
	v_cmp_eq_u32_e32 vcc, 9, v44
	v_add_co_u32_e64 v44, s[0:1], 1, v44
	v_cndmask_b32_e32 v48, v48, v21, vcc
	v_add_u32_e32 v46, 4, v46
	v_addc_co_u32_e64 v47, s[0:1], 0, v47, s[0:1]
	s_waitcnt lgkmcnt(0)
	v_fmac_f32_e32 v43, v48, v49
	s_andn2_b64 exec, exec, s[10:11]
	s_cbranch_execnz .LBB73_45
; %bb.46:
	s_or_b64 exec, exec, s[10:11]
.LBB73_47:
	s_or_b64 exec, exec, s[8:9]
.LBB73_48:
	s_or_b64 exec, exec, s[6:7]
	v_mov_b32_e32 v17, 0
	ds_read_b32 v17, v17 offset:20
	s_waitcnt lgkmcnt(0)
	v_mul_f32_e32 v17, v43, v17
.LBB73_49:
	s_or_b64 exec, exec, s[4:5]
	v_cmp_lt_u32_e64 s[0:1], 4, v0
	ds_write_b32 v42, v16
	s_waitcnt lgkmcnt(0)
	; wave barrier
	s_and_saveexec_b64 s[4:5], s[0:1]
	s_cbranch_execz .LBB73_65
; %bb.50:
	s_andn2_b64 vcc, exec, s[22:23]
	s_cbranch_vccnz .LBB73_52
; %bb.51:
	v_cmp_eq_u32_e32 vcc, 1, v0
	v_cndmask_b32_e32 v43, v12, v13, vcc
	v_cmp_eq_u32_e32 vcc, 2, v0
	v_cndmask_b32_e32 v43, v43, v14, vcc
	;; [unrolled: 2-line block ×5, first 2 shown]
	v_cmp_eq_u32_e32 vcc, 6, v0
	ds_read_b32 v44, v42
	v_cndmask_b32_e32 v43, v43, v18, vcc
	v_cmp_eq_u32_e32 vcc, 7, v0
	v_cndmask_b32_e32 v43, v43, v19, vcc
	v_cmp_eq_u32_e32 vcc, 8, v0
	;; [unrolled: 2-line block ×3, first 2 shown]
	v_cndmask_b32_e32 v43, v43, v21, vcc
	s_waitcnt lgkmcnt(0)
	v_mul_f32_e32 v43, v43, v44
	s_cbranch_execz .LBB73_53
	s_branch .LBB73_54
.LBB73_52:
                                        ; implicit-def: $vgpr43
.LBB73_53:
	ds_read_b32 v43, v42
.LBB73_54:
	s_and_saveexec_b64 s[6:7], s[2:3]
	s_cbranch_execz .LBB73_64
; %bb.55:
	v_add_u32_e32 v44, -6, v0
	v_add_u32_e32 v45, -5, v0
	v_cmp_lt_u32_e32 vcc, 6, v44
	v_mov_b32_e32 v44, 5
	s_and_saveexec_b64 s[2:3], vcc
	s_cbranch_execz .LBB73_59
; %bb.56:
	v_and_b32_e32 v44, -8, v45
	v_sub_u32_e32 v46, 0, v44
	s_mov_b64 s[8:9], 12
	s_movk_i32 s12, 0x44
	s_mov_b64 s[10:11], 0
.LBB73_57:                              ; =>This Inner Loop Header: Depth=1
	s_add_i32 s13, s8, -7
	v_mov_b32_e32 v44, s12
	s_add_i32 s14, s8, -6
	s_set_gpr_idx_on s13, gpr_idx(SRC0)
	v_mov_b32_e32 v53, v12
	s_set_gpr_idx_off
	ds_read2_b32 v[47:48], v44 offset1:1
	s_add_i32 s15, s8, -5
	s_set_gpr_idx_on s14, gpr_idx(SRC0)
	v_mov_b32_e32 v54, v12
	s_set_gpr_idx_off
	s_add_i32 s16, s8, -4
	s_set_gpr_idx_on s15, gpr_idx(SRC0)
	v_mov_b32_e32 v55, v12
	s_set_gpr_idx_off
	ds_read2_b32 v[49:50], v44 offset0:2 offset1:3
	s_add_i32 s17, s8, -3
	s_set_gpr_idx_on s16, gpr_idx(SRC0)
	v_mov_b32_e32 v56, v12
	s_set_gpr_idx_off
	s_add_i32 s18, s8, -2
	s_set_gpr_idx_on s17, gpr_idx(SRC0)
	v_mov_b32_e32 v57, v12
	s_set_gpr_idx_off
	ds_read2_b32 v[51:52], v44 offset0:4 offset1:5
	s_add_i32 s19, s8, -1
	s_waitcnt lgkmcnt(2)
	v_fmac_f32_e32 v43, v53, v47
	s_set_gpr_idx_on s18, gpr_idx(SRC0)
	v_mov_b32_e32 v53, v12
	s_set_gpr_idx_off
	v_fmac_f32_e32 v43, v54, v48
	s_set_gpr_idx_on s19, gpr_idx(SRC0)
	v_mov_b32_e32 v54, v12
	s_set_gpr_idx_off
	ds_read2_b32 v[47:48], v44 offset0:6 offset1:7
	s_waitcnt lgkmcnt(2)
	v_fmac_f32_e32 v43, v55, v49
	s_set_gpr_idx_on s8, gpr_idx(SRC0)
	v_mov_b32_e32 v49, v12
	s_set_gpr_idx_off
	v_fmac_f32_e32 v43, v56, v50
	s_add_u32 s8, s8, 8
	s_waitcnt lgkmcnt(1)
	v_fmac_f32_e32 v43, v57, v51
	v_add_u32_e32 v44, s8, v46
	v_fmac_f32_e32 v43, v53, v52
	s_addc_u32 s9, s9, 0
	s_add_i32 s12, s12, 32
	s_add_i32 s13, s8, -7
	v_cmp_eq_u32_e32 vcc, 12, v44
	s_waitcnt lgkmcnt(0)
	v_fmac_f32_e32 v43, v54, v47
	v_mov_b32_e32 v44, s13
	s_or_b64 s[10:11], vcc, s[10:11]
	v_fmac_f32_e32 v43, v49, v48
	s_andn2_b64 exec, exec, s[10:11]
	s_cbranch_execnz .LBB73_57
; %bb.58:
	s_or_b64 exec, exec, s[10:11]
.LBB73_59:
	s_or_b64 exec, exec, s[2:3]
	v_and_b32_e32 v45, 7, v45
	v_cmp_ne_u32_e32 vcc, 0, v45
	s_and_saveexec_b64 s[8:9], vcc
	s_cbranch_execz .LBB73_63
; %bb.60:
	v_lshl_add_u32 v46, v44, 2, 48
	v_mov_b32_e32 v47, 0
	s_mov_b64 s[10:11], 0
.LBB73_61:                              ; =>This Inner Loop Header: Depth=1
	v_cmp_eq_u32_e32 vcc, 1, v44
	v_cndmask_b32_e32 v48, v12, v13, vcc
	v_add_u32_e32 v45, -1, v45
	v_cmp_eq_u32_e32 vcc, 2, v44
	v_cndmask_b32_e32 v48, v48, v14, vcc
	v_cmp_eq_u32_e32 vcc, 0, v45
	v_cmp_eq_u32_e64 s[2:3], 3, v44
	v_cndmask_b32_e64 v48, v48, v15, s[2:3]
	s_or_b64 s[10:11], vcc, s[10:11]
	v_cmp_eq_u32_e32 vcc, 4, v44
	v_cndmask_b32_e32 v48, v48, v16, vcc
	v_cmp_eq_u32_e32 vcc, 5, v44
	ds_read_b32 v49, v46
	v_cndmask_b32_e32 v48, v48, v17, vcc
	v_cmp_eq_u32_e32 vcc, 6, v44
	v_cndmask_b32_e32 v48, v48, v18, vcc
	v_cmp_eq_u32_e32 vcc, 7, v44
	;; [unrolled: 2-line block ×4, first 2 shown]
	v_add_co_u32_e64 v44, s[2:3], 1, v44
	v_cndmask_b32_e32 v48, v48, v21, vcc
	v_add_u32_e32 v46, 4, v46
	v_addc_co_u32_e64 v47, s[2:3], 0, v47, s[2:3]
	s_waitcnt lgkmcnt(0)
	v_fmac_f32_e32 v43, v48, v49
	s_andn2_b64 exec, exec, s[10:11]
	s_cbranch_execnz .LBB73_61
; %bb.62:
	s_or_b64 exec, exec, s[10:11]
.LBB73_63:
	s_or_b64 exec, exec, s[8:9]
.LBB73_64:
	s_or_b64 exec, exec, s[6:7]
	v_mov_b32_e32 v16, 0
	ds_read_b32 v16, v16 offset:16
	s_waitcnt lgkmcnt(0)
	v_mul_f32_e32 v16, v43, v16
.LBB73_65:
	s_or_b64 exec, exec, s[4:5]
	v_cmp_lt_u32_e64 s[2:3], 3, v0
	ds_write_b32 v42, v15
	s_waitcnt lgkmcnt(0)
	; wave barrier
	s_and_saveexec_b64 s[4:5], s[2:3]
	s_cbranch_execz .LBB73_81
; %bb.66:
	s_andn2_b64 vcc, exec, s[22:23]
	s_cbranch_vccnz .LBB73_68
; %bb.67:
	v_cmp_eq_u32_e32 vcc, 1, v0
	v_cndmask_b32_e32 v43, v12, v13, vcc
	v_cmp_eq_u32_e32 vcc, 2, v0
	v_cndmask_b32_e32 v43, v43, v14, vcc
	;; [unrolled: 2-line block ×5, first 2 shown]
	v_cmp_eq_u32_e32 vcc, 6, v0
	ds_read_b32 v44, v42
	v_cndmask_b32_e32 v43, v43, v18, vcc
	v_cmp_eq_u32_e32 vcc, 7, v0
	v_cndmask_b32_e32 v43, v43, v19, vcc
	v_cmp_eq_u32_e32 vcc, 8, v0
	;; [unrolled: 2-line block ×3, first 2 shown]
	v_cndmask_b32_e32 v43, v43, v21, vcc
	s_waitcnt lgkmcnt(0)
	v_mul_f32_e32 v43, v43, v44
	s_cbranch_execz .LBB73_69
	s_branch .LBB73_70
.LBB73_68:
                                        ; implicit-def: $vgpr43
.LBB73_69:
	ds_read_b32 v43, v42
.LBB73_70:
	s_and_saveexec_b64 s[6:7], s[0:1]
	s_cbranch_execz .LBB73_80
; %bb.71:
	v_add_u32_e32 v44, -5, v0
	v_add_u32_e32 v45, -4, v0
	v_cmp_lt_u32_e32 vcc, 6, v44
	v_mov_b32_e32 v44, 4
	s_and_saveexec_b64 s[0:1], vcc
	s_cbranch_execz .LBB73_75
; %bb.72:
	v_and_b32_e32 v44, -8, v45
	v_sub_u32_e32 v46, 0, v44
	s_mov_b64 s[8:9], 5
	s_mov_b32 s12, 64
	s_mov_b64 s[10:11], 0
.LBB73_73:                              ; =>This Inner Loop Header: Depth=1
	s_add_i32 s13, s8, -1
	v_mov_b32_e32 v44, s12
	s_set_gpr_idx_on s13, gpr_idx(SRC0)
	v_mov_b32_e32 v55, v12
	s_set_gpr_idx_off
	s_add_i32 s14, s8, 1
	ds_read_b128 v[47:50], v44
	ds_read_b128 v[51:54], v44 offset:16
	s_set_gpr_idx_on s8, gpr_idx(SRC0)
	v_mov_b32_e32 v56, v12
	s_set_gpr_idx_off
	s_add_i32 s15, s8, 2
	s_set_gpr_idx_on s14, gpr_idx(SRC0)
	v_mov_b32_e32 v57, v12
	s_set_gpr_idx_off
	s_add_i32 s16, s8, 3
	s_set_gpr_idx_on s15, gpr_idx(SRC0)
	v_mov_b32_e32 v58, v12
	s_set_gpr_idx_off
	s_add_i32 s17, s8, 4
	s_set_gpr_idx_on s16, gpr_idx(SRC0)
	v_mov_b32_e32 v59, v12
	s_set_gpr_idx_off
	s_add_i32 s18, s8, 5
	s_waitcnt lgkmcnt(1)
	v_fmac_f32_e32 v43, v55, v47
	s_set_gpr_idx_on s17, gpr_idx(SRC0)
	v_mov_b32_e32 v47, v12
	s_set_gpr_idx_off
	s_add_i32 s19, s8, 6
	v_fmac_f32_e32 v43, v56, v48
	s_set_gpr_idx_on s18, gpr_idx(SRC0)
	v_mov_b32_e32 v48, v12
	s_set_gpr_idx_off
	v_fmac_f32_e32 v43, v57, v49
	s_set_gpr_idx_on s19, gpr_idx(SRC0)
	v_mov_b32_e32 v49, v12
	s_set_gpr_idx_off
	v_fmac_f32_e32 v43, v58, v50
	s_add_u32 s8, s8, 8
	s_waitcnt lgkmcnt(0)
	v_fmac_f32_e32 v43, v59, v51
	v_add_u32_e32 v44, s8, v46
	v_fmac_f32_e32 v43, v47, v52
	s_addc_u32 s9, s9, 0
	s_add_i32 s12, s12, 32
	s_add_i32 s13, s8, -1
	v_cmp_eq_u32_e32 vcc, 5, v44
	v_fmac_f32_e32 v43, v48, v53
	v_mov_b32_e32 v44, s13
	s_or_b64 s[10:11], vcc, s[10:11]
	v_fmac_f32_e32 v43, v49, v54
	s_andn2_b64 exec, exec, s[10:11]
	s_cbranch_execnz .LBB73_73
; %bb.74:
	s_or_b64 exec, exec, s[10:11]
.LBB73_75:
	s_or_b64 exec, exec, s[0:1]
	v_and_b32_e32 v45, 7, v45
	v_cmp_ne_u32_e32 vcc, 0, v45
	s_and_saveexec_b64 s[8:9], vcc
	s_cbranch_execz .LBB73_79
; %bb.76:
	v_lshl_add_u32 v46, v44, 2, 48
	v_mov_b32_e32 v47, 0
	s_mov_b64 s[10:11], 0
.LBB73_77:                              ; =>This Inner Loop Header: Depth=1
	v_cmp_eq_u32_e32 vcc, 1, v44
	v_cndmask_b32_e32 v48, v12, v13, vcc
	v_add_u32_e32 v45, -1, v45
	v_cmp_eq_u32_e32 vcc, 2, v44
	v_cndmask_b32_e32 v48, v48, v14, vcc
	v_cmp_eq_u32_e32 vcc, 0, v45
	v_cmp_eq_u32_e64 s[0:1], 3, v44
	v_cndmask_b32_e64 v48, v48, v15, s[0:1]
	s_or_b64 s[10:11], vcc, s[10:11]
	v_cmp_eq_u32_e32 vcc, 4, v44
	v_cndmask_b32_e32 v48, v48, v16, vcc
	v_cmp_eq_u32_e32 vcc, 5, v44
	ds_read_b32 v49, v46
	v_cndmask_b32_e32 v48, v48, v17, vcc
	v_cmp_eq_u32_e32 vcc, 6, v44
	v_cndmask_b32_e32 v48, v48, v18, vcc
	v_cmp_eq_u32_e32 vcc, 7, v44
	;; [unrolled: 2-line block ×4, first 2 shown]
	v_add_co_u32_e64 v44, s[0:1], 1, v44
	v_cndmask_b32_e32 v48, v48, v21, vcc
	v_add_u32_e32 v46, 4, v46
	v_addc_co_u32_e64 v47, s[0:1], 0, v47, s[0:1]
	s_waitcnt lgkmcnt(0)
	v_fmac_f32_e32 v43, v48, v49
	s_andn2_b64 exec, exec, s[10:11]
	s_cbranch_execnz .LBB73_77
; %bb.78:
	s_or_b64 exec, exec, s[10:11]
.LBB73_79:
	s_or_b64 exec, exec, s[8:9]
.LBB73_80:
	s_or_b64 exec, exec, s[6:7]
	v_mov_b32_e32 v15, 0
	ds_read_b32 v15, v15 offset:12
	s_waitcnt lgkmcnt(0)
	v_mul_f32_e32 v15, v43, v15
.LBB73_81:
	s_or_b64 exec, exec, s[4:5]
	v_cmp_lt_u32_e64 s[0:1], 2, v0
	ds_write_b32 v42, v14
	s_waitcnt lgkmcnt(0)
	; wave barrier
	s_and_saveexec_b64 s[4:5], s[0:1]
	s_cbranch_execz .LBB73_97
; %bb.82:
	s_andn2_b64 vcc, exec, s[22:23]
	s_cbranch_vccnz .LBB73_84
; %bb.83:
	v_cmp_eq_u32_e32 vcc, 1, v0
	v_cndmask_b32_e32 v43, v12, v13, vcc
	v_cmp_eq_u32_e32 vcc, 2, v0
	v_cndmask_b32_e32 v43, v43, v14, vcc
	;; [unrolled: 2-line block ×5, first 2 shown]
	v_cmp_eq_u32_e32 vcc, 6, v0
	ds_read_b32 v44, v42
	v_cndmask_b32_e32 v43, v43, v18, vcc
	v_cmp_eq_u32_e32 vcc, 7, v0
	v_cndmask_b32_e32 v43, v43, v19, vcc
	v_cmp_eq_u32_e32 vcc, 8, v0
	;; [unrolled: 2-line block ×3, first 2 shown]
	v_cndmask_b32_e32 v43, v43, v21, vcc
	s_waitcnt lgkmcnt(0)
	v_mul_f32_e32 v43, v43, v44
	s_cbranch_execz .LBB73_85
	s_branch .LBB73_86
.LBB73_84:
                                        ; implicit-def: $vgpr43
.LBB73_85:
	ds_read_b32 v43, v42
.LBB73_86:
	s_and_saveexec_b64 s[6:7], s[2:3]
	s_cbranch_execz .LBB73_96
; %bb.87:
	v_add_u32_e32 v44, -4, v0
	v_add_u32_e32 v45, -3, v0
	v_cmp_lt_u32_e32 vcc, 6, v44
	v_mov_b32_e32 v44, 3
	s_and_saveexec_b64 s[2:3], vcc
	s_cbranch_execz .LBB73_91
; %bb.88:
	v_and_b32_e32 v44, -8, v45
	v_sub_u32_e32 v46, 0, v44
	s_mov_b64 s[8:9], 10
	s_mov_b32 s12, 60
	s_mov_b64 s[10:11], 0
.LBB73_89:                              ; =>This Inner Loop Header: Depth=1
	s_add_i32 s13, s8, -7
	v_mov_b32_e32 v44, s12
	s_add_i32 s14, s8, -6
	s_set_gpr_idx_on s13, gpr_idx(SRC0)
	v_mov_b32_e32 v53, v12
	s_set_gpr_idx_off
	ds_read2_b32 v[47:48], v44 offset1:1
	s_add_i32 s15, s8, -5
	s_set_gpr_idx_on s14, gpr_idx(SRC0)
	v_mov_b32_e32 v54, v12
	s_set_gpr_idx_off
	s_add_i32 s16, s8, -4
	s_set_gpr_idx_on s15, gpr_idx(SRC0)
	v_mov_b32_e32 v55, v12
	s_set_gpr_idx_off
	ds_read2_b32 v[49:50], v44 offset0:2 offset1:3
	s_add_i32 s17, s8, -3
	s_set_gpr_idx_on s16, gpr_idx(SRC0)
	v_mov_b32_e32 v56, v12
	s_set_gpr_idx_off
	s_add_i32 s18, s8, -2
	s_set_gpr_idx_on s17, gpr_idx(SRC0)
	v_mov_b32_e32 v57, v12
	s_set_gpr_idx_off
	ds_read2_b32 v[51:52], v44 offset0:4 offset1:5
	s_add_i32 s19, s8, -1
	s_waitcnt lgkmcnt(2)
	v_fmac_f32_e32 v43, v53, v47
	s_set_gpr_idx_on s18, gpr_idx(SRC0)
	v_mov_b32_e32 v53, v12
	s_set_gpr_idx_off
	v_fmac_f32_e32 v43, v54, v48
	s_set_gpr_idx_on s19, gpr_idx(SRC0)
	v_mov_b32_e32 v54, v12
	s_set_gpr_idx_off
	ds_read2_b32 v[47:48], v44 offset0:6 offset1:7
	s_waitcnt lgkmcnt(2)
	v_fmac_f32_e32 v43, v55, v49
	s_set_gpr_idx_on s8, gpr_idx(SRC0)
	v_mov_b32_e32 v49, v12
	s_set_gpr_idx_off
	v_fmac_f32_e32 v43, v56, v50
	s_add_u32 s8, s8, 8
	s_waitcnt lgkmcnt(1)
	v_fmac_f32_e32 v43, v57, v51
	v_add_u32_e32 v44, s8, v46
	v_fmac_f32_e32 v43, v53, v52
	s_addc_u32 s9, s9, 0
	s_add_i32 s12, s12, 32
	s_add_i32 s13, s8, -7
	v_cmp_eq_u32_e32 vcc, 10, v44
	s_waitcnt lgkmcnt(0)
	v_fmac_f32_e32 v43, v54, v47
	v_mov_b32_e32 v44, s13
	s_or_b64 s[10:11], vcc, s[10:11]
	v_fmac_f32_e32 v43, v49, v48
	s_andn2_b64 exec, exec, s[10:11]
	s_cbranch_execnz .LBB73_89
; %bb.90:
	s_or_b64 exec, exec, s[10:11]
.LBB73_91:
	s_or_b64 exec, exec, s[2:3]
	v_and_b32_e32 v45, 7, v45
	v_cmp_ne_u32_e32 vcc, 0, v45
	s_and_saveexec_b64 s[8:9], vcc
	s_cbranch_execz .LBB73_95
; %bb.92:
	v_lshl_add_u32 v46, v44, 2, 48
	v_mov_b32_e32 v47, 0
	s_mov_b64 s[10:11], 0
.LBB73_93:                              ; =>This Inner Loop Header: Depth=1
	v_cmp_eq_u32_e32 vcc, 1, v44
	v_cndmask_b32_e32 v48, v12, v13, vcc
	v_add_u32_e32 v45, -1, v45
	v_cmp_eq_u32_e32 vcc, 2, v44
	v_cndmask_b32_e32 v48, v48, v14, vcc
	v_cmp_eq_u32_e32 vcc, 0, v45
	v_cmp_eq_u32_e64 s[2:3], 3, v44
	v_cndmask_b32_e64 v48, v48, v15, s[2:3]
	s_or_b64 s[10:11], vcc, s[10:11]
	v_cmp_eq_u32_e32 vcc, 4, v44
	v_cndmask_b32_e32 v48, v48, v16, vcc
	v_cmp_eq_u32_e32 vcc, 5, v44
	ds_read_b32 v49, v46
	v_cndmask_b32_e32 v48, v48, v17, vcc
	v_cmp_eq_u32_e32 vcc, 6, v44
	v_cndmask_b32_e32 v48, v48, v18, vcc
	v_cmp_eq_u32_e32 vcc, 7, v44
	;; [unrolled: 2-line block ×4, first 2 shown]
	v_add_co_u32_e64 v44, s[2:3], 1, v44
	v_cndmask_b32_e32 v48, v48, v21, vcc
	v_add_u32_e32 v46, 4, v46
	v_addc_co_u32_e64 v47, s[2:3], 0, v47, s[2:3]
	s_waitcnt lgkmcnt(0)
	v_fmac_f32_e32 v43, v48, v49
	s_andn2_b64 exec, exec, s[10:11]
	s_cbranch_execnz .LBB73_93
; %bb.94:
	s_or_b64 exec, exec, s[10:11]
.LBB73_95:
	s_or_b64 exec, exec, s[8:9]
.LBB73_96:
	s_or_b64 exec, exec, s[6:7]
	v_mov_b32_e32 v14, 0
	ds_read_b32 v14, v14 offset:8
	s_waitcnt lgkmcnt(0)
	v_mul_f32_e32 v14, v43, v14
.LBB73_97:
	s_or_b64 exec, exec, s[4:5]
	v_cmp_lt_u32_e64 s[2:3], 1, v0
	ds_write_b32 v42, v13
	s_waitcnt lgkmcnt(0)
	; wave barrier
	s_and_saveexec_b64 s[4:5], s[2:3]
	s_cbranch_execz .LBB73_113
; %bb.98:
	s_andn2_b64 vcc, exec, s[22:23]
	s_cbranch_vccnz .LBB73_100
; %bb.99:
	v_cmp_eq_u32_e32 vcc, 1, v0
	v_cndmask_b32_e32 v43, v12, v13, vcc
	v_cmp_eq_u32_e32 vcc, 2, v0
	v_cndmask_b32_e32 v43, v43, v14, vcc
	;; [unrolled: 2-line block ×5, first 2 shown]
	v_cmp_eq_u32_e32 vcc, 6, v0
	ds_read_b32 v44, v42
	v_cndmask_b32_e32 v43, v43, v18, vcc
	v_cmp_eq_u32_e32 vcc, 7, v0
	v_cndmask_b32_e32 v43, v43, v19, vcc
	v_cmp_eq_u32_e32 vcc, 8, v0
	;; [unrolled: 2-line block ×3, first 2 shown]
	v_cndmask_b32_e32 v43, v43, v21, vcc
	s_waitcnt lgkmcnt(0)
	v_mul_f32_e32 v43, v43, v44
	s_cbranch_execz .LBB73_101
	s_branch .LBB73_102
.LBB73_100:
                                        ; implicit-def: $vgpr43
.LBB73_101:
	ds_read_b32 v43, v42
.LBB73_102:
	s_and_saveexec_b64 s[6:7], s[0:1]
	s_cbranch_execz .LBB73_112
; %bb.103:
	v_add_u32_e32 v44, -3, v0
	v_add_u32_e32 v45, -2, v0
	v_cmp_lt_u32_e32 vcc, 6, v44
	v_mov_b32_e32 v44, 2
	s_and_saveexec_b64 s[0:1], vcc
	s_cbranch_execz .LBB73_107
; %bb.104:
	v_and_b32_e32 v44, -8, v45
	v_sub_u32_e32 v46, 0, v44
	s_mov_b64 s[8:9], 9
	s_mov_b32 s12, 56
	s_mov_b64 s[10:11], 0
.LBB73_105:                             ; =>This Inner Loop Header: Depth=1
	s_add_i32 s13, s8, -7
	v_mov_b32_e32 v44, s12
	s_add_i32 s14, s8, -6
	s_set_gpr_idx_on s13, gpr_idx(SRC0)
	v_mov_b32_e32 v55, v12
	s_set_gpr_idx_off
	ds_read2_b64 v[47:50], v44 offset1:1
	s_add_i32 s15, s8, -5
	s_set_gpr_idx_on s14, gpr_idx(SRC0)
	v_mov_b32_e32 v56, v12
	s_set_gpr_idx_off
	s_add_i32 s16, s8, -4
	s_set_gpr_idx_on s15, gpr_idx(SRC0)
	v_mov_b32_e32 v57, v12
	s_set_gpr_idx_off
	;; [unrolled: 4-line block ×4, first 2 shown]
	ds_read2_b64 v[51:54], v44 offset0:2 offset1:3
	s_add_i32 s19, s8, -1
	s_waitcnt lgkmcnt(1)
	v_fmac_f32_e32 v43, v55, v47
	s_set_gpr_idx_on s18, gpr_idx(SRC0)
	v_mov_b32_e32 v47, v12
	s_set_gpr_idx_off
	v_fmac_f32_e32 v43, v56, v48
	s_set_gpr_idx_on s19, gpr_idx(SRC0)
	v_mov_b32_e32 v48, v12
	s_set_gpr_idx_off
	v_fmac_f32_e32 v43, v57, v49
	s_set_gpr_idx_on s8, gpr_idx(SRC0)
	v_mov_b32_e32 v49, v12
	s_set_gpr_idx_off
	v_fmac_f32_e32 v43, v58, v50
	s_add_u32 s8, s8, 8
	s_waitcnt lgkmcnt(0)
	v_fmac_f32_e32 v43, v59, v51
	v_add_u32_e32 v44, s8, v46
	v_fmac_f32_e32 v43, v47, v52
	s_addc_u32 s9, s9, 0
	s_add_i32 s12, s12, 32
	s_add_i32 s13, s8, -7
	v_cmp_eq_u32_e32 vcc, 9, v44
	v_fmac_f32_e32 v43, v48, v53
	v_mov_b32_e32 v44, s13
	s_or_b64 s[10:11], vcc, s[10:11]
	v_fmac_f32_e32 v43, v49, v54
	s_andn2_b64 exec, exec, s[10:11]
	s_cbranch_execnz .LBB73_105
; %bb.106:
	s_or_b64 exec, exec, s[10:11]
.LBB73_107:
	s_or_b64 exec, exec, s[0:1]
	v_and_b32_e32 v45, 7, v45
	v_cmp_ne_u32_e32 vcc, 0, v45
	s_and_saveexec_b64 s[8:9], vcc
	s_cbranch_execz .LBB73_111
; %bb.108:
	v_lshl_add_u32 v46, v44, 2, 48
	v_mov_b32_e32 v47, 0
	s_mov_b64 s[10:11], 0
.LBB73_109:                             ; =>This Inner Loop Header: Depth=1
	v_cmp_eq_u32_e32 vcc, 1, v44
	v_cndmask_b32_e32 v48, v12, v13, vcc
	v_add_u32_e32 v45, -1, v45
	v_cmp_eq_u32_e32 vcc, 2, v44
	v_cndmask_b32_e32 v48, v48, v14, vcc
	v_cmp_eq_u32_e32 vcc, 0, v45
	v_cmp_eq_u32_e64 s[0:1], 3, v44
	v_cndmask_b32_e64 v48, v48, v15, s[0:1]
	s_or_b64 s[10:11], vcc, s[10:11]
	v_cmp_eq_u32_e32 vcc, 4, v44
	v_cndmask_b32_e32 v48, v48, v16, vcc
	v_cmp_eq_u32_e32 vcc, 5, v44
	ds_read_b32 v49, v46
	v_cndmask_b32_e32 v48, v48, v17, vcc
	v_cmp_eq_u32_e32 vcc, 6, v44
	v_cndmask_b32_e32 v48, v48, v18, vcc
	v_cmp_eq_u32_e32 vcc, 7, v44
	;; [unrolled: 2-line block ×4, first 2 shown]
	v_add_co_u32_e64 v44, s[0:1], 1, v44
	v_cndmask_b32_e32 v48, v48, v21, vcc
	v_add_u32_e32 v46, 4, v46
	v_addc_co_u32_e64 v47, s[0:1], 0, v47, s[0:1]
	s_waitcnt lgkmcnt(0)
	v_fmac_f32_e32 v43, v48, v49
	s_andn2_b64 exec, exec, s[10:11]
	s_cbranch_execnz .LBB73_109
; %bb.110:
	s_or_b64 exec, exec, s[10:11]
.LBB73_111:
	s_or_b64 exec, exec, s[8:9]
.LBB73_112:
	s_or_b64 exec, exec, s[6:7]
	v_mov_b32_e32 v13, 0
	ds_read_b32 v13, v13 offset:4
	s_waitcnt lgkmcnt(0)
	v_mul_f32_e32 v13, v43, v13
.LBB73_113:
	s_or_b64 exec, exec, s[4:5]
	v_cmp_ne_u32_e32 vcc, 0, v0
	ds_write_b32 v42, v12
	s_waitcnt lgkmcnt(0)
	; wave barrier
	s_and_saveexec_b64 s[4:5], vcc
	s_cbranch_execz .LBB73_129
; %bb.114:
	s_andn2_b64 vcc, exec, s[22:23]
	s_cbranch_vccnz .LBB73_116
; %bb.115:
	v_cmp_eq_u32_e32 vcc, 1, v0
	v_cndmask_b32_e32 v43, v12, v13, vcc
	v_cmp_eq_u32_e32 vcc, 2, v0
	v_cndmask_b32_e32 v43, v43, v14, vcc
	;; [unrolled: 2-line block ×5, first 2 shown]
	v_cmp_eq_u32_e32 vcc, 6, v0
	ds_read_b32 v44, v42
	v_cndmask_b32_e32 v43, v43, v18, vcc
	v_cmp_eq_u32_e32 vcc, 7, v0
	v_cndmask_b32_e32 v43, v43, v19, vcc
	v_cmp_eq_u32_e32 vcc, 8, v0
	;; [unrolled: 2-line block ×3, first 2 shown]
	v_cndmask_b32_e32 v43, v43, v21, vcc
	s_waitcnt lgkmcnt(0)
	v_mul_f32_e32 v43, v43, v44
	s_cbranch_execz .LBB73_117
	s_branch .LBB73_118
.LBB73_116:
                                        ; implicit-def: $vgpr43
.LBB73_117:
	ds_read_b32 v43, v42
.LBB73_118:
	s_and_saveexec_b64 s[6:7], s[2:3]
	s_cbranch_execz .LBB73_128
; %bb.119:
	v_add_u32_e32 v44, -2, v0
	v_add_u32_e32 v45, -1, v0
	v_cmp_lt_u32_e32 vcc, 6, v44
	v_mov_b32_e32 v44, 1
	s_and_saveexec_b64 s[0:1], vcc
	s_cbranch_execz .LBB73_123
; %bb.120:
	v_and_b32_e32 v44, -8, v45
	v_sub_u32_e32 v46, 0, v44
	s_mov_b64 s[2:3], 8
	s_mov_b32 s10, 52
	s_mov_b64 s[8:9], 0
.LBB73_121:                             ; =>This Inner Loop Header: Depth=1
	s_add_i32 s11, s2, -7
	v_mov_b32_e32 v44, s10
	s_add_i32 s12, s2, -6
	s_set_gpr_idx_on s11, gpr_idx(SRC0)
	v_mov_b32_e32 v53, v12
	s_set_gpr_idx_off
	ds_read2_b32 v[47:48], v44 offset1:1
	s_add_i32 s13, s2, -5
	s_set_gpr_idx_on s12, gpr_idx(SRC0)
	v_mov_b32_e32 v54, v12
	s_set_gpr_idx_off
	s_add_i32 s14, s2, -4
	s_set_gpr_idx_on s13, gpr_idx(SRC0)
	v_mov_b32_e32 v55, v12
	s_set_gpr_idx_off
	ds_read2_b32 v[49:50], v44 offset0:2 offset1:3
	s_add_i32 s15, s2, -3
	s_set_gpr_idx_on s14, gpr_idx(SRC0)
	v_mov_b32_e32 v56, v12
	s_set_gpr_idx_off
	s_add_i32 s16, s2, -2
	s_set_gpr_idx_on s15, gpr_idx(SRC0)
	v_mov_b32_e32 v57, v12
	s_set_gpr_idx_off
	ds_read2_b32 v[51:52], v44 offset0:4 offset1:5
	s_add_i32 s17, s2, -1
	s_waitcnt lgkmcnt(2)
	v_fmac_f32_e32 v43, v53, v47
	s_set_gpr_idx_on s16, gpr_idx(SRC0)
	v_mov_b32_e32 v53, v12
	s_set_gpr_idx_off
	v_fmac_f32_e32 v43, v54, v48
	s_set_gpr_idx_on s17, gpr_idx(SRC0)
	v_mov_b32_e32 v54, v12
	s_set_gpr_idx_off
	ds_read2_b32 v[47:48], v44 offset0:6 offset1:7
	s_waitcnt lgkmcnt(2)
	v_fmac_f32_e32 v43, v55, v49
	s_set_gpr_idx_on s2, gpr_idx(SRC0)
	v_mov_b32_e32 v49, v12
	s_set_gpr_idx_off
	v_fmac_f32_e32 v43, v56, v50
	s_add_u32 s2, s2, 8
	s_waitcnt lgkmcnt(1)
	v_fmac_f32_e32 v43, v57, v51
	v_add_u32_e32 v44, s2, v46
	v_fmac_f32_e32 v43, v53, v52
	s_addc_u32 s3, s3, 0
	s_add_i32 s10, s10, 32
	s_add_i32 s11, s2, -7
	v_cmp_eq_u32_e32 vcc, 8, v44
	s_waitcnt lgkmcnt(0)
	v_fmac_f32_e32 v43, v54, v47
	v_mov_b32_e32 v44, s11
	s_or_b64 s[8:9], vcc, s[8:9]
	v_fmac_f32_e32 v43, v49, v48
	s_andn2_b64 exec, exec, s[8:9]
	s_cbranch_execnz .LBB73_121
; %bb.122:
	s_or_b64 exec, exec, s[8:9]
.LBB73_123:
	s_or_b64 exec, exec, s[0:1]
	v_and_b32_e32 v45, 7, v45
	v_cmp_ne_u32_e32 vcc, 0, v45
	s_and_saveexec_b64 s[2:3], vcc
	s_cbranch_execz .LBB73_127
; %bb.124:
	v_lshl_add_u32 v46, v44, 2, 48
	v_mov_b32_e32 v47, 0
	s_mov_b64 s[8:9], 0
.LBB73_125:                             ; =>This Inner Loop Header: Depth=1
	v_cmp_eq_u32_e32 vcc, 1, v44
	v_cndmask_b32_e32 v48, v12, v13, vcc
	v_add_u32_e32 v45, -1, v45
	v_cmp_eq_u32_e32 vcc, 2, v44
	v_cndmask_b32_e32 v48, v48, v14, vcc
	v_cmp_eq_u32_e32 vcc, 0, v45
	v_cmp_eq_u32_e64 s[0:1], 3, v44
	v_cndmask_b32_e64 v48, v48, v15, s[0:1]
	s_or_b64 s[8:9], vcc, s[8:9]
	v_cmp_eq_u32_e32 vcc, 4, v44
	v_cndmask_b32_e32 v48, v48, v16, vcc
	v_cmp_eq_u32_e32 vcc, 5, v44
	ds_read_b32 v49, v46
	v_cndmask_b32_e32 v48, v48, v17, vcc
	v_cmp_eq_u32_e32 vcc, 6, v44
	v_cndmask_b32_e32 v48, v48, v18, vcc
	v_cmp_eq_u32_e32 vcc, 7, v44
	;; [unrolled: 2-line block ×4, first 2 shown]
	v_add_co_u32_e64 v44, s[0:1], 1, v44
	v_cndmask_b32_e32 v48, v48, v21, vcc
	v_add_u32_e32 v46, 4, v46
	v_addc_co_u32_e64 v47, s[0:1], 0, v47, s[0:1]
	s_waitcnt lgkmcnt(0)
	v_fmac_f32_e32 v43, v48, v49
	s_andn2_b64 exec, exec, s[8:9]
	s_cbranch_execnz .LBB73_125
; %bb.126:
	s_or_b64 exec, exec, s[8:9]
.LBB73_127:
	s_or_b64 exec, exec, s[2:3]
.LBB73_128:
	s_or_b64 exec, exec, s[6:7]
	v_mov_b32_e32 v12, 0
	ds_read_b32 v12, v12
	s_waitcnt lgkmcnt(0)
	v_mul_f32_e32 v12, v43, v12
.LBB73_129:
	s_or_b64 exec, exec, s[4:5]
	s_branch .LBB73_223
.LBB73_130:
	v_cmp_eq_u32_e64 s[0:1], 0, v0
	s_waitcnt vmcnt(0) lgkmcnt(0)
	ds_write_b32 v42, v3
	s_waitcnt lgkmcnt(0)
	; wave barrier
	s_and_saveexec_b64 s[2:3], s[0:1]
	s_cbranch_execz .LBB73_136
; %bb.131:
	s_and_b64 vcc, exec, s[22:23]
	s_cbranch_vccz .LBB73_133
; %bb.132:
	v_cmp_eq_u32_e32 vcc, 1, v0
	v_cndmask_b32_e32 v3, v2, v3, vcc
	v_cmp_eq_u32_e32 vcc, 2, v0
	v_cndmask_b32_e32 v3, v3, v4, vcc
	;; [unrolled: 2-line block ×5, first 2 shown]
	v_cmp_eq_u32_e32 vcc, 6, v0
	ds_read_b32 v12, v42
	v_cndmask_b32_e32 v3, v3, v8, vcc
	v_cmp_eq_u32_e32 vcc, 7, v0
	v_cndmask_b32_e32 v3, v3, v9, vcc
	v_cmp_eq_u32_e32 vcc, 8, v0
	;; [unrolled: 2-line block ×3, first 2 shown]
	v_cndmask_b32_e32 v3, v3, v11, vcc
	s_waitcnt lgkmcnt(0)
	v_mul_f32_e32 v3, v3, v12
	s_cbranch_execz .LBB73_134
	s_branch .LBB73_135
.LBB73_133:
                                        ; implicit-def: $vgpr3
.LBB73_134:
	ds_read_b32 v3, v42
.LBB73_135:
	v_mov_b32_e32 v12, 0
	ds_read_b32 v12, v12 offset:4
	s_waitcnt lgkmcnt(0)
	v_mul_f32_e32 v3, v3, v12
.LBB73_136:
	s_or_b64 exec, exec, s[2:3]
	v_cndmask_b32_e64 v12, 0, 1, s[22:23]
	v_cmp_gt_u32_e64 s[2:3], 2, v0
	v_cmp_ne_u32_e64 s[4:5], 1, v12
	ds_write_b32 v42, v4
	s_waitcnt lgkmcnt(0)
	; wave barrier
	s_and_saveexec_b64 s[6:7], s[2:3]
	s_cbranch_execz .LBB73_142
; %bb.137:
	s_and_b64 vcc, exec, s[4:5]
	s_cbranch_vccnz .LBB73_139
; %bb.138:
	v_cmp_eq_u32_e32 vcc, 1, v0
	v_cndmask_b32_e32 v12, v2, v3, vcc
	v_cmp_eq_u32_e32 vcc, 2, v0
	v_cndmask_b32_e32 v4, v12, v4, vcc
	;; [unrolled: 2-line block ×5, first 2 shown]
	v_cmp_eq_u32_e32 vcc, 6, v0
	ds_read_b32 v12, v42
	v_cndmask_b32_e32 v4, v4, v8, vcc
	v_cmp_eq_u32_e32 vcc, 7, v0
	v_cndmask_b32_e32 v4, v4, v9, vcc
	v_cmp_eq_u32_e32 vcc, 8, v0
	;; [unrolled: 2-line block ×3, first 2 shown]
	v_cndmask_b32_e32 v4, v4, v11, vcc
	s_waitcnt lgkmcnt(0)
	v_mul_f32_e32 v4, v4, v12
	s_cbranch_execz .LBB73_140
	s_branch .LBB73_141
.LBB73_139:
                                        ; implicit-def: $vgpr4
.LBB73_140:
	ds_read_b32 v4, v42
.LBB73_141:
	v_mov_b32_e32 v12, 0
	ds_read2_b32 v[12:13], v12 offset0:2 offset1:13
	s_waitcnt lgkmcnt(0)
	v_fma_f32 v13, v3, v13, v4
	v_cndmask_b32_e64 v4, v4, v13, s[0:1]
	v_mul_f32_e32 v4, v4, v12
.LBB73_142:
	s_or_b64 exec, exec, s[6:7]
	v_add_u32_e32 v14, 1, v0
	v_cmp_gt_u32_e32 vcc, 3, v0
	ds_write_b32 v42, v5
	s_waitcnt lgkmcnt(0)
	; wave barrier
	s_and_saveexec_b64 s[6:7], vcc
	s_cbranch_execz .LBB73_150
; %bb.143:
	s_and_b64 vcc, exec, s[4:5]
	s_cbranch_vccnz .LBB73_145
; %bb.144:
	v_cmp_eq_u32_e32 vcc, 1, v0
	v_cndmask_b32_e32 v12, v2, v3, vcc
	v_cmp_eq_u32_e32 vcc, 2, v0
	v_cndmask_b32_e32 v12, v12, v4, vcc
	;; [unrolled: 2-line block ×5, first 2 shown]
	v_cmp_eq_u32_e32 vcc, 6, v0
	ds_read_b32 v13, v42
	v_cndmask_b32_e32 v12, v12, v8, vcc
	v_cmp_eq_u32_e32 vcc, 7, v0
	v_cndmask_b32_e32 v12, v12, v9, vcc
	v_cmp_eq_u32_e32 vcc, 8, v0
	;; [unrolled: 2-line block ×3, first 2 shown]
	v_cndmask_b32_e32 v12, v12, v11, vcc
	s_waitcnt lgkmcnt(0)
	v_mul_f32_e32 v12, v12, v13
	s_cbranch_execz .LBB73_146
	s_branch .LBB73_147
.LBB73_145:
                                        ; implicit-def: $vgpr12
.LBB73_146:
	ds_read_b32 v12, v42
.LBB73_147:
	v_cmp_ne_u32_e32 vcc, 2, v0
	s_and_saveexec_b64 s[8:9], vcc
	s_cbranch_execz .LBB73_149
; %bb.148:
	v_cmp_eq_u32_e32 vcc, 1, v14
	v_cndmask_b32_e32 v13, v2, v3, vcc
	v_cmp_eq_u32_e32 vcc, 2, v14
	v_cndmask_b32_e32 v13, v13, v4, vcc
	;; [unrolled: 2-line block ×5, first 2 shown]
	v_cmp_eq_u32_e32 vcc, 6, v14
	v_mov_b32_e32 v13, 0
	v_cndmask_b32_e32 v5, v5, v8, vcc
	v_cmp_eq_u32_e32 vcc, 7, v14
	ds_read_b32 v15, v42 offset:4
	ds_read_b32 v13, v13 offset:56
	v_cndmask_b32_e32 v5, v5, v9, vcc
	v_cmp_eq_u32_e32 vcc, 8, v14
	v_cndmask_b32_e32 v5, v5, v10, vcc
	v_cmp_eq_u32_e32 vcc, 9, v14
	v_cndmask_b32_e32 v5, v5, v11, vcc
	s_waitcnt lgkmcnt(1)
	v_fmac_f32_e32 v12, v5, v15
	s_waitcnt lgkmcnt(0)
	v_fma_f32 v5, v4, v13, v12
	v_cndmask_b32_e64 v12, v12, v5, s[0:1]
.LBB73_149:
	s_or_b64 exec, exec, s[8:9]
	v_mov_b32_e32 v5, 0
	ds_read_b32 v5, v5 offset:12
	s_waitcnt lgkmcnt(0)
	v_mul_f32_e32 v5, v12, v5
.LBB73_150:
	s_or_b64 exec, exec, s[6:7]
	v_cmp_gt_u32_e64 s[6:7], 4, v0
	ds_write_b32 v42, v6
	s_waitcnt lgkmcnt(0)
	; wave barrier
	s_and_saveexec_b64 s[10:11], s[6:7]
	s_cbranch_execz .LBB73_160
; %bb.151:
	s_and_b64 vcc, exec, s[4:5]
	s_cbranch_vccnz .LBB73_153
; %bb.152:
	v_cmp_eq_u32_e32 vcc, 1, v0
	v_cndmask_b32_e32 v12, v2, v3, vcc
	v_cmp_eq_u32_e32 vcc, 2, v0
	v_cndmask_b32_e32 v12, v12, v4, vcc
	;; [unrolled: 2-line block ×5, first 2 shown]
	v_cmp_eq_u32_e32 vcc, 6, v0
	ds_read_b32 v13, v42
	v_cndmask_b32_e32 v12, v12, v8, vcc
	v_cmp_eq_u32_e32 vcc, 7, v0
	v_cndmask_b32_e32 v12, v12, v9, vcc
	v_cmp_eq_u32_e32 vcc, 8, v0
	;; [unrolled: 2-line block ×3, first 2 shown]
	v_cndmask_b32_e32 v12, v12, v11, vcc
	s_waitcnt lgkmcnt(0)
	v_mul_f32_e32 v15, v12, v13
	s_cbranch_execz .LBB73_154
	s_branch .LBB73_155
.LBB73_153:
                                        ; implicit-def: $vgpr15
.LBB73_154:
	ds_read_b32 v15, v42
.LBB73_155:
	v_cmp_ne_u32_e32 vcc, 3, v0
	s_and_saveexec_b64 s[12:13], vcc
	s_cbranch_execz .LBB73_159
; %bb.156:
	v_mov_b32_e32 v13, v1
	v_lshl_add_u32 v16, v0, 2, 52
	s_mov_b64 s[14:15], 0
	v_mov_b32_e32 v12, v0
.LBB73_157:                             ; =>This Inner Loop Header: Depth=1
	v_add_co_u32_e32 v12, vcc, 1, v12
	v_addc_co_u32_e32 v13, vcc, 0, v13, vcc
	v_cmp_eq_u32_e32 vcc, 1, v12
	v_cndmask_b32_e32 v18, v2, v3, vcc
	v_cmp_lt_u32_e32 vcc, 2, v12
	v_cmp_eq_u32_e64 s[8:9], 2, v12
	v_cndmask_b32_e64 v18, v18, v4, s[8:9]
	s_or_b64 s[14:15], vcc, s[14:15]
	v_cmp_eq_u32_e32 vcc, 3, v12
	v_cndmask_b32_e32 v18, v18, v5, vcc
	v_cmp_eq_u32_e32 vcc, 4, v12
	v_cndmask_b32_e32 v18, v18, v6, vcc
	v_cmp_eq_u32_e32 vcc, 5, v12
	ds_read_b32 v17, v16
	v_cndmask_b32_e32 v18, v18, v7, vcc
	v_cmp_eq_u32_e32 vcc, 6, v12
	v_cndmask_b32_e32 v18, v18, v8, vcc
	v_cmp_eq_u32_e32 vcc, 7, v12
	;; [unrolled: 2-line block ×4, first 2 shown]
	v_cndmask_b32_e32 v18, v18, v11, vcc
	v_add_u32_e32 v16, 4, v16
	s_waitcnt lgkmcnt(0)
	v_fmac_f32_e32 v15, v18, v17
	s_andn2_b64 exec, exec, s[14:15]
	s_cbranch_execnz .LBB73_157
; %bb.158:
	s_or_b64 exec, exec, s[14:15]
.LBB73_159:
	s_or_b64 exec, exec, s[12:13]
	v_mov_b32_e32 v6, 0
	ds_read_b32 v6, v6 offset:16
	s_waitcnt lgkmcnt(0)
	v_mul_f32_e32 v6, v15, v6
.LBB73_160:
	s_or_b64 exec, exec, s[10:11]
	v_cmp_gt_u32_e32 vcc, 5, v0
	ds_write_b32 v42, v7
	s_waitcnt lgkmcnt(0)
	; wave barrier
	s_and_saveexec_b64 s[10:11], vcc
	s_cbranch_execz .LBB73_170
; %bb.161:
	s_and_b64 vcc, exec, s[4:5]
	s_cbranch_vccnz .LBB73_163
; %bb.162:
	v_cmp_eq_u32_e32 vcc, 1, v0
	v_cndmask_b32_e32 v12, v2, v3, vcc
	v_cmp_eq_u32_e32 vcc, 2, v0
	v_cndmask_b32_e32 v12, v12, v4, vcc
	;; [unrolled: 2-line block ×5, first 2 shown]
	v_cmp_eq_u32_e32 vcc, 6, v0
	ds_read_b32 v13, v42
	v_cndmask_b32_e32 v12, v12, v8, vcc
	v_cmp_eq_u32_e32 vcc, 7, v0
	v_cndmask_b32_e32 v12, v12, v9, vcc
	v_cmp_eq_u32_e32 vcc, 8, v0
	;; [unrolled: 2-line block ×3, first 2 shown]
	v_cndmask_b32_e32 v12, v12, v11, vcc
	s_waitcnt lgkmcnt(0)
	v_mul_f32_e32 v15, v12, v13
	s_cbranch_execz .LBB73_164
	s_branch .LBB73_165
.LBB73_163:
                                        ; implicit-def: $vgpr15
.LBB73_164:
	ds_read_b32 v15, v42
.LBB73_165:
	v_cmp_ne_u32_e32 vcc, 4, v0
	s_and_saveexec_b64 s[12:13], vcc
	s_cbranch_execz .LBB73_169
; %bb.166:
	v_mov_b32_e32 v13, v1
	v_lshl_add_u32 v16, v0, 2, 52
	s_mov_b64 s[14:15], 0
	v_mov_b32_e32 v12, v0
.LBB73_167:                             ; =>This Inner Loop Header: Depth=1
	v_add_co_u32_e32 v12, vcc, 1, v12
	v_addc_co_u32_e32 v13, vcc, 0, v13, vcc
	v_cmp_eq_u32_e32 vcc, 1, v12
	v_cndmask_b32_e32 v18, v2, v3, vcc
	v_cmp_lt_u32_e32 vcc, 3, v12
	v_cmp_eq_u32_e64 s[8:9], 2, v12
	v_cndmask_b32_e64 v18, v18, v4, s[8:9]
	s_or_b64 s[14:15], vcc, s[14:15]
	v_cmp_eq_u32_e32 vcc, 3, v12
	v_cndmask_b32_e32 v18, v18, v5, vcc
	v_cmp_eq_u32_e32 vcc, 4, v12
	v_cndmask_b32_e32 v18, v18, v6, vcc
	v_cmp_eq_u32_e32 vcc, 5, v12
	ds_read_b32 v17, v16
	v_cndmask_b32_e32 v18, v18, v7, vcc
	v_cmp_eq_u32_e32 vcc, 6, v12
	v_cndmask_b32_e32 v18, v18, v8, vcc
	v_cmp_eq_u32_e32 vcc, 7, v12
	;; [unrolled: 2-line block ×4, first 2 shown]
	v_cndmask_b32_e32 v18, v18, v11, vcc
	v_add_u32_e32 v16, 4, v16
	s_waitcnt lgkmcnt(0)
	v_fmac_f32_e32 v15, v18, v17
	s_andn2_b64 exec, exec, s[14:15]
	s_cbranch_execnz .LBB73_167
; %bb.168:
	s_or_b64 exec, exec, s[14:15]
.LBB73_169:
	s_or_b64 exec, exec, s[12:13]
	v_mov_b32_e32 v7, 0
	ds_read_b32 v7, v7 offset:20
	s_waitcnt lgkmcnt(0)
	v_mul_f32_e32 v7, v15, v7
.LBB73_170:
	s_or_b64 exec, exec, s[10:11]
	v_cmp_gt_u32_e64 s[8:9], 6, v0
	ds_write_b32 v42, v8
	s_waitcnt lgkmcnt(0)
	; wave barrier
	s_and_saveexec_b64 s[12:13], s[8:9]
	s_cbranch_execz .LBB73_180
; %bb.171:
	s_and_b64 vcc, exec, s[4:5]
	s_cbranch_vccnz .LBB73_173
; %bb.172:
	v_cmp_eq_u32_e32 vcc, 1, v0
	v_cndmask_b32_e32 v12, v2, v3, vcc
	v_cmp_eq_u32_e32 vcc, 2, v0
	v_cndmask_b32_e32 v12, v12, v4, vcc
	;; [unrolled: 2-line block ×5, first 2 shown]
	v_cmp_eq_u32_e32 vcc, 6, v0
	ds_read_b32 v13, v42
	v_cndmask_b32_e32 v12, v12, v8, vcc
	v_cmp_eq_u32_e32 vcc, 7, v0
	v_cndmask_b32_e32 v12, v12, v9, vcc
	v_cmp_eq_u32_e32 vcc, 8, v0
	;; [unrolled: 2-line block ×3, first 2 shown]
	v_cndmask_b32_e32 v12, v12, v11, vcc
	s_waitcnt lgkmcnt(0)
	v_mul_f32_e32 v15, v12, v13
	s_cbranch_execz .LBB73_174
	s_branch .LBB73_175
.LBB73_173:
                                        ; implicit-def: $vgpr15
.LBB73_174:
	ds_read_b32 v15, v42
.LBB73_175:
	v_cmp_ne_u32_e32 vcc, 5, v0
	s_and_saveexec_b64 s[14:15], vcc
	s_cbranch_execz .LBB73_179
; %bb.176:
	v_mov_b32_e32 v13, v1
	v_lshl_add_u32 v16, v0, 2, 52
	s_mov_b64 s[16:17], 0
	v_mov_b32_e32 v12, v0
.LBB73_177:                             ; =>This Inner Loop Header: Depth=1
	v_add_co_u32_e32 v12, vcc, 1, v12
	v_addc_co_u32_e32 v13, vcc, 0, v13, vcc
	v_cmp_eq_u32_e32 vcc, 1, v12
	v_cndmask_b32_e32 v18, v2, v3, vcc
	v_cmp_lt_u32_e32 vcc, 4, v12
	v_cmp_eq_u32_e64 s[10:11], 2, v12
	v_cndmask_b32_e64 v18, v18, v4, s[10:11]
	s_or_b64 s[16:17], vcc, s[16:17]
	v_cmp_eq_u32_e32 vcc, 3, v12
	v_cndmask_b32_e32 v18, v18, v5, vcc
	v_cmp_eq_u32_e32 vcc, 4, v12
	v_cndmask_b32_e32 v18, v18, v6, vcc
	v_cmp_eq_u32_e32 vcc, 5, v12
	ds_read_b32 v17, v16
	v_cndmask_b32_e32 v18, v18, v7, vcc
	v_cmp_eq_u32_e32 vcc, 6, v12
	v_cndmask_b32_e32 v18, v18, v8, vcc
	v_cmp_eq_u32_e32 vcc, 7, v12
	;; [unrolled: 2-line block ×4, first 2 shown]
	v_cndmask_b32_e32 v18, v18, v11, vcc
	v_add_u32_e32 v16, 4, v16
	s_waitcnt lgkmcnt(0)
	v_fmac_f32_e32 v15, v18, v17
	s_andn2_b64 exec, exec, s[16:17]
	s_cbranch_execnz .LBB73_177
; %bb.178:
	s_or_b64 exec, exec, s[16:17]
.LBB73_179:
	s_or_b64 exec, exec, s[14:15]
	v_mov_b32_e32 v8, 0
	ds_read_b32 v8, v8 offset:24
	s_waitcnt lgkmcnt(0)
	v_mul_f32_e32 v8, v15, v8
.LBB73_180:
	s_or_b64 exec, exec, s[12:13]
	v_cmp_gt_u32_e32 vcc, 7, v0
	ds_write_b32 v42, v9
	s_waitcnt lgkmcnt(0)
	; wave barrier
	s_and_saveexec_b64 s[12:13], vcc
	s_cbranch_execz .LBB73_190
; %bb.181:
	s_and_b64 vcc, exec, s[4:5]
	s_cbranch_vccnz .LBB73_183
; %bb.182:
	v_cmp_eq_u32_e32 vcc, 1, v0
	v_cndmask_b32_e32 v12, v2, v3, vcc
	v_cmp_eq_u32_e32 vcc, 2, v0
	v_cndmask_b32_e32 v12, v12, v4, vcc
	;; [unrolled: 2-line block ×5, first 2 shown]
	v_cmp_eq_u32_e32 vcc, 6, v0
	ds_read_b32 v13, v42
	v_cndmask_b32_e32 v12, v12, v8, vcc
	v_cmp_eq_u32_e32 vcc, 7, v0
	v_cndmask_b32_e32 v12, v12, v9, vcc
	v_cmp_eq_u32_e32 vcc, 8, v0
	;; [unrolled: 2-line block ×3, first 2 shown]
	v_cndmask_b32_e32 v12, v12, v11, vcc
	s_waitcnt lgkmcnt(0)
	v_mul_f32_e32 v15, v12, v13
	s_cbranch_execz .LBB73_184
	s_branch .LBB73_185
.LBB73_183:
                                        ; implicit-def: $vgpr15
.LBB73_184:
	ds_read_b32 v15, v42
.LBB73_185:
	v_cmp_ne_u32_e32 vcc, 6, v0
	s_and_saveexec_b64 s[14:15], vcc
	s_cbranch_execz .LBB73_189
; %bb.186:
	v_mov_b32_e32 v13, v1
	v_lshl_add_u32 v16, v0, 2, 52
	s_mov_b64 s[16:17], 0
	v_mov_b32_e32 v12, v0
.LBB73_187:                             ; =>This Inner Loop Header: Depth=1
	v_add_co_u32_e32 v12, vcc, 1, v12
	v_addc_co_u32_e32 v13, vcc, 0, v13, vcc
	v_cmp_eq_u32_e32 vcc, 1, v12
	v_cndmask_b32_e32 v18, v2, v3, vcc
	v_cmp_lt_u32_e32 vcc, 5, v12
	v_cmp_eq_u32_e64 s[10:11], 2, v12
	v_cndmask_b32_e64 v18, v18, v4, s[10:11]
	s_or_b64 s[16:17], vcc, s[16:17]
	v_cmp_eq_u32_e32 vcc, 3, v12
	v_cndmask_b32_e32 v18, v18, v5, vcc
	v_cmp_eq_u32_e32 vcc, 4, v12
	v_cndmask_b32_e32 v18, v18, v6, vcc
	v_cmp_eq_u32_e32 vcc, 5, v12
	ds_read_b32 v17, v16
	v_cndmask_b32_e32 v18, v18, v7, vcc
	v_cmp_eq_u32_e32 vcc, 6, v12
	v_cndmask_b32_e32 v18, v18, v8, vcc
	v_cmp_eq_u32_e32 vcc, 7, v12
	;; [unrolled: 2-line block ×4, first 2 shown]
	v_cndmask_b32_e32 v18, v18, v11, vcc
	v_add_u32_e32 v16, 4, v16
	s_waitcnt lgkmcnt(0)
	v_fmac_f32_e32 v15, v18, v17
	s_andn2_b64 exec, exec, s[16:17]
	s_cbranch_execnz .LBB73_187
; %bb.188:
	s_or_b64 exec, exec, s[16:17]
.LBB73_189:
	s_or_b64 exec, exec, s[14:15]
	v_mov_b32_e32 v9, 0
	ds_read_b32 v9, v9 offset:28
	s_waitcnt lgkmcnt(0)
	v_mul_f32_e32 v9, v15, v9
.LBB73_190:
	s_or_b64 exec, exec, s[12:13]
	v_cmp_gt_u32_e64 s[10:11], 8, v0
	ds_write_b32 v42, v10
	s_waitcnt lgkmcnt(0)
	; wave barrier
	s_and_saveexec_b64 s[14:15], s[10:11]
	s_cbranch_execz .LBB73_200
; %bb.191:
	s_and_b64 vcc, exec, s[4:5]
	s_cbranch_vccnz .LBB73_193
; %bb.192:
	v_cmp_eq_u32_e32 vcc, 1, v0
	v_cndmask_b32_e32 v12, v2, v3, vcc
	v_cmp_eq_u32_e32 vcc, 2, v0
	v_cndmask_b32_e32 v12, v12, v4, vcc
	;; [unrolled: 2-line block ×5, first 2 shown]
	v_cmp_eq_u32_e32 vcc, 6, v0
	ds_read_b32 v13, v42
	v_cndmask_b32_e32 v12, v12, v8, vcc
	v_cmp_eq_u32_e32 vcc, 7, v0
	v_cndmask_b32_e32 v12, v12, v9, vcc
	v_cmp_eq_u32_e32 vcc, 8, v0
	v_cndmask_b32_e32 v12, v12, v10, vcc
	v_cmp_eq_u32_e32 vcc, 9, v0
	v_cndmask_b32_e32 v12, v12, v11, vcc
	s_waitcnt lgkmcnt(0)
	v_mul_f32_e32 v15, v12, v13
	s_cbranch_execz .LBB73_194
	s_branch .LBB73_195
.LBB73_193:
                                        ; implicit-def: $vgpr15
.LBB73_194:
	ds_read_b32 v15, v42
.LBB73_195:
	v_cmp_ne_u32_e32 vcc, 7, v0
	s_and_saveexec_b64 s[16:17], vcc
	s_cbranch_execz .LBB73_199
; %bb.196:
	v_mov_b32_e32 v13, v1
	v_lshl_add_u32 v16, v0, 2, 52
	s_mov_b64 s[18:19], 0
	v_mov_b32_e32 v12, v0
.LBB73_197:                             ; =>This Inner Loop Header: Depth=1
	v_add_co_u32_e32 v12, vcc, 1, v12
	v_addc_co_u32_e32 v13, vcc, 0, v13, vcc
	v_cmp_eq_u32_e32 vcc, 1, v12
	v_cndmask_b32_e32 v17, v2, v3, vcc
	v_cmp_lt_u32_e32 vcc, 6, v12
	v_cmp_eq_u32_e64 s[12:13], 2, v12
	v_cndmask_b32_e64 v17, v17, v4, s[12:13]
	s_or_b64 s[18:19], vcc, s[18:19]
	v_cmp_eq_u32_e32 vcc, 3, v12
	v_cndmask_b32_e32 v17, v17, v5, vcc
	v_cmp_eq_u32_e32 vcc, 4, v12
	v_cndmask_b32_e32 v17, v17, v6, vcc
	v_cmp_eq_u32_e32 vcc, 5, v12
	ds_read_b32 v1, v16
	v_cndmask_b32_e32 v17, v17, v7, vcc
	v_cmp_eq_u32_e32 vcc, 6, v12
	v_cndmask_b32_e32 v17, v17, v8, vcc
	v_cmp_eq_u32_e32 vcc, 7, v12
	;; [unrolled: 2-line block ×4, first 2 shown]
	v_cndmask_b32_e32 v17, v17, v11, vcc
	v_add_u32_e32 v16, 4, v16
	s_waitcnt lgkmcnt(0)
	v_fmac_f32_e32 v15, v17, v1
	s_andn2_b64 exec, exec, s[18:19]
	s_cbranch_execnz .LBB73_197
; %bb.198:
	s_or_b64 exec, exec, s[18:19]
.LBB73_199:
	s_or_b64 exec, exec, s[16:17]
	v_mov_b32_e32 v1, 0
	ds_read_b32 v1, v1 offset:32
	s_waitcnt lgkmcnt(0)
	v_mul_f32_e32 v10, v15, v1
.LBB73_200:
	s_or_b64 exec, exec, s[14:15]
	v_cmp_ne_u32_e32 vcc, 9, v0
	ds_write_b32 v42, v11
	s_waitcnt lgkmcnt(0)
	; wave barrier
	s_and_saveexec_b64 s[12:13], vcc
	s_cbranch_execz .LBB73_222
; %bb.201:
	s_and_b64 vcc, exec, s[4:5]
	s_cbranch_vccnz .LBB73_203
; %bb.202:
	v_cmp_eq_u32_e32 vcc, 1, v0
	v_cndmask_b32_e32 v1, v2, v3, vcc
	v_cmp_eq_u32_e32 vcc, 2, v0
	v_cndmask_b32_e32 v1, v1, v4, vcc
	;; [unrolled: 2-line block ×5, first 2 shown]
	v_cmp_eq_u32_e32 vcc, 6, v0
	ds_read_b32 v12, v42
	v_cndmask_b32_e32 v1, v1, v8, vcc
	v_cmp_eq_u32_e32 vcc, 7, v0
	v_cndmask_b32_e32 v1, v1, v9, vcc
	v_cmp_eq_u32_e32 vcc, 8, v0
	v_cndmask_b32_e32 v1, v1, v10, vcc
	v_cmp_eq_u32_e32 vcc, 9, v0
	v_cndmask_b32_e32 v1, v1, v11, vcc
	s_waitcnt lgkmcnt(0)
	v_mul_f32_e32 v1, v1, v12
	s_cbranch_execz .LBB73_204
	s_branch .LBB73_205
.LBB73_203:
                                        ; implicit-def: $vgpr1
.LBB73_204:
	ds_read_b32 v1, v42
.LBB73_205:
	s_and_saveexec_b64 s[4:5], s[10:11]
	s_cbranch_execz .LBB73_221
; %bb.206:
	v_cmp_eq_u32_e32 vcc, 1, v14
	v_cndmask_b32_e32 v12, v2, v3, vcc
	v_cmp_eq_u32_e32 vcc, 2, v14
	v_cndmask_b32_e32 v12, v12, v4, vcc
	v_cmp_eq_u32_e32 vcc, 3, v14
	v_cndmask_b32_e32 v12, v12, v5, vcc
	v_cmp_eq_u32_e32 vcc, 4, v14
	v_cndmask_b32_e32 v12, v12, v6, vcc
	v_cmp_eq_u32_e32 vcc, 5, v14
	v_cndmask_b32_e32 v12, v12, v7, vcc
	v_cmp_eq_u32_e32 vcc, 6, v14
	ds_read_b32 v13, v42 offset:4
	v_cndmask_b32_e32 v12, v12, v8, vcc
	v_cmp_eq_u32_e32 vcc, 7, v14
	v_cndmask_b32_e32 v12, v12, v9, vcc
	v_cmp_eq_u32_e32 vcc, 8, v14
	v_cndmask_b32_e32 v12, v12, v10, vcc
	v_cmp_eq_u32_e32 vcc, 9, v14
	v_cndmask_b32_e32 v12, v12, v11, vcc
	s_waitcnt lgkmcnt(0)
	v_fmac_f32_e32 v1, v12, v13
	v_cmp_ne_u32_e32 vcc, 7, v0
	s_and_saveexec_b64 s[10:11], vcc
	s_cbranch_execz .LBB73_220
; %bb.207:
	v_add_u32_e32 v12, 2, v0
	v_cmp_eq_u32_e32 vcc, 1, v12
	v_cndmask_b32_e32 v13, v2, v3, vcc
	v_cmp_eq_u32_e32 vcc, 2, v12
	v_cndmask_b32_e32 v13, v13, v4, vcc
	v_cmp_eq_u32_e32 vcc, 3, v12
	v_cndmask_b32_e32 v13, v13, v5, vcc
	v_cmp_eq_u32_e32 vcc, 4, v12
	v_cndmask_b32_e32 v13, v13, v6, vcc
	v_cmp_eq_u32_e32 vcc, 5, v12
	v_cndmask_b32_e32 v13, v13, v7, vcc
	v_cmp_eq_u32_e32 vcc, 6, v12
	ds_read_b32 v14, v42 offset:8
	v_cndmask_b32_e32 v13, v13, v8, vcc
	v_cmp_eq_u32_e32 vcc, 7, v12
	v_cndmask_b32_e32 v13, v13, v9, vcc
	v_cmp_eq_u32_e32 vcc, 8, v12
	v_cndmask_b32_e32 v13, v13, v10, vcc
	v_cmp_eq_u32_e32 vcc, 9, v12
	v_cndmask_b32_e32 v12, v13, v11, vcc
	s_waitcnt lgkmcnt(0)
	v_fmac_f32_e32 v1, v12, v14
	s_and_saveexec_b64 s[14:15], s[8:9]
	s_cbranch_execz .LBB73_219
; %bb.208:
	v_add_u32_e32 v12, 3, v0
	v_cmp_eq_u32_e32 vcc, 1, v12
	v_cndmask_b32_e32 v13, v2, v3, vcc
	v_cmp_eq_u32_e32 vcc, 2, v12
	v_cndmask_b32_e32 v13, v13, v4, vcc
	v_cmp_eq_u32_e32 vcc, 3, v12
	v_cndmask_b32_e32 v13, v13, v5, vcc
	v_cmp_eq_u32_e32 vcc, 4, v12
	v_cndmask_b32_e32 v13, v13, v6, vcc
	v_cmp_eq_u32_e32 vcc, 5, v12
	v_cndmask_b32_e32 v13, v13, v7, vcc
	v_cmp_eq_u32_e32 vcc, 6, v12
	ds_read_b32 v14, v42 offset:12
	v_cndmask_b32_e32 v13, v13, v8, vcc
	v_cmp_eq_u32_e32 vcc, 7, v12
	v_cndmask_b32_e32 v13, v13, v9, vcc
	v_cmp_eq_u32_e32 vcc, 8, v12
	v_cndmask_b32_e32 v13, v13, v10, vcc
	v_cmp_eq_u32_e32 vcc, 9, v12
	v_cndmask_b32_e32 v12, v13, v11, vcc
	s_waitcnt lgkmcnt(0)
	v_fmac_f32_e32 v1, v12, v14
	v_cmp_ne_u32_e32 vcc, 5, v0
	s_and_saveexec_b64 s[8:9], vcc
	s_cbranch_execz .LBB73_218
; %bb.209:
	v_add_u32_e32 v12, 4, v0
	v_cmp_eq_u32_e32 vcc, 1, v12
	v_cndmask_b32_e32 v13, v2, v3, vcc
	v_cmp_eq_u32_e32 vcc, 2, v12
	v_cndmask_b32_e32 v13, v13, v4, vcc
	v_cmp_eq_u32_e32 vcc, 3, v12
	v_cndmask_b32_e32 v13, v13, v5, vcc
	v_cmp_eq_u32_e32 vcc, 4, v12
	v_cndmask_b32_e32 v13, v13, v6, vcc
	v_cmp_eq_u32_e32 vcc, 5, v12
	v_cndmask_b32_e32 v13, v13, v7, vcc
	v_cmp_eq_u32_e32 vcc, 6, v12
	ds_read_b32 v14, v42 offset:16
	v_cndmask_b32_e32 v13, v13, v8, vcc
	v_cmp_eq_u32_e32 vcc, 7, v12
	v_cndmask_b32_e32 v13, v13, v9, vcc
	v_cmp_eq_u32_e32 vcc, 8, v12
	v_cndmask_b32_e32 v13, v13, v10, vcc
	v_cmp_eq_u32_e32 vcc, 9, v12
	v_cndmask_b32_e32 v12, v13, v11, vcc
	s_waitcnt lgkmcnt(0)
	v_fmac_f32_e32 v1, v12, v14
	s_and_saveexec_b64 s[16:17], s[6:7]
	s_cbranch_execz .LBB73_217
; %bb.210:
	v_add_u32_e32 v12, 5, v0
	;; [unrolled: 51-line block ×3, first 2 shown]
	v_cmp_eq_u32_e32 vcc, 1, v0
	v_cndmask_b32_e32 v12, v2, v3, vcc
	v_cmp_eq_u32_e32 vcc, 2, v0
	v_cndmask_b32_e32 v12, v12, v4, vcc
	v_cmp_eq_u32_e32 vcc, 3, v0
	v_cndmask_b32_e32 v12, v12, v5, vcc
	v_cmp_eq_u32_e32 vcc, 4, v0
	v_cndmask_b32_e32 v12, v12, v6, vcc
	v_cmp_eq_u32_e32 vcc, 5, v0
	v_cndmask_b32_e32 v12, v12, v7, vcc
	v_cmp_eq_u32_e32 vcc, 6, v0
	ds_read_b32 v13, v42 offset:28
	v_cndmask_b32_e32 v12, v12, v8, vcc
	v_cmp_eq_u32_e32 vcc, 7, v0
	v_cndmask_b32_e32 v12, v12, v9, vcc
	v_cmp_eq_u32_e32 vcc, 8, v0
	;; [unrolled: 2-line block ×3, first 2 shown]
	v_cndmask_b32_e32 v0, v12, v11, vcc
	s_waitcnt lgkmcnt(0)
	v_fmac_f32_e32 v1, v0, v13
	s_and_saveexec_b64 s[2:3], s[0:1]
	s_cbranch_execz .LBB73_214
; %bb.213:
	ds_read_b32 v0, v42 offset:32
	s_waitcnt lgkmcnt(0)
	v_fmac_f32_e32 v1, v10, v0
.LBB73_214:
	s_or_b64 exec, exec, s[2:3]
.LBB73_215:
	s_or_b64 exec, exec, s[18:19]
.LBB73_216:
	s_or_b64 exec, exec, s[6:7]
.LBB73_217:
	s_or_b64 exec, exec, s[16:17]
.LBB73_218:
	s_or_b64 exec, exec, s[8:9]
.LBB73_219:
	s_or_b64 exec, exec, s[14:15]
.LBB73_220:
	s_or_b64 exec, exec, s[10:11]
.LBB73_221:
	s_or_b64 exec, exec, s[4:5]
	v_mov_b32_e32 v0, 0
	ds_read_b32 v0, v0 offset:36
	s_waitcnt lgkmcnt(0)
	v_mul_f32_e32 v11, v1, v0
.LBB73_222:
	s_or_b64 exec, exec, s[12:13]
	v_mov_b32_e32 v21, v11
	v_mov_b32_e32 v20, v10
	;; [unrolled: 1-line block ×10, first 2 shown]
.LBB73_223:
	flat_store_dword v[38:39], v12
	flat_store_dword v[40:41], v13
	;; [unrolled: 1-line block ×10, first 2 shown]
.LBB73_224:
	s_endpgm
	.section	.rodata,"a",@progbits
	.p2align	6, 0x0
	.amdhsa_kernel _ZN9rocsolver6v33100L18trti2_kernel_smallILi10EfPKPfEEv13rocblas_fill_17rocblas_diagonal_T1_iil
		.amdhsa_group_segment_fixed_size 88
		.amdhsa_private_segment_fixed_size 0
		.amdhsa_kernarg_size 32
		.amdhsa_user_sgpr_count 6
		.amdhsa_user_sgpr_private_segment_buffer 1
		.amdhsa_user_sgpr_dispatch_ptr 0
		.amdhsa_user_sgpr_queue_ptr 0
		.amdhsa_user_sgpr_kernarg_segment_ptr 1
		.amdhsa_user_sgpr_dispatch_id 0
		.amdhsa_user_sgpr_flat_scratch_init 0
		.amdhsa_user_sgpr_private_segment_size 0
		.amdhsa_uses_dynamic_stack 0
		.amdhsa_system_sgpr_private_segment_wavefront_offset 0
		.amdhsa_system_sgpr_workgroup_id_x 1
		.amdhsa_system_sgpr_workgroup_id_y 0
		.amdhsa_system_sgpr_workgroup_id_z 0
		.amdhsa_system_sgpr_workgroup_info 0
		.amdhsa_system_vgpr_workitem_id 0
		.amdhsa_next_free_vgpr 60
		.amdhsa_next_free_sgpr 26
		.amdhsa_reserve_vcc 1
		.amdhsa_reserve_flat_scratch 0
		.amdhsa_float_round_mode_32 0
		.amdhsa_float_round_mode_16_64 0
		.amdhsa_float_denorm_mode_32 3
		.amdhsa_float_denorm_mode_16_64 3
		.amdhsa_dx10_clamp 1
		.amdhsa_ieee_mode 1
		.amdhsa_fp16_overflow 0
		.amdhsa_exception_fp_ieee_invalid_op 0
		.amdhsa_exception_fp_denorm_src 0
		.amdhsa_exception_fp_ieee_div_zero 0
		.amdhsa_exception_fp_ieee_overflow 0
		.amdhsa_exception_fp_ieee_underflow 0
		.amdhsa_exception_fp_ieee_inexact 0
		.amdhsa_exception_int_div_zero 0
	.end_amdhsa_kernel
	.section	.text._ZN9rocsolver6v33100L18trti2_kernel_smallILi10EfPKPfEEv13rocblas_fill_17rocblas_diagonal_T1_iil,"axG",@progbits,_ZN9rocsolver6v33100L18trti2_kernel_smallILi10EfPKPfEEv13rocblas_fill_17rocblas_diagonal_T1_iil,comdat
.Lfunc_end73:
	.size	_ZN9rocsolver6v33100L18trti2_kernel_smallILi10EfPKPfEEv13rocblas_fill_17rocblas_diagonal_T1_iil, .Lfunc_end73-_ZN9rocsolver6v33100L18trti2_kernel_smallILi10EfPKPfEEv13rocblas_fill_17rocblas_diagonal_T1_iil
                                        ; -- End function
	.set _ZN9rocsolver6v33100L18trti2_kernel_smallILi10EfPKPfEEv13rocblas_fill_17rocblas_diagonal_T1_iil.num_vgpr, 60
	.set _ZN9rocsolver6v33100L18trti2_kernel_smallILi10EfPKPfEEv13rocblas_fill_17rocblas_diagonal_T1_iil.num_agpr, 0
	.set _ZN9rocsolver6v33100L18trti2_kernel_smallILi10EfPKPfEEv13rocblas_fill_17rocblas_diagonal_T1_iil.numbered_sgpr, 26
	.set _ZN9rocsolver6v33100L18trti2_kernel_smallILi10EfPKPfEEv13rocblas_fill_17rocblas_diagonal_T1_iil.num_named_barrier, 0
	.set _ZN9rocsolver6v33100L18trti2_kernel_smallILi10EfPKPfEEv13rocblas_fill_17rocblas_diagonal_T1_iil.private_seg_size, 0
	.set _ZN9rocsolver6v33100L18trti2_kernel_smallILi10EfPKPfEEv13rocblas_fill_17rocblas_diagonal_T1_iil.uses_vcc, 1
	.set _ZN9rocsolver6v33100L18trti2_kernel_smallILi10EfPKPfEEv13rocblas_fill_17rocblas_diagonal_T1_iil.uses_flat_scratch, 0
	.set _ZN9rocsolver6v33100L18trti2_kernel_smallILi10EfPKPfEEv13rocblas_fill_17rocblas_diagonal_T1_iil.has_dyn_sized_stack, 0
	.set _ZN9rocsolver6v33100L18trti2_kernel_smallILi10EfPKPfEEv13rocblas_fill_17rocblas_diagonal_T1_iil.has_recursion, 0
	.set _ZN9rocsolver6v33100L18trti2_kernel_smallILi10EfPKPfEEv13rocblas_fill_17rocblas_diagonal_T1_iil.has_indirect_call, 0
	.section	.AMDGPU.csdata,"",@progbits
; Kernel info:
; codeLenInByte = 9040
; TotalNumSgprs: 30
; NumVgprs: 60
; ScratchSize: 0
; MemoryBound: 0
; FloatMode: 240
; IeeeMode: 1
; LDSByteSize: 88 bytes/workgroup (compile time only)
; SGPRBlocks: 3
; VGPRBlocks: 14
; NumSGPRsForWavesPerEU: 30
; NumVGPRsForWavesPerEU: 60
; Occupancy: 4
; WaveLimiterHint : 1
; COMPUTE_PGM_RSRC2:SCRATCH_EN: 0
; COMPUTE_PGM_RSRC2:USER_SGPR: 6
; COMPUTE_PGM_RSRC2:TRAP_HANDLER: 0
; COMPUTE_PGM_RSRC2:TGID_X_EN: 1
; COMPUTE_PGM_RSRC2:TGID_Y_EN: 0
; COMPUTE_PGM_RSRC2:TGID_Z_EN: 0
; COMPUTE_PGM_RSRC2:TIDIG_COMP_CNT: 0
	.section	.text._ZN9rocsolver6v33100L18trti2_kernel_smallILi11EfPKPfEEv13rocblas_fill_17rocblas_diagonal_T1_iil,"axG",@progbits,_ZN9rocsolver6v33100L18trti2_kernel_smallILi11EfPKPfEEv13rocblas_fill_17rocblas_diagonal_T1_iil,comdat
	.globl	_ZN9rocsolver6v33100L18trti2_kernel_smallILi11EfPKPfEEv13rocblas_fill_17rocblas_diagonal_T1_iil ; -- Begin function _ZN9rocsolver6v33100L18trti2_kernel_smallILi11EfPKPfEEv13rocblas_fill_17rocblas_diagonal_T1_iil
	.p2align	8
	.type	_ZN9rocsolver6v33100L18trti2_kernel_smallILi11EfPKPfEEv13rocblas_fill_17rocblas_diagonal_T1_iil,@function
_ZN9rocsolver6v33100L18trti2_kernel_smallILi11EfPKPfEEv13rocblas_fill_17rocblas_diagonal_T1_iil: ; @_ZN9rocsolver6v33100L18trti2_kernel_smallILi11EfPKPfEEv13rocblas_fill_17rocblas_diagonal_T1_iil
; %bb.0:
	v_cmp_gt_u32_e32 vcc, 11, v0
	s_and_saveexec_b64 s[0:1], vcc
	s_cbranch_execz .LBB74_250
; %bb.1:
	s_load_dwordx2 s[0:1], s[4:5], 0x10
	s_load_dwordx4 s[24:27], s[4:5], 0x0
	s_ashr_i32 s7, s6, 31
	s_lshl_b64 s[2:3], s[6:7], 3
	v_lshlrev_b32_e32 v13, 2, v0
	s_waitcnt lgkmcnt(0)
	s_ashr_i32 s5, s0, 31
	s_add_u32 s2, s26, s2
	s_addc_u32 s3, s27, s3
	s_load_dwordx2 s[2:3], s[2:3], 0x0
	s_mov_b32 s4, s0
	s_lshl_b64 s[4:5], s[4:5], 2
	v_mov_b32_e32 v14, -1.0
	s_waitcnt lgkmcnt(0)
	s_add_u32 s0, s2, s4
	s_addc_u32 s2, s3, s5
	s_add_i32 s3, s1, s1
	v_add_u32_e32 v1, s3, v0
	v_ashrrev_i32_e32 v2, 31, v1
	v_lshlrev_b64 v[2:3], 2, v[1:2]
	v_add_u32_e32 v1, s1, v1
	v_mov_b32_e32 v4, s2
	v_add_co_u32_e32 v24, vcc, s0, v2
	v_ashrrev_i32_e32 v2, 31, v1
	v_addc_co_u32_e32 v25, vcc, v4, v3, vcc
	v_lshlrev_b64 v[2:3], 2, v[1:2]
	v_add_u32_e32 v1, s1, v1
	v_add_co_u32_e32 v26, vcc, s0, v2
	v_ashrrev_i32_e32 v2, 31, v1
	v_addc_co_u32_e32 v27, vcc, v4, v3, vcc
	v_lshlrev_b64 v[2:3], 2, v[1:2]
	v_add_u32_e32 v1, s1, v1
	;; [unrolled: 5-line block ×7, first 2 shown]
	v_add_co_u32_e32 v38, vcc, s0, v2
	v_ashrrev_i32_e32 v2, 31, v1
	v_lshlrev_b64 v[1:2], 2, v[1:2]
	v_addc_co_u32_e32 v39, vcc, v4, v3, vcc
	v_mov_b32_e32 v3, s2
	v_add_co_u32_e32 v40, vcc, s0, v1
	v_addc_co_u32_e32 v41, vcc, v3, v2, vcc
	v_mov_b32_e32 v1, s2
	v_add_co_u32_e32 v42, vcc, s0, v13
	s_ashr_i32 s3, s1, 31
	s_mov_b32 s2, s1
	v_addc_co_u32_e32 v43, vcc, 0, v1, vcc
	s_lshl_b64 s[0:1], s[2:3], 2
	v_mov_b32_e32 v1, s1
	v_add_co_u32_e32 v44, vcc, s0, v42
	v_addc_co_u32_e32 v45, vcc, v43, v1, vcc
	flat_load_dword v2, v[42:43]
	flat_load_dword v3, v[44:45]
	;; [unrolled: 1-line block ×11, first 2 shown]
	s_cmpk_lg_i32 s25, 0x84
	v_mov_b32_e32 v1, 0
	s_cselect_b64 s[22:23], -1, 0
	s_cmpk_eq_i32 s25, 0x84
	v_cmp_eq_u32_e64 s[0:1], 0, v0
	s_cbranch_scc1 .LBB74_3
; %bb.2:
	v_cmp_eq_u32_e64 s[2:3], 1, v0
	s_waitcnt vmcnt(0) lgkmcnt(0)
	v_cndmask_b32_e64 v14, v2, v3, s[2:3]
	v_cmp_eq_u32_e64 s[4:5], 2, v0
	v_cndmask_b32_e64 v14, v14, v4, s[4:5]
	v_cmp_eq_u32_e64 s[6:7], 3, v0
	;; [unrolled: 2-line block ×9, first 2 shown]
	v_cndmask_b32_e64 v14, v14, v12, s[20:21]
	v_div_scale_f32 v15, s[26:27], v14, v14, 1.0
	v_div_scale_f32 v16, vcc, 1.0, v14, 1.0
	v_rcp_f32_e32 v17, v15
	v_fma_f32 v18, -v15, v17, 1.0
	v_fmac_f32_e32 v17, v18, v17
	v_mul_f32_e32 v18, v16, v17
	v_fma_f32 v19, -v15, v18, v16
	v_fmac_f32_e32 v18, v19, v17
	v_fma_f32 v15, -v15, v18, v16
	v_div_fmas_f32 v15, v15, v17, v18
	v_div_fixup_f32 v14, v15, v14, 1.0
	v_cndmask_b32_e64 v12, v12, v14, s[20:21]
	v_cndmask_b32_e64 v11, v11, v14, s[18:19]
	;; [unrolled: 1-line block ×11, first 2 shown]
	v_xor_b32_e32 v14, 0x80000000, v14
.LBB74_3:
	s_cmpk_eq_i32 s24, 0x79
	v_add_u32_e32 v46, 48, v13
	ds_write_b32 v13, v14
	s_cbranch_scc1 .LBB74_7
; %bb.4:
	s_waitcnt vmcnt(0) lgkmcnt(0)
	v_mov_b32_e32 v23, v12
	v_mov_b32_e32 v22, v11
	;; [unrolled: 1-line block ×11, first 2 shown]
	v_cmp_eq_u32_e64 s[2:3], 10, v0
	ds_write_b32 v46, v11
	s_waitcnt lgkmcnt(0)
	; wave barrier
	s_and_saveexec_b64 s[0:1], s[2:3]
	s_cbranch_execz .LBB74_11
; %bb.5:
	s_and_b64 vcc, exec, s[22:23]
	s_cbranch_vccz .LBB74_8
; %bb.6:
	v_cmp_eq_u32_e32 vcc, 1, v0
	v_cndmask_b32_e32 v13, v2, v3, vcc
	v_cmp_eq_u32_e32 vcc, 2, v0
	v_cndmask_b32_e32 v13, v13, v4, vcc
	;; [unrolled: 2-line block ×6, first 2 shown]
	v_cmp_eq_u32_e32 vcc, 7, v0
	ds_read_b32 v14, v46
	v_cndmask_b32_e32 v13, v13, v9, vcc
	v_cmp_eq_u32_e32 vcc, 8, v0
	v_cndmask_b32_e32 v13, v13, v10, vcc
	v_cmp_eq_u32_e32 vcc, 9, v0
	;; [unrolled: 2-line block ×3, first 2 shown]
	v_cndmask_b32_e32 v13, v13, v12, vcc
	s_waitcnt lgkmcnt(0)
	v_mul_f32_e32 v13, v13, v14
	s_cbranch_execz .LBB74_9
	s_branch .LBB74_10
.LBB74_7:
                                        ; implicit-def: $vgpr13_vgpr14_vgpr15_vgpr16_vgpr17_vgpr18_vgpr19_vgpr20_vgpr21_vgpr22_vgpr23
	s_cbranch_execnz .LBB74_146
	s_branch .LBB74_249
.LBB74_8:
                                        ; implicit-def: $vgpr13
.LBB74_9:
	ds_read_b32 v13, v46
.LBB74_10:
	v_mov_b32_e32 v14, 0
	ds_read_b32 v14, v14 offset:36
	s_waitcnt lgkmcnt(0)
	v_mul_f32_e32 v47, v13, v14
	v_mov_b32_e32 v23, v12
	v_mov_b32_e32 v22, v11
	;; [unrolled: 1-line block ×12, first 2 shown]
.LBB74_11:
	s_or_b64 exec, exec, s[0:1]
	v_cmp_lt_u32_e64 s[0:1], 8, v0
	ds_write_b32 v46, v21
	s_waitcnt lgkmcnt(0)
	; wave barrier
	s_and_saveexec_b64 s[4:5], s[0:1]
	s_cbranch_execz .LBB74_17
; %bb.12:
	s_andn2_b64 vcc, exec, s[22:23]
	s_cbranch_vccnz .LBB74_14
; %bb.13:
	v_cmp_eq_u32_e32 vcc, 1, v0
	v_cndmask_b32_e32 v47, v13, v14, vcc
	v_cmp_eq_u32_e32 vcc, 2, v0
	v_cndmask_b32_e32 v47, v47, v15, vcc
	;; [unrolled: 2-line block ×8, first 2 shown]
	ds_read_b32 v47, v46
	v_cmp_eq_u32_e32 vcc, 9, v0
	v_cndmask_b32_e32 v21, v21, v22, vcc
	v_cmp_eq_u32_e32 vcc, 10, v0
	v_cndmask_b32_e32 v21, v21, v23, vcc
	s_waitcnt lgkmcnt(0)
	v_mul_f32_e32 v21, v21, v47
	s_cbranch_execz .LBB74_15
	s_branch .LBB74_16
.LBB74_14:
                                        ; implicit-def: $vgpr21
.LBB74_15:
	ds_read_b32 v21, v46
.LBB74_16:
	v_mov_b32_e32 v47, 0
	ds_read2_b32 v[47:48], v47 offset0:8 offset1:21
	s_waitcnt lgkmcnt(0)
	v_fma_f32 v48, v22, v48, v21
	v_cndmask_b32_e64 v21, v21, v48, s[2:3]
	v_mul_f32_e32 v21, v21, v47
.LBB74_17:
	s_or_b64 exec, exec, s[4:5]
	v_cmp_lt_u32_e64 s[2:3], 7, v0
	ds_write_b32 v46, v20
	s_waitcnt lgkmcnt(0)
	; wave barrier
	s_and_saveexec_b64 s[4:5], s[2:3]
	s_cbranch_execz .LBB74_33
; %bb.18:
	s_andn2_b64 vcc, exec, s[22:23]
	s_cbranch_vccnz .LBB74_20
; %bb.19:
	v_cmp_eq_u32_e32 vcc, 1, v0
	v_cndmask_b32_e32 v47, v13, v14, vcc
	v_cmp_eq_u32_e32 vcc, 2, v0
	v_cndmask_b32_e32 v47, v47, v15, vcc
	;; [unrolled: 2-line block ×6, first 2 shown]
	v_cmp_eq_u32_e32 vcc, 7, v0
	ds_read_b32 v48, v46
	v_cndmask_b32_e32 v47, v47, v20, vcc
	v_cmp_eq_u32_e32 vcc, 8, v0
	v_cndmask_b32_e32 v47, v47, v21, vcc
	v_cmp_eq_u32_e32 vcc, 9, v0
	v_cndmask_b32_e32 v47, v47, v22, vcc
	v_cmp_eq_u32_e32 vcc, 10, v0
	v_cndmask_b32_e32 v47, v47, v23, vcc
	s_waitcnt lgkmcnt(0)
	v_mul_f32_e32 v47, v47, v48
	s_cbranch_execz .LBB74_21
	s_branch .LBB74_22
.LBB74_20:
                                        ; implicit-def: $vgpr47
.LBB74_21:
	ds_read_b32 v47, v46
.LBB74_22:
	s_and_saveexec_b64 s[6:7], s[0:1]
	s_cbranch_execz .LBB74_32
; %bb.23:
	v_add_u32_e32 v48, -9, v0
	v_cmp_lt_u32_e32 vcc, 6, v48
	v_mov_b32_e32 v48, 8
	s_and_saveexec_b64 s[0:1], vcc
	s_cbranch_execz .LBB74_27
; %bb.24:
	v_and_b32_e32 v48, 8, v0
	v_sub_u32_e32 v49, 0, v48
	s_mov_b64 s[8:9], 15
	s_movk_i32 s12, 0x50
	s_mov_b64 s[10:11], 0
.LBB74_25:                              ; =>This Inner Loop Header: Depth=1
	s_add_i32 s13, s8, -7
	v_mov_b32_e32 v48, s12
	s_add_i32 s14, s8, -6
	s_set_gpr_idx_on s13, gpr_idx(SRC0)
	v_mov_b32_e32 v58, v13
	s_set_gpr_idx_off
	s_add_i32 s15, s8, -5
	ds_read_b128 v[50:53], v48
	ds_read_b128 v[54:57], v48 offset:16
	s_set_gpr_idx_on s14, gpr_idx(SRC0)
	v_mov_b32_e32 v48, v13
	s_set_gpr_idx_off
	s_add_i32 s16, s8, -4
	s_set_gpr_idx_on s15, gpr_idx(SRC0)
	v_mov_b32_e32 v59, v13
	s_set_gpr_idx_off
	s_add_i32 s17, s8, -3
	;; [unrolled: 4-line block ×4, first 2 shown]
	s_waitcnt lgkmcnt(1)
	v_fmac_f32_e32 v47, v58, v50
	s_set_gpr_idx_on s18, gpr_idx(SRC0)
	v_mov_b32_e32 v50, v13
	s_set_gpr_idx_off
	v_fmac_f32_e32 v47, v48, v51
	s_set_gpr_idx_on s19, gpr_idx(SRC0)
	v_mov_b32_e32 v51, v13
	s_set_gpr_idx_off
	;; [unrolled: 4-line block ×3, first 2 shown]
	v_fmac_f32_e32 v47, v60, v53
	s_add_u32 s8, s8, 8
	s_waitcnt lgkmcnt(0)
	v_fmac_f32_e32 v47, v61, v54
	v_add_u32_e32 v48, s8, v49
	v_fmac_f32_e32 v47, v50, v55
	s_addc_u32 s9, s9, 0
	s_add_i32 s12, s12, 32
	s_add_i32 s13, s8, -7
	v_cmp_eq_u32_e32 vcc, 7, v48
	v_fmac_f32_e32 v47, v51, v56
	v_mov_b32_e32 v48, s13
	s_or_b64 s[10:11], vcc, s[10:11]
	v_fmac_f32_e32 v47, v52, v57
	s_andn2_b64 exec, exec, s[10:11]
	s_cbranch_execnz .LBB74_25
; %bb.26:
	s_or_b64 exec, exec, s[10:11]
.LBB74_27:
	s_or_b64 exec, exec, s[0:1]
	v_and_b32_e32 v49, 7, v0
	v_cmp_ne_u32_e32 vcc, 0, v49
	s_and_saveexec_b64 s[8:9], vcc
	s_cbranch_execz .LBB74_31
; %bb.28:
	v_lshl_add_u32 v50, v48, 2, 48
	v_mov_b32_e32 v51, 0
	s_mov_b64 s[10:11], 0
.LBB74_29:                              ; =>This Inner Loop Header: Depth=1
	v_cmp_eq_u32_e32 vcc, 1, v48
	v_cndmask_b32_e32 v52, v13, v14, vcc
	v_add_u32_e32 v49, -1, v49
	v_cmp_eq_u32_e32 vcc, 2, v48
	v_cndmask_b32_e32 v52, v52, v15, vcc
	v_cmp_eq_u32_e32 vcc, 0, v49
	v_cmp_eq_u32_e64 s[0:1], 3, v48
	v_cndmask_b32_e64 v52, v52, v16, s[0:1]
	s_or_b64 s[10:11], vcc, s[10:11]
	v_cmp_eq_u32_e32 vcc, 4, v48
	v_cndmask_b32_e32 v52, v52, v17, vcc
	v_cmp_eq_u32_e32 vcc, 5, v48
	v_cndmask_b32_e32 v52, v52, v18, vcc
	v_cmp_eq_u32_e32 vcc, 6, v48
	ds_read_b32 v53, v50
	v_cndmask_b32_e32 v52, v52, v19, vcc
	v_cmp_eq_u32_e32 vcc, 7, v48
	v_cndmask_b32_e32 v52, v52, v20, vcc
	v_cmp_eq_u32_e32 vcc, 8, v48
	;; [unrolled: 2-line block ×4, first 2 shown]
	v_add_co_u32_e64 v48, s[0:1], 1, v48
	v_cndmask_b32_e32 v52, v52, v23, vcc
	v_add_u32_e32 v50, 4, v50
	v_addc_co_u32_e64 v51, s[0:1], 0, v51, s[0:1]
	s_waitcnt lgkmcnt(0)
	v_fmac_f32_e32 v47, v52, v53
	s_andn2_b64 exec, exec, s[10:11]
	s_cbranch_execnz .LBB74_29
; %bb.30:
	s_or_b64 exec, exec, s[10:11]
.LBB74_31:
	s_or_b64 exec, exec, s[8:9]
.LBB74_32:
	s_or_b64 exec, exec, s[6:7]
	v_mov_b32_e32 v20, 0
	ds_read_b32 v20, v20 offset:28
	s_waitcnt lgkmcnt(0)
	v_mul_f32_e32 v20, v47, v20
.LBB74_33:
	s_or_b64 exec, exec, s[4:5]
	v_cmp_lt_u32_e64 s[0:1], 6, v0
	ds_write_b32 v46, v19
	s_waitcnt lgkmcnt(0)
	; wave barrier
	s_and_saveexec_b64 s[4:5], s[0:1]
	s_cbranch_execz .LBB74_49
; %bb.34:
	s_andn2_b64 vcc, exec, s[22:23]
	s_cbranch_vccnz .LBB74_36
; %bb.35:
	v_cmp_eq_u32_e32 vcc, 1, v0
	v_cndmask_b32_e32 v47, v13, v14, vcc
	v_cmp_eq_u32_e32 vcc, 2, v0
	v_cndmask_b32_e32 v47, v47, v15, vcc
	;; [unrolled: 2-line block ×6, first 2 shown]
	v_cmp_eq_u32_e32 vcc, 7, v0
	ds_read_b32 v48, v46
	v_cndmask_b32_e32 v47, v47, v20, vcc
	v_cmp_eq_u32_e32 vcc, 8, v0
	v_cndmask_b32_e32 v47, v47, v21, vcc
	v_cmp_eq_u32_e32 vcc, 9, v0
	;; [unrolled: 2-line block ×3, first 2 shown]
	v_cndmask_b32_e32 v47, v47, v23, vcc
	s_waitcnt lgkmcnt(0)
	v_mul_f32_e32 v47, v47, v48
	s_cbranch_execz .LBB74_37
	s_branch .LBB74_38
.LBB74_36:
                                        ; implicit-def: $vgpr47
.LBB74_37:
	ds_read_b32 v47, v46
.LBB74_38:
	s_and_saveexec_b64 s[6:7], s[2:3]
	s_cbranch_execz .LBB74_48
; %bb.39:
	v_add_u32_e32 v48, -8, v0
	v_add_u32_e32 v49, -7, v0
	v_cmp_lt_u32_e32 vcc, 6, v48
	v_mov_b32_e32 v48, 7
	s_and_saveexec_b64 s[2:3], vcc
	s_cbranch_execz .LBB74_43
; %bb.40:
	v_and_b32_e32 v48, -8, v49
	v_sub_u32_e32 v50, 0, v48
	s_mov_b64 s[8:9], 14
	s_movk_i32 s12, 0x4c
	s_mov_b64 s[10:11], 0
.LBB74_41:                              ; =>This Inner Loop Header: Depth=1
	s_add_i32 s13, s8, -7
	v_mov_b32_e32 v48, s12
	s_add_i32 s14, s8, -6
	s_set_gpr_idx_on s13, gpr_idx(SRC0)
	v_mov_b32_e32 v57, v13
	s_set_gpr_idx_off
	ds_read2_b32 v[51:52], v48 offset1:1
	s_add_i32 s15, s8, -5
	s_set_gpr_idx_on s14, gpr_idx(SRC0)
	v_mov_b32_e32 v58, v13
	s_set_gpr_idx_off
	s_add_i32 s16, s8, -4
	s_set_gpr_idx_on s15, gpr_idx(SRC0)
	v_mov_b32_e32 v59, v13
	s_set_gpr_idx_off
	ds_read2_b32 v[53:54], v48 offset0:2 offset1:3
	s_add_i32 s17, s8, -3
	s_set_gpr_idx_on s16, gpr_idx(SRC0)
	v_mov_b32_e32 v60, v13
	s_set_gpr_idx_off
	s_add_i32 s18, s8, -2
	s_set_gpr_idx_on s17, gpr_idx(SRC0)
	v_mov_b32_e32 v61, v13
	s_set_gpr_idx_off
	ds_read2_b32 v[55:56], v48 offset0:4 offset1:5
	s_add_i32 s19, s8, -1
	s_waitcnt lgkmcnt(2)
	v_fmac_f32_e32 v47, v57, v51
	s_set_gpr_idx_on s18, gpr_idx(SRC0)
	v_mov_b32_e32 v57, v13
	s_set_gpr_idx_off
	v_fmac_f32_e32 v47, v58, v52
	s_set_gpr_idx_on s19, gpr_idx(SRC0)
	v_mov_b32_e32 v58, v13
	s_set_gpr_idx_off
	ds_read2_b32 v[51:52], v48 offset0:6 offset1:7
	s_waitcnt lgkmcnt(2)
	v_fmac_f32_e32 v47, v59, v53
	s_set_gpr_idx_on s8, gpr_idx(SRC0)
	v_mov_b32_e32 v53, v13
	s_set_gpr_idx_off
	v_fmac_f32_e32 v47, v60, v54
	s_add_u32 s8, s8, 8
	s_waitcnt lgkmcnt(1)
	v_fmac_f32_e32 v47, v61, v55
	v_add_u32_e32 v48, s8, v50
	v_fmac_f32_e32 v47, v57, v56
	s_addc_u32 s9, s9, 0
	s_add_i32 s12, s12, 32
	s_add_i32 s13, s8, -7
	v_cmp_eq_u32_e32 vcc, 14, v48
	s_waitcnt lgkmcnt(0)
	v_fmac_f32_e32 v47, v58, v51
	v_mov_b32_e32 v48, s13
	s_or_b64 s[10:11], vcc, s[10:11]
	v_fmac_f32_e32 v47, v53, v52
	s_andn2_b64 exec, exec, s[10:11]
	s_cbranch_execnz .LBB74_41
; %bb.42:
	s_or_b64 exec, exec, s[10:11]
.LBB74_43:
	s_or_b64 exec, exec, s[2:3]
	v_and_b32_e32 v49, 7, v49
	v_cmp_ne_u32_e32 vcc, 0, v49
	s_and_saveexec_b64 s[8:9], vcc
	s_cbranch_execz .LBB74_47
; %bb.44:
	v_lshl_add_u32 v50, v48, 2, 48
	v_mov_b32_e32 v51, 0
	s_mov_b64 s[10:11], 0
.LBB74_45:                              ; =>This Inner Loop Header: Depth=1
	v_cmp_eq_u32_e32 vcc, 1, v48
	v_cndmask_b32_e32 v52, v13, v14, vcc
	v_add_u32_e32 v49, -1, v49
	v_cmp_eq_u32_e32 vcc, 2, v48
	v_cndmask_b32_e32 v52, v52, v15, vcc
	v_cmp_eq_u32_e32 vcc, 0, v49
	v_cmp_eq_u32_e64 s[2:3], 3, v48
	v_cndmask_b32_e64 v52, v52, v16, s[2:3]
	s_or_b64 s[10:11], vcc, s[10:11]
	v_cmp_eq_u32_e32 vcc, 4, v48
	v_cndmask_b32_e32 v52, v52, v17, vcc
	v_cmp_eq_u32_e32 vcc, 5, v48
	v_cndmask_b32_e32 v52, v52, v18, vcc
	v_cmp_eq_u32_e32 vcc, 6, v48
	ds_read_b32 v53, v50
	v_cndmask_b32_e32 v52, v52, v19, vcc
	v_cmp_eq_u32_e32 vcc, 7, v48
	v_cndmask_b32_e32 v52, v52, v20, vcc
	v_cmp_eq_u32_e32 vcc, 8, v48
	;; [unrolled: 2-line block ×4, first 2 shown]
	v_add_co_u32_e64 v48, s[2:3], 1, v48
	v_cndmask_b32_e32 v52, v52, v23, vcc
	v_add_u32_e32 v50, 4, v50
	v_addc_co_u32_e64 v51, s[2:3], 0, v51, s[2:3]
	s_waitcnt lgkmcnt(0)
	v_fmac_f32_e32 v47, v52, v53
	s_andn2_b64 exec, exec, s[10:11]
	s_cbranch_execnz .LBB74_45
; %bb.46:
	s_or_b64 exec, exec, s[10:11]
.LBB74_47:
	s_or_b64 exec, exec, s[8:9]
.LBB74_48:
	s_or_b64 exec, exec, s[6:7]
	v_mov_b32_e32 v19, 0
	ds_read_b32 v19, v19 offset:24
	s_waitcnt lgkmcnt(0)
	v_mul_f32_e32 v19, v47, v19
.LBB74_49:
	s_or_b64 exec, exec, s[4:5]
	v_cmp_lt_u32_e64 s[2:3], 5, v0
	ds_write_b32 v46, v18
	s_waitcnt lgkmcnt(0)
	; wave barrier
	s_and_saveexec_b64 s[4:5], s[2:3]
	s_cbranch_execz .LBB74_65
; %bb.50:
	s_andn2_b64 vcc, exec, s[22:23]
	s_cbranch_vccnz .LBB74_52
; %bb.51:
	v_cmp_eq_u32_e32 vcc, 1, v0
	v_cndmask_b32_e32 v47, v13, v14, vcc
	v_cmp_eq_u32_e32 vcc, 2, v0
	v_cndmask_b32_e32 v47, v47, v15, vcc
	;; [unrolled: 2-line block ×6, first 2 shown]
	v_cmp_eq_u32_e32 vcc, 7, v0
	ds_read_b32 v48, v46
	v_cndmask_b32_e32 v47, v47, v20, vcc
	v_cmp_eq_u32_e32 vcc, 8, v0
	v_cndmask_b32_e32 v47, v47, v21, vcc
	v_cmp_eq_u32_e32 vcc, 9, v0
	;; [unrolled: 2-line block ×3, first 2 shown]
	v_cndmask_b32_e32 v47, v47, v23, vcc
	s_waitcnt lgkmcnt(0)
	v_mul_f32_e32 v47, v47, v48
	s_cbranch_execz .LBB74_53
	s_branch .LBB74_54
.LBB74_52:
                                        ; implicit-def: $vgpr47
.LBB74_53:
	ds_read_b32 v47, v46
.LBB74_54:
	s_and_saveexec_b64 s[6:7], s[0:1]
	s_cbranch_execz .LBB74_64
; %bb.55:
	v_add_u32_e32 v50, -7, v0
	v_add_u32_e32 v49, -6, v0
	v_mov_b32_e32 v48, 6
	v_cmp_lt_u32_e32 vcc, 6, v50
	s_and_saveexec_b64 s[0:1], vcc
	s_cbranch_execz .LBB74_59
; %bb.56:
	v_and_b32_e32 v48, -8, v49
	v_sub_u32_e32 v50, 0, v48
	s_mov_b64 s[8:9], 13
	s_movk_i32 s12, 0x48
	s_mov_b64 s[10:11], 0
.LBB74_57:                              ; =>This Inner Loop Header: Depth=1
	s_add_i32 s13, s8, -7
	v_mov_b32_e32 v48, s12
	s_add_i32 s14, s8, -6
	s_set_gpr_idx_on s13, gpr_idx(SRC0)
	v_mov_b32_e32 v59, v13
	s_set_gpr_idx_off
	ds_read2_b64 v[51:54], v48 offset1:1
	s_add_i32 s15, s8, -5
	s_set_gpr_idx_on s14, gpr_idx(SRC0)
	v_mov_b32_e32 v60, v13
	s_set_gpr_idx_off
	s_add_i32 s16, s8, -4
	s_set_gpr_idx_on s15, gpr_idx(SRC0)
	v_mov_b32_e32 v61, v13
	s_set_gpr_idx_off
	;; [unrolled: 4-line block ×4, first 2 shown]
	ds_read2_b64 v[55:58], v48 offset0:2 offset1:3
	s_add_i32 s19, s8, -1
	s_waitcnt lgkmcnt(1)
	v_fmac_f32_e32 v47, v59, v51
	s_set_gpr_idx_on s18, gpr_idx(SRC0)
	v_mov_b32_e32 v51, v13
	s_set_gpr_idx_off
	v_fmac_f32_e32 v47, v60, v52
	s_set_gpr_idx_on s19, gpr_idx(SRC0)
	v_mov_b32_e32 v52, v13
	s_set_gpr_idx_off
	;; [unrolled: 4-line block ×3, first 2 shown]
	v_fmac_f32_e32 v47, v62, v54
	s_add_u32 s8, s8, 8
	s_waitcnt lgkmcnt(0)
	v_fmac_f32_e32 v47, v63, v55
	v_add_u32_e32 v48, s8, v50
	v_fmac_f32_e32 v47, v51, v56
	s_addc_u32 s9, s9, 0
	s_add_i32 s12, s12, 32
	s_add_i32 s13, s8, -7
	v_cmp_eq_u32_e32 vcc, 13, v48
	v_fmac_f32_e32 v47, v52, v57
	v_mov_b32_e32 v48, s13
	s_or_b64 s[10:11], vcc, s[10:11]
	v_fmac_f32_e32 v47, v53, v58
	s_andn2_b64 exec, exec, s[10:11]
	s_cbranch_execnz .LBB74_57
; %bb.58:
	s_or_b64 exec, exec, s[10:11]
.LBB74_59:
	s_or_b64 exec, exec, s[0:1]
	v_and_b32_e32 v49, 7, v49
	v_cmp_ne_u32_e32 vcc, 0, v49
	s_and_saveexec_b64 s[8:9], vcc
	s_cbranch_execz .LBB74_63
; %bb.60:
	v_lshl_add_u32 v50, v48, 2, 48
	v_mov_b32_e32 v51, 0
	s_mov_b64 s[10:11], 0
.LBB74_61:                              ; =>This Inner Loop Header: Depth=1
	v_cmp_eq_u32_e32 vcc, 1, v48
	v_cndmask_b32_e32 v52, v13, v14, vcc
	v_add_u32_e32 v49, -1, v49
	v_cmp_eq_u32_e32 vcc, 2, v48
	v_cndmask_b32_e32 v52, v52, v15, vcc
	v_cmp_eq_u32_e32 vcc, 0, v49
	v_cmp_eq_u32_e64 s[0:1], 3, v48
	v_cndmask_b32_e64 v52, v52, v16, s[0:1]
	s_or_b64 s[10:11], vcc, s[10:11]
	v_cmp_eq_u32_e32 vcc, 4, v48
	v_cndmask_b32_e32 v52, v52, v17, vcc
	v_cmp_eq_u32_e32 vcc, 5, v48
	v_cndmask_b32_e32 v52, v52, v18, vcc
	v_cmp_eq_u32_e32 vcc, 6, v48
	ds_read_b32 v53, v50
	v_cndmask_b32_e32 v52, v52, v19, vcc
	v_cmp_eq_u32_e32 vcc, 7, v48
	v_cndmask_b32_e32 v52, v52, v20, vcc
	v_cmp_eq_u32_e32 vcc, 8, v48
	;; [unrolled: 2-line block ×4, first 2 shown]
	v_add_co_u32_e64 v48, s[0:1], 1, v48
	v_cndmask_b32_e32 v52, v52, v23, vcc
	v_add_u32_e32 v50, 4, v50
	v_addc_co_u32_e64 v51, s[0:1], 0, v51, s[0:1]
	s_waitcnt lgkmcnt(0)
	v_fmac_f32_e32 v47, v52, v53
	s_andn2_b64 exec, exec, s[10:11]
	s_cbranch_execnz .LBB74_61
; %bb.62:
	s_or_b64 exec, exec, s[10:11]
.LBB74_63:
	s_or_b64 exec, exec, s[8:9]
.LBB74_64:
	s_or_b64 exec, exec, s[6:7]
	v_mov_b32_e32 v18, 0
	ds_read_b32 v18, v18 offset:20
	s_waitcnt lgkmcnt(0)
	v_mul_f32_e32 v18, v47, v18
.LBB74_65:
	s_or_b64 exec, exec, s[4:5]
	v_cmp_lt_u32_e64 s[0:1], 4, v0
	ds_write_b32 v46, v17
	s_waitcnt lgkmcnt(0)
	; wave barrier
	s_and_saveexec_b64 s[4:5], s[0:1]
	s_cbranch_execz .LBB74_81
; %bb.66:
	s_andn2_b64 vcc, exec, s[22:23]
	s_cbranch_vccnz .LBB74_68
; %bb.67:
	v_cmp_eq_u32_e32 vcc, 1, v0
	v_cndmask_b32_e32 v47, v13, v14, vcc
	v_cmp_eq_u32_e32 vcc, 2, v0
	v_cndmask_b32_e32 v47, v47, v15, vcc
	;; [unrolled: 2-line block ×6, first 2 shown]
	v_cmp_eq_u32_e32 vcc, 7, v0
	ds_read_b32 v48, v46
	v_cndmask_b32_e32 v47, v47, v20, vcc
	v_cmp_eq_u32_e32 vcc, 8, v0
	v_cndmask_b32_e32 v47, v47, v21, vcc
	v_cmp_eq_u32_e32 vcc, 9, v0
	;; [unrolled: 2-line block ×3, first 2 shown]
	v_cndmask_b32_e32 v47, v47, v23, vcc
	s_waitcnt lgkmcnt(0)
	v_mul_f32_e32 v47, v47, v48
	s_cbranch_execz .LBB74_69
	s_branch .LBB74_70
.LBB74_68:
                                        ; implicit-def: $vgpr47
.LBB74_69:
	ds_read_b32 v47, v46
.LBB74_70:
	s_and_saveexec_b64 s[6:7], s[2:3]
	s_cbranch_execz .LBB74_80
; %bb.71:
	v_add_u32_e32 v48, -6, v0
	v_add_u32_e32 v49, -5, v0
	v_cmp_lt_u32_e32 vcc, 6, v48
	v_mov_b32_e32 v48, 5
	s_and_saveexec_b64 s[2:3], vcc
	s_cbranch_execz .LBB74_75
; %bb.72:
	v_and_b32_e32 v48, -8, v49
	v_sub_u32_e32 v50, 0, v48
	s_mov_b64 s[8:9], 12
	s_movk_i32 s12, 0x44
	s_mov_b64 s[10:11], 0
.LBB74_73:                              ; =>This Inner Loop Header: Depth=1
	s_add_i32 s13, s8, -7
	v_mov_b32_e32 v48, s12
	s_add_i32 s14, s8, -6
	s_set_gpr_idx_on s13, gpr_idx(SRC0)
	v_mov_b32_e32 v57, v13
	s_set_gpr_idx_off
	ds_read2_b32 v[51:52], v48 offset1:1
	s_add_i32 s15, s8, -5
	s_set_gpr_idx_on s14, gpr_idx(SRC0)
	v_mov_b32_e32 v58, v13
	s_set_gpr_idx_off
	s_add_i32 s16, s8, -4
	s_set_gpr_idx_on s15, gpr_idx(SRC0)
	v_mov_b32_e32 v59, v13
	s_set_gpr_idx_off
	ds_read2_b32 v[53:54], v48 offset0:2 offset1:3
	s_add_i32 s17, s8, -3
	s_set_gpr_idx_on s16, gpr_idx(SRC0)
	v_mov_b32_e32 v60, v13
	s_set_gpr_idx_off
	s_add_i32 s18, s8, -2
	s_set_gpr_idx_on s17, gpr_idx(SRC0)
	v_mov_b32_e32 v61, v13
	s_set_gpr_idx_off
	ds_read2_b32 v[55:56], v48 offset0:4 offset1:5
	s_add_i32 s19, s8, -1
	s_waitcnt lgkmcnt(2)
	v_fmac_f32_e32 v47, v57, v51
	s_set_gpr_idx_on s18, gpr_idx(SRC0)
	v_mov_b32_e32 v57, v13
	s_set_gpr_idx_off
	v_fmac_f32_e32 v47, v58, v52
	s_set_gpr_idx_on s19, gpr_idx(SRC0)
	v_mov_b32_e32 v58, v13
	s_set_gpr_idx_off
	ds_read2_b32 v[51:52], v48 offset0:6 offset1:7
	s_waitcnt lgkmcnt(2)
	v_fmac_f32_e32 v47, v59, v53
	s_set_gpr_idx_on s8, gpr_idx(SRC0)
	v_mov_b32_e32 v53, v13
	s_set_gpr_idx_off
	v_fmac_f32_e32 v47, v60, v54
	s_add_u32 s8, s8, 8
	s_waitcnt lgkmcnt(1)
	v_fmac_f32_e32 v47, v61, v55
	v_add_u32_e32 v48, s8, v50
	v_fmac_f32_e32 v47, v57, v56
	s_addc_u32 s9, s9, 0
	s_add_i32 s12, s12, 32
	s_add_i32 s13, s8, -7
	v_cmp_eq_u32_e32 vcc, 12, v48
	s_waitcnt lgkmcnt(0)
	v_fmac_f32_e32 v47, v58, v51
	v_mov_b32_e32 v48, s13
	s_or_b64 s[10:11], vcc, s[10:11]
	v_fmac_f32_e32 v47, v53, v52
	s_andn2_b64 exec, exec, s[10:11]
	s_cbranch_execnz .LBB74_73
; %bb.74:
	s_or_b64 exec, exec, s[10:11]
.LBB74_75:
	s_or_b64 exec, exec, s[2:3]
	v_and_b32_e32 v49, 7, v49
	v_cmp_ne_u32_e32 vcc, 0, v49
	s_and_saveexec_b64 s[8:9], vcc
	s_cbranch_execz .LBB74_79
; %bb.76:
	v_lshl_add_u32 v50, v48, 2, 48
	v_mov_b32_e32 v51, 0
	s_mov_b64 s[10:11], 0
.LBB74_77:                              ; =>This Inner Loop Header: Depth=1
	v_cmp_eq_u32_e32 vcc, 1, v48
	v_cndmask_b32_e32 v52, v13, v14, vcc
	v_add_u32_e32 v49, -1, v49
	v_cmp_eq_u32_e32 vcc, 2, v48
	v_cndmask_b32_e32 v52, v52, v15, vcc
	v_cmp_eq_u32_e32 vcc, 0, v49
	v_cmp_eq_u32_e64 s[2:3], 3, v48
	v_cndmask_b32_e64 v52, v52, v16, s[2:3]
	s_or_b64 s[10:11], vcc, s[10:11]
	v_cmp_eq_u32_e32 vcc, 4, v48
	v_cndmask_b32_e32 v52, v52, v17, vcc
	v_cmp_eq_u32_e32 vcc, 5, v48
	v_cndmask_b32_e32 v52, v52, v18, vcc
	v_cmp_eq_u32_e32 vcc, 6, v48
	ds_read_b32 v53, v50
	v_cndmask_b32_e32 v52, v52, v19, vcc
	v_cmp_eq_u32_e32 vcc, 7, v48
	v_cndmask_b32_e32 v52, v52, v20, vcc
	v_cmp_eq_u32_e32 vcc, 8, v48
	;; [unrolled: 2-line block ×4, first 2 shown]
	v_add_co_u32_e64 v48, s[2:3], 1, v48
	v_cndmask_b32_e32 v52, v52, v23, vcc
	v_add_u32_e32 v50, 4, v50
	v_addc_co_u32_e64 v51, s[2:3], 0, v51, s[2:3]
	s_waitcnt lgkmcnt(0)
	v_fmac_f32_e32 v47, v52, v53
	s_andn2_b64 exec, exec, s[10:11]
	s_cbranch_execnz .LBB74_77
; %bb.78:
	s_or_b64 exec, exec, s[10:11]
.LBB74_79:
	s_or_b64 exec, exec, s[8:9]
.LBB74_80:
	s_or_b64 exec, exec, s[6:7]
	v_mov_b32_e32 v17, 0
	ds_read_b32 v17, v17 offset:16
	s_waitcnt lgkmcnt(0)
	v_mul_f32_e32 v17, v47, v17
.LBB74_81:
	s_or_b64 exec, exec, s[4:5]
	v_cmp_lt_u32_e64 s[2:3], 3, v0
	ds_write_b32 v46, v16
	s_waitcnt lgkmcnt(0)
	; wave barrier
	s_and_saveexec_b64 s[4:5], s[2:3]
	s_cbranch_execz .LBB74_97
; %bb.82:
	s_andn2_b64 vcc, exec, s[22:23]
	s_cbranch_vccnz .LBB74_84
; %bb.83:
	v_cmp_eq_u32_e32 vcc, 1, v0
	v_cndmask_b32_e32 v47, v13, v14, vcc
	v_cmp_eq_u32_e32 vcc, 2, v0
	v_cndmask_b32_e32 v47, v47, v15, vcc
	;; [unrolled: 2-line block ×6, first 2 shown]
	v_cmp_eq_u32_e32 vcc, 7, v0
	ds_read_b32 v48, v46
	v_cndmask_b32_e32 v47, v47, v20, vcc
	v_cmp_eq_u32_e32 vcc, 8, v0
	v_cndmask_b32_e32 v47, v47, v21, vcc
	v_cmp_eq_u32_e32 vcc, 9, v0
	;; [unrolled: 2-line block ×3, first 2 shown]
	v_cndmask_b32_e32 v47, v47, v23, vcc
	s_waitcnt lgkmcnt(0)
	v_mul_f32_e32 v47, v47, v48
	s_cbranch_execz .LBB74_85
	s_branch .LBB74_86
.LBB74_84:
                                        ; implicit-def: $vgpr47
.LBB74_85:
	ds_read_b32 v47, v46
.LBB74_86:
	s_and_saveexec_b64 s[6:7], s[0:1]
	s_cbranch_execz .LBB74_96
; %bb.87:
	v_add_u32_e32 v48, -5, v0
	v_add_u32_e32 v49, -4, v0
	v_cmp_lt_u32_e32 vcc, 6, v48
	v_mov_b32_e32 v48, 4
	s_and_saveexec_b64 s[0:1], vcc
	s_cbranch_execz .LBB74_91
; %bb.88:
	v_and_b32_e32 v48, -8, v49
	v_sub_u32_e32 v50, 0, v48
	s_mov_b64 s[8:9], 5
	s_mov_b32 s12, 64
	s_mov_b64 s[10:11], 0
.LBB74_89:                              ; =>This Inner Loop Header: Depth=1
	s_add_i32 s13, s8, -1
	v_mov_b32_e32 v48, s12
	s_set_gpr_idx_on s13, gpr_idx(SRC0)
	v_mov_b32_e32 v59, v13
	s_set_gpr_idx_off
	s_add_i32 s14, s8, 1
	ds_read_b128 v[51:54], v48
	ds_read_b128 v[55:58], v48 offset:16
	s_set_gpr_idx_on s8, gpr_idx(SRC0)
	v_mov_b32_e32 v60, v13
	s_set_gpr_idx_off
	s_add_i32 s15, s8, 2
	s_set_gpr_idx_on s14, gpr_idx(SRC0)
	v_mov_b32_e32 v61, v13
	s_set_gpr_idx_off
	s_add_i32 s16, s8, 3
	;; [unrolled: 4-line block ×4, first 2 shown]
	s_waitcnt lgkmcnt(1)
	v_fmac_f32_e32 v47, v59, v51
	s_set_gpr_idx_on s17, gpr_idx(SRC0)
	v_mov_b32_e32 v51, v13
	s_set_gpr_idx_off
	s_add_i32 s19, s8, 6
	v_fmac_f32_e32 v47, v60, v52
	s_set_gpr_idx_on s18, gpr_idx(SRC0)
	v_mov_b32_e32 v52, v13
	s_set_gpr_idx_off
	v_fmac_f32_e32 v47, v61, v53
	s_set_gpr_idx_on s19, gpr_idx(SRC0)
	v_mov_b32_e32 v53, v13
	s_set_gpr_idx_off
	v_fmac_f32_e32 v47, v62, v54
	s_add_u32 s8, s8, 8
	s_waitcnt lgkmcnt(0)
	v_fmac_f32_e32 v47, v63, v55
	v_add_u32_e32 v48, s8, v50
	v_fmac_f32_e32 v47, v51, v56
	s_addc_u32 s9, s9, 0
	s_add_i32 s12, s12, 32
	s_add_i32 s13, s8, -1
	v_cmp_eq_u32_e32 vcc, 5, v48
	v_fmac_f32_e32 v47, v52, v57
	v_mov_b32_e32 v48, s13
	s_or_b64 s[10:11], vcc, s[10:11]
	v_fmac_f32_e32 v47, v53, v58
	s_andn2_b64 exec, exec, s[10:11]
	s_cbranch_execnz .LBB74_89
; %bb.90:
	s_or_b64 exec, exec, s[10:11]
.LBB74_91:
	s_or_b64 exec, exec, s[0:1]
	v_and_b32_e32 v49, 7, v49
	v_cmp_ne_u32_e32 vcc, 0, v49
	s_and_saveexec_b64 s[8:9], vcc
	s_cbranch_execz .LBB74_95
; %bb.92:
	v_lshl_add_u32 v50, v48, 2, 48
	v_mov_b32_e32 v51, 0
	s_mov_b64 s[10:11], 0
.LBB74_93:                              ; =>This Inner Loop Header: Depth=1
	v_cmp_eq_u32_e32 vcc, 1, v48
	v_cndmask_b32_e32 v52, v13, v14, vcc
	v_add_u32_e32 v49, -1, v49
	v_cmp_eq_u32_e32 vcc, 2, v48
	v_cndmask_b32_e32 v52, v52, v15, vcc
	v_cmp_eq_u32_e32 vcc, 0, v49
	v_cmp_eq_u32_e64 s[0:1], 3, v48
	v_cndmask_b32_e64 v52, v52, v16, s[0:1]
	s_or_b64 s[10:11], vcc, s[10:11]
	v_cmp_eq_u32_e32 vcc, 4, v48
	v_cndmask_b32_e32 v52, v52, v17, vcc
	v_cmp_eq_u32_e32 vcc, 5, v48
	v_cndmask_b32_e32 v52, v52, v18, vcc
	v_cmp_eq_u32_e32 vcc, 6, v48
	ds_read_b32 v53, v50
	v_cndmask_b32_e32 v52, v52, v19, vcc
	v_cmp_eq_u32_e32 vcc, 7, v48
	v_cndmask_b32_e32 v52, v52, v20, vcc
	v_cmp_eq_u32_e32 vcc, 8, v48
	v_cndmask_b32_e32 v52, v52, v21, vcc
	v_cmp_eq_u32_e32 vcc, 9, v48
	v_cndmask_b32_e32 v52, v52, v22, vcc
	v_cmp_eq_u32_e32 vcc, 10, v48
	v_add_co_u32_e64 v48, s[0:1], 1, v48
	v_cndmask_b32_e32 v52, v52, v23, vcc
	v_add_u32_e32 v50, 4, v50
	v_addc_co_u32_e64 v51, s[0:1], 0, v51, s[0:1]
	s_waitcnt lgkmcnt(0)
	v_fmac_f32_e32 v47, v52, v53
	s_andn2_b64 exec, exec, s[10:11]
	s_cbranch_execnz .LBB74_93
; %bb.94:
	s_or_b64 exec, exec, s[10:11]
.LBB74_95:
	s_or_b64 exec, exec, s[8:9]
.LBB74_96:
	s_or_b64 exec, exec, s[6:7]
	v_mov_b32_e32 v16, 0
	ds_read_b32 v16, v16 offset:12
	s_waitcnt lgkmcnt(0)
	v_mul_f32_e32 v16, v47, v16
.LBB74_97:
	s_or_b64 exec, exec, s[4:5]
	v_cmp_lt_u32_e64 s[0:1], 2, v0
	ds_write_b32 v46, v15
	s_waitcnt lgkmcnt(0)
	; wave barrier
	s_and_saveexec_b64 s[4:5], s[0:1]
	s_cbranch_execz .LBB74_113
; %bb.98:
	s_andn2_b64 vcc, exec, s[22:23]
	s_cbranch_vccnz .LBB74_100
; %bb.99:
	v_cmp_eq_u32_e32 vcc, 1, v0
	v_cndmask_b32_e32 v47, v13, v14, vcc
	v_cmp_eq_u32_e32 vcc, 2, v0
	v_cndmask_b32_e32 v47, v47, v15, vcc
	;; [unrolled: 2-line block ×6, first 2 shown]
	v_cmp_eq_u32_e32 vcc, 7, v0
	ds_read_b32 v48, v46
	v_cndmask_b32_e32 v47, v47, v20, vcc
	v_cmp_eq_u32_e32 vcc, 8, v0
	v_cndmask_b32_e32 v47, v47, v21, vcc
	v_cmp_eq_u32_e32 vcc, 9, v0
	;; [unrolled: 2-line block ×3, first 2 shown]
	v_cndmask_b32_e32 v47, v47, v23, vcc
	s_waitcnt lgkmcnt(0)
	v_mul_f32_e32 v47, v47, v48
	s_cbranch_execz .LBB74_101
	s_branch .LBB74_102
.LBB74_100:
                                        ; implicit-def: $vgpr47
.LBB74_101:
	ds_read_b32 v47, v46
.LBB74_102:
	s_and_saveexec_b64 s[6:7], s[2:3]
	s_cbranch_execz .LBB74_112
; %bb.103:
	v_add_u32_e32 v48, -4, v0
	v_add_u32_e32 v49, -3, v0
	v_cmp_lt_u32_e32 vcc, 6, v48
	v_mov_b32_e32 v48, 3
	s_and_saveexec_b64 s[2:3], vcc
	s_cbranch_execz .LBB74_107
; %bb.104:
	v_and_b32_e32 v48, -8, v49
	v_sub_u32_e32 v50, 0, v48
	s_mov_b64 s[8:9], 10
	s_mov_b32 s12, 60
	s_mov_b64 s[10:11], 0
.LBB74_105:                             ; =>This Inner Loop Header: Depth=1
	s_add_i32 s13, s8, -7
	v_mov_b32_e32 v48, s12
	s_add_i32 s14, s8, -6
	s_set_gpr_idx_on s13, gpr_idx(SRC0)
	v_mov_b32_e32 v57, v13
	s_set_gpr_idx_off
	ds_read2_b32 v[51:52], v48 offset1:1
	s_add_i32 s15, s8, -5
	s_set_gpr_idx_on s14, gpr_idx(SRC0)
	v_mov_b32_e32 v58, v13
	s_set_gpr_idx_off
	s_add_i32 s16, s8, -4
	s_set_gpr_idx_on s15, gpr_idx(SRC0)
	v_mov_b32_e32 v59, v13
	s_set_gpr_idx_off
	ds_read2_b32 v[53:54], v48 offset0:2 offset1:3
	s_add_i32 s17, s8, -3
	s_set_gpr_idx_on s16, gpr_idx(SRC0)
	v_mov_b32_e32 v60, v13
	s_set_gpr_idx_off
	s_add_i32 s18, s8, -2
	s_set_gpr_idx_on s17, gpr_idx(SRC0)
	v_mov_b32_e32 v61, v13
	s_set_gpr_idx_off
	ds_read2_b32 v[55:56], v48 offset0:4 offset1:5
	s_add_i32 s19, s8, -1
	s_waitcnt lgkmcnt(2)
	v_fmac_f32_e32 v47, v57, v51
	s_set_gpr_idx_on s18, gpr_idx(SRC0)
	v_mov_b32_e32 v57, v13
	s_set_gpr_idx_off
	v_fmac_f32_e32 v47, v58, v52
	s_set_gpr_idx_on s19, gpr_idx(SRC0)
	v_mov_b32_e32 v58, v13
	s_set_gpr_idx_off
	ds_read2_b32 v[51:52], v48 offset0:6 offset1:7
	s_waitcnt lgkmcnt(2)
	v_fmac_f32_e32 v47, v59, v53
	s_set_gpr_idx_on s8, gpr_idx(SRC0)
	v_mov_b32_e32 v53, v13
	s_set_gpr_idx_off
	v_fmac_f32_e32 v47, v60, v54
	s_add_u32 s8, s8, 8
	s_waitcnt lgkmcnt(1)
	v_fmac_f32_e32 v47, v61, v55
	v_add_u32_e32 v48, s8, v50
	v_fmac_f32_e32 v47, v57, v56
	s_addc_u32 s9, s9, 0
	s_add_i32 s12, s12, 32
	s_add_i32 s13, s8, -7
	v_cmp_eq_u32_e32 vcc, 10, v48
	s_waitcnt lgkmcnt(0)
	v_fmac_f32_e32 v47, v58, v51
	v_mov_b32_e32 v48, s13
	s_or_b64 s[10:11], vcc, s[10:11]
	v_fmac_f32_e32 v47, v53, v52
	s_andn2_b64 exec, exec, s[10:11]
	s_cbranch_execnz .LBB74_105
; %bb.106:
	s_or_b64 exec, exec, s[10:11]
.LBB74_107:
	s_or_b64 exec, exec, s[2:3]
	v_and_b32_e32 v49, 7, v49
	v_cmp_ne_u32_e32 vcc, 0, v49
	s_and_saveexec_b64 s[8:9], vcc
	s_cbranch_execz .LBB74_111
; %bb.108:
	v_lshl_add_u32 v50, v48, 2, 48
	v_mov_b32_e32 v51, 0
	s_mov_b64 s[10:11], 0
.LBB74_109:                             ; =>This Inner Loop Header: Depth=1
	v_cmp_eq_u32_e32 vcc, 1, v48
	v_cndmask_b32_e32 v52, v13, v14, vcc
	v_add_u32_e32 v49, -1, v49
	v_cmp_eq_u32_e32 vcc, 2, v48
	v_cndmask_b32_e32 v52, v52, v15, vcc
	v_cmp_eq_u32_e32 vcc, 0, v49
	v_cmp_eq_u32_e64 s[2:3], 3, v48
	v_cndmask_b32_e64 v52, v52, v16, s[2:3]
	s_or_b64 s[10:11], vcc, s[10:11]
	v_cmp_eq_u32_e32 vcc, 4, v48
	v_cndmask_b32_e32 v52, v52, v17, vcc
	v_cmp_eq_u32_e32 vcc, 5, v48
	v_cndmask_b32_e32 v52, v52, v18, vcc
	v_cmp_eq_u32_e32 vcc, 6, v48
	ds_read_b32 v53, v50
	v_cndmask_b32_e32 v52, v52, v19, vcc
	v_cmp_eq_u32_e32 vcc, 7, v48
	v_cndmask_b32_e32 v52, v52, v20, vcc
	v_cmp_eq_u32_e32 vcc, 8, v48
	;; [unrolled: 2-line block ×4, first 2 shown]
	v_add_co_u32_e64 v48, s[2:3], 1, v48
	v_cndmask_b32_e32 v52, v52, v23, vcc
	v_add_u32_e32 v50, 4, v50
	v_addc_co_u32_e64 v51, s[2:3], 0, v51, s[2:3]
	s_waitcnt lgkmcnt(0)
	v_fmac_f32_e32 v47, v52, v53
	s_andn2_b64 exec, exec, s[10:11]
	s_cbranch_execnz .LBB74_109
; %bb.110:
	s_or_b64 exec, exec, s[10:11]
.LBB74_111:
	s_or_b64 exec, exec, s[8:9]
.LBB74_112:
	s_or_b64 exec, exec, s[6:7]
	v_mov_b32_e32 v15, 0
	ds_read_b32 v15, v15 offset:8
	s_waitcnt lgkmcnt(0)
	v_mul_f32_e32 v15, v47, v15
.LBB74_113:
	s_or_b64 exec, exec, s[4:5]
	v_cmp_lt_u32_e64 s[2:3], 1, v0
	ds_write_b32 v46, v14
	s_waitcnt lgkmcnt(0)
	; wave barrier
	s_and_saveexec_b64 s[4:5], s[2:3]
	s_cbranch_execz .LBB74_129
; %bb.114:
	s_andn2_b64 vcc, exec, s[22:23]
	s_cbranch_vccnz .LBB74_116
; %bb.115:
	v_cmp_eq_u32_e32 vcc, 1, v0
	v_cndmask_b32_e32 v47, v13, v14, vcc
	v_cmp_eq_u32_e32 vcc, 2, v0
	v_cndmask_b32_e32 v47, v47, v15, vcc
	;; [unrolled: 2-line block ×6, first 2 shown]
	v_cmp_eq_u32_e32 vcc, 7, v0
	ds_read_b32 v48, v46
	v_cndmask_b32_e32 v47, v47, v20, vcc
	v_cmp_eq_u32_e32 vcc, 8, v0
	v_cndmask_b32_e32 v47, v47, v21, vcc
	v_cmp_eq_u32_e32 vcc, 9, v0
	;; [unrolled: 2-line block ×3, first 2 shown]
	v_cndmask_b32_e32 v47, v47, v23, vcc
	s_waitcnt lgkmcnt(0)
	v_mul_f32_e32 v47, v47, v48
	s_cbranch_execz .LBB74_117
	s_branch .LBB74_118
.LBB74_116:
                                        ; implicit-def: $vgpr47
.LBB74_117:
	ds_read_b32 v47, v46
.LBB74_118:
	s_and_saveexec_b64 s[6:7], s[0:1]
	s_cbranch_execz .LBB74_128
; %bb.119:
	v_add_u32_e32 v48, -3, v0
	v_add_u32_e32 v49, -2, v0
	v_cmp_lt_u32_e32 vcc, 6, v48
	v_mov_b32_e32 v48, 2
	s_and_saveexec_b64 s[0:1], vcc
	s_cbranch_execz .LBB74_123
; %bb.120:
	v_and_b32_e32 v48, -8, v49
	v_sub_u32_e32 v50, 0, v48
	s_mov_b64 s[8:9], 9
	s_mov_b32 s12, 56
	s_mov_b64 s[10:11], 0
.LBB74_121:                             ; =>This Inner Loop Header: Depth=1
	s_add_i32 s13, s8, -7
	v_mov_b32_e32 v48, s12
	s_add_i32 s14, s8, -6
	s_set_gpr_idx_on s13, gpr_idx(SRC0)
	v_mov_b32_e32 v59, v13
	s_set_gpr_idx_off
	ds_read2_b64 v[51:54], v48 offset1:1
	s_add_i32 s15, s8, -5
	s_set_gpr_idx_on s14, gpr_idx(SRC0)
	v_mov_b32_e32 v60, v13
	s_set_gpr_idx_off
	s_add_i32 s16, s8, -4
	s_set_gpr_idx_on s15, gpr_idx(SRC0)
	v_mov_b32_e32 v61, v13
	s_set_gpr_idx_off
	;; [unrolled: 4-line block ×4, first 2 shown]
	ds_read2_b64 v[55:58], v48 offset0:2 offset1:3
	s_add_i32 s19, s8, -1
	s_waitcnt lgkmcnt(1)
	v_fmac_f32_e32 v47, v59, v51
	s_set_gpr_idx_on s18, gpr_idx(SRC0)
	v_mov_b32_e32 v51, v13
	s_set_gpr_idx_off
	v_fmac_f32_e32 v47, v60, v52
	s_set_gpr_idx_on s19, gpr_idx(SRC0)
	v_mov_b32_e32 v52, v13
	s_set_gpr_idx_off
	;; [unrolled: 4-line block ×3, first 2 shown]
	v_fmac_f32_e32 v47, v62, v54
	s_add_u32 s8, s8, 8
	s_waitcnt lgkmcnt(0)
	v_fmac_f32_e32 v47, v63, v55
	v_add_u32_e32 v48, s8, v50
	v_fmac_f32_e32 v47, v51, v56
	s_addc_u32 s9, s9, 0
	s_add_i32 s12, s12, 32
	s_add_i32 s13, s8, -7
	v_cmp_eq_u32_e32 vcc, 9, v48
	v_fmac_f32_e32 v47, v52, v57
	v_mov_b32_e32 v48, s13
	s_or_b64 s[10:11], vcc, s[10:11]
	v_fmac_f32_e32 v47, v53, v58
	s_andn2_b64 exec, exec, s[10:11]
	s_cbranch_execnz .LBB74_121
; %bb.122:
	s_or_b64 exec, exec, s[10:11]
.LBB74_123:
	s_or_b64 exec, exec, s[0:1]
	v_and_b32_e32 v49, 7, v49
	v_cmp_ne_u32_e32 vcc, 0, v49
	s_and_saveexec_b64 s[8:9], vcc
	s_cbranch_execz .LBB74_127
; %bb.124:
	v_lshl_add_u32 v50, v48, 2, 48
	v_mov_b32_e32 v51, 0
	s_mov_b64 s[10:11], 0
.LBB74_125:                             ; =>This Inner Loop Header: Depth=1
	v_cmp_eq_u32_e32 vcc, 1, v48
	v_cndmask_b32_e32 v52, v13, v14, vcc
	v_add_u32_e32 v49, -1, v49
	v_cmp_eq_u32_e32 vcc, 2, v48
	v_cndmask_b32_e32 v52, v52, v15, vcc
	v_cmp_eq_u32_e32 vcc, 0, v49
	v_cmp_eq_u32_e64 s[0:1], 3, v48
	v_cndmask_b32_e64 v52, v52, v16, s[0:1]
	s_or_b64 s[10:11], vcc, s[10:11]
	v_cmp_eq_u32_e32 vcc, 4, v48
	v_cndmask_b32_e32 v52, v52, v17, vcc
	v_cmp_eq_u32_e32 vcc, 5, v48
	v_cndmask_b32_e32 v52, v52, v18, vcc
	v_cmp_eq_u32_e32 vcc, 6, v48
	ds_read_b32 v53, v50
	v_cndmask_b32_e32 v52, v52, v19, vcc
	v_cmp_eq_u32_e32 vcc, 7, v48
	v_cndmask_b32_e32 v52, v52, v20, vcc
	v_cmp_eq_u32_e32 vcc, 8, v48
	;; [unrolled: 2-line block ×4, first 2 shown]
	v_add_co_u32_e64 v48, s[0:1], 1, v48
	v_cndmask_b32_e32 v52, v52, v23, vcc
	v_add_u32_e32 v50, 4, v50
	v_addc_co_u32_e64 v51, s[0:1], 0, v51, s[0:1]
	s_waitcnt lgkmcnt(0)
	v_fmac_f32_e32 v47, v52, v53
	s_andn2_b64 exec, exec, s[10:11]
	s_cbranch_execnz .LBB74_125
; %bb.126:
	s_or_b64 exec, exec, s[10:11]
.LBB74_127:
	s_or_b64 exec, exec, s[8:9]
.LBB74_128:
	s_or_b64 exec, exec, s[6:7]
	v_mov_b32_e32 v14, 0
	ds_read_b32 v14, v14 offset:4
	s_waitcnt lgkmcnt(0)
	v_mul_f32_e32 v14, v47, v14
.LBB74_129:
	s_or_b64 exec, exec, s[4:5]
	v_cmp_ne_u32_e32 vcc, 0, v0
	ds_write_b32 v46, v13
	s_waitcnt lgkmcnt(0)
	; wave barrier
	s_and_saveexec_b64 s[4:5], vcc
	s_cbranch_execz .LBB74_145
; %bb.130:
	s_andn2_b64 vcc, exec, s[22:23]
	s_cbranch_vccnz .LBB74_132
; %bb.131:
	v_cmp_eq_u32_e32 vcc, 1, v0
	v_cndmask_b32_e32 v47, v13, v14, vcc
	v_cmp_eq_u32_e32 vcc, 2, v0
	v_cndmask_b32_e32 v47, v47, v15, vcc
	;; [unrolled: 2-line block ×6, first 2 shown]
	v_cmp_eq_u32_e32 vcc, 7, v0
	ds_read_b32 v48, v46
	v_cndmask_b32_e32 v47, v47, v20, vcc
	v_cmp_eq_u32_e32 vcc, 8, v0
	v_cndmask_b32_e32 v47, v47, v21, vcc
	v_cmp_eq_u32_e32 vcc, 9, v0
	;; [unrolled: 2-line block ×3, first 2 shown]
	v_cndmask_b32_e32 v47, v47, v23, vcc
	s_waitcnt lgkmcnt(0)
	v_mul_f32_e32 v47, v47, v48
	s_cbranch_execz .LBB74_133
	s_branch .LBB74_134
.LBB74_132:
                                        ; implicit-def: $vgpr47
.LBB74_133:
	ds_read_b32 v47, v46
.LBB74_134:
	s_and_saveexec_b64 s[6:7], s[2:3]
	s_cbranch_execz .LBB74_144
; %bb.135:
	v_add_u32_e32 v48, -2, v0
	v_add_u32_e32 v49, -1, v0
	v_cmp_lt_u32_e32 vcc, 6, v48
	v_mov_b32_e32 v48, 1
	s_and_saveexec_b64 s[0:1], vcc
	s_cbranch_execz .LBB74_139
; %bb.136:
	v_and_b32_e32 v48, -8, v49
	v_sub_u32_e32 v50, 0, v48
	s_mov_b64 s[2:3], 8
	s_mov_b32 s10, 52
	s_mov_b64 s[8:9], 0
.LBB74_137:                             ; =>This Inner Loop Header: Depth=1
	s_add_i32 s11, s2, -7
	v_mov_b32_e32 v48, s10
	s_add_i32 s12, s2, -6
	s_set_gpr_idx_on s11, gpr_idx(SRC0)
	v_mov_b32_e32 v57, v13
	s_set_gpr_idx_off
	ds_read2_b32 v[51:52], v48 offset1:1
	s_add_i32 s13, s2, -5
	s_set_gpr_idx_on s12, gpr_idx(SRC0)
	v_mov_b32_e32 v58, v13
	s_set_gpr_idx_off
	s_add_i32 s14, s2, -4
	s_set_gpr_idx_on s13, gpr_idx(SRC0)
	v_mov_b32_e32 v59, v13
	s_set_gpr_idx_off
	ds_read2_b32 v[53:54], v48 offset0:2 offset1:3
	s_add_i32 s15, s2, -3
	s_set_gpr_idx_on s14, gpr_idx(SRC0)
	v_mov_b32_e32 v60, v13
	s_set_gpr_idx_off
	s_add_i32 s16, s2, -2
	s_set_gpr_idx_on s15, gpr_idx(SRC0)
	v_mov_b32_e32 v61, v13
	s_set_gpr_idx_off
	ds_read2_b32 v[55:56], v48 offset0:4 offset1:5
	s_add_i32 s17, s2, -1
	s_waitcnt lgkmcnt(2)
	v_fmac_f32_e32 v47, v57, v51
	s_set_gpr_idx_on s16, gpr_idx(SRC0)
	v_mov_b32_e32 v57, v13
	s_set_gpr_idx_off
	v_fmac_f32_e32 v47, v58, v52
	s_set_gpr_idx_on s17, gpr_idx(SRC0)
	v_mov_b32_e32 v58, v13
	s_set_gpr_idx_off
	ds_read2_b32 v[51:52], v48 offset0:6 offset1:7
	s_waitcnt lgkmcnt(2)
	v_fmac_f32_e32 v47, v59, v53
	s_set_gpr_idx_on s2, gpr_idx(SRC0)
	v_mov_b32_e32 v53, v13
	s_set_gpr_idx_off
	v_fmac_f32_e32 v47, v60, v54
	s_add_u32 s2, s2, 8
	s_waitcnt lgkmcnt(1)
	v_fmac_f32_e32 v47, v61, v55
	v_add_u32_e32 v48, s2, v50
	v_fmac_f32_e32 v47, v57, v56
	s_addc_u32 s3, s3, 0
	s_add_i32 s10, s10, 32
	s_add_i32 s11, s2, -7
	v_cmp_eq_u32_e32 vcc, 8, v48
	s_waitcnt lgkmcnt(0)
	v_fmac_f32_e32 v47, v58, v51
	v_mov_b32_e32 v48, s11
	s_or_b64 s[8:9], vcc, s[8:9]
	v_fmac_f32_e32 v47, v53, v52
	s_andn2_b64 exec, exec, s[8:9]
	s_cbranch_execnz .LBB74_137
; %bb.138:
	s_or_b64 exec, exec, s[8:9]
.LBB74_139:
	s_or_b64 exec, exec, s[0:1]
	v_and_b32_e32 v49, 7, v49
	v_cmp_ne_u32_e32 vcc, 0, v49
	s_and_saveexec_b64 s[2:3], vcc
	s_cbranch_execz .LBB74_143
; %bb.140:
	v_lshl_add_u32 v50, v48, 2, 48
	v_mov_b32_e32 v51, 0
	s_mov_b64 s[8:9], 0
.LBB74_141:                             ; =>This Inner Loop Header: Depth=1
	v_cmp_eq_u32_e32 vcc, 1, v48
	v_cndmask_b32_e32 v52, v13, v14, vcc
	v_add_u32_e32 v49, -1, v49
	v_cmp_eq_u32_e32 vcc, 2, v48
	v_cndmask_b32_e32 v52, v52, v15, vcc
	v_cmp_eq_u32_e32 vcc, 0, v49
	v_cmp_eq_u32_e64 s[0:1], 3, v48
	v_cndmask_b32_e64 v52, v52, v16, s[0:1]
	s_or_b64 s[8:9], vcc, s[8:9]
	v_cmp_eq_u32_e32 vcc, 4, v48
	v_cndmask_b32_e32 v52, v52, v17, vcc
	v_cmp_eq_u32_e32 vcc, 5, v48
	v_cndmask_b32_e32 v52, v52, v18, vcc
	v_cmp_eq_u32_e32 vcc, 6, v48
	ds_read_b32 v53, v50
	v_cndmask_b32_e32 v52, v52, v19, vcc
	v_cmp_eq_u32_e32 vcc, 7, v48
	v_cndmask_b32_e32 v52, v52, v20, vcc
	v_cmp_eq_u32_e32 vcc, 8, v48
	;; [unrolled: 2-line block ×4, first 2 shown]
	v_add_co_u32_e64 v48, s[0:1], 1, v48
	v_cndmask_b32_e32 v52, v52, v23, vcc
	v_add_u32_e32 v50, 4, v50
	v_addc_co_u32_e64 v51, s[0:1], 0, v51, s[0:1]
	s_waitcnt lgkmcnt(0)
	v_fmac_f32_e32 v47, v52, v53
	s_andn2_b64 exec, exec, s[8:9]
	s_cbranch_execnz .LBB74_141
; %bb.142:
	s_or_b64 exec, exec, s[8:9]
.LBB74_143:
	s_or_b64 exec, exec, s[2:3]
.LBB74_144:
	s_or_b64 exec, exec, s[6:7]
	v_mov_b32_e32 v13, 0
	ds_read_b32 v13, v13
	s_waitcnt lgkmcnt(0)
	v_mul_f32_e32 v13, v47, v13
.LBB74_145:
	s_or_b64 exec, exec, s[4:5]
	s_branch .LBB74_249
.LBB74_146:
	v_cmp_eq_u32_e64 s[0:1], 0, v0
	s_waitcnt vmcnt(0) lgkmcnt(0)
	ds_write_b32 v46, v3
	s_waitcnt lgkmcnt(0)
	; wave barrier
	s_and_saveexec_b64 s[2:3], s[0:1]
	s_cbranch_execz .LBB74_152
; %bb.147:
	s_and_b64 vcc, exec, s[22:23]
	s_cbranch_vccz .LBB74_149
; %bb.148:
	v_cmp_eq_u32_e32 vcc, 1, v0
	v_cndmask_b32_e32 v3, v2, v3, vcc
	v_cmp_eq_u32_e32 vcc, 2, v0
	v_cndmask_b32_e32 v3, v3, v4, vcc
	;; [unrolled: 2-line block ×6, first 2 shown]
	v_cmp_eq_u32_e32 vcc, 7, v0
	ds_read_b32 v13, v46
	v_cndmask_b32_e32 v3, v3, v9, vcc
	v_cmp_eq_u32_e32 vcc, 8, v0
	v_cndmask_b32_e32 v3, v3, v10, vcc
	v_cmp_eq_u32_e32 vcc, 9, v0
	;; [unrolled: 2-line block ×3, first 2 shown]
	v_cndmask_b32_e32 v3, v3, v12, vcc
	s_waitcnt lgkmcnt(0)
	v_mul_f32_e32 v3, v3, v13
	s_cbranch_execz .LBB74_150
	s_branch .LBB74_151
.LBB74_149:
                                        ; implicit-def: $vgpr3
.LBB74_150:
	ds_read_b32 v3, v46
.LBB74_151:
	v_mov_b32_e32 v13, 0
	ds_read_b32 v13, v13 offset:4
	s_waitcnt lgkmcnt(0)
	v_mul_f32_e32 v3, v3, v13
.LBB74_152:
	s_or_b64 exec, exec, s[2:3]
	v_cndmask_b32_e64 v13, 0, 1, s[22:23]
	v_cmp_gt_u32_e32 vcc, 2, v0
	v_cmp_ne_u32_e64 s[2:3], 1, v13
	ds_write_b32 v46, v4
	s_waitcnt lgkmcnt(0)
	; wave barrier
	s_and_saveexec_b64 s[4:5], vcc
	s_cbranch_execz .LBB74_158
; %bb.153:
	s_and_b64 vcc, exec, s[2:3]
	s_cbranch_vccnz .LBB74_155
; %bb.154:
	v_cmp_eq_u32_e32 vcc, 1, v0
	v_cndmask_b32_e32 v13, v2, v3, vcc
	v_cmp_eq_u32_e32 vcc, 2, v0
	v_cndmask_b32_e32 v4, v13, v4, vcc
	;; [unrolled: 2-line block ×6, first 2 shown]
	v_cmp_eq_u32_e32 vcc, 7, v0
	ds_read_b32 v13, v46
	v_cndmask_b32_e32 v4, v4, v9, vcc
	v_cmp_eq_u32_e32 vcc, 8, v0
	v_cndmask_b32_e32 v4, v4, v10, vcc
	v_cmp_eq_u32_e32 vcc, 9, v0
	;; [unrolled: 2-line block ×3, first 2 shown]
	v_cndmask_b32_e32 v4, v4, v12, vcc
	s_waitcnt lgkmcnt(0)
	v_mul_f32_e32 v4, v4, v13
	s_cbranch_execz .LBB74_156
	s_branch .LBB74_157
.LBB74_155:
                                        ; implicit-def: $vgpr4
.LBB74_156:
	ds_read_b32 v4, v46
.LBB74_157:
	v_mov_b32_e32 v13, 0
	ds_read2_b32 v[13:14], v13 offset0:2 offset1:13
	s_waitcnt lgkmcnt(0)
	v_fma_f32 v14, v3, v14, v4
	v_cndmask_b32_e64 v4, v4, v14, s[0:1]
	v_mul_f32_e32 v4, v4, v13
.LBB74_158:
	s_or_b64 exec, exec, s[4:5]
	v_add_u32_e32 v15, 1, v0
	v_cmp_gt_u32_e64 s[4:5], 3, v0
	ds_write_b32 v46, v5
	s_waitcnt lgkmcnt(0)
	; wave barrier
	s_and_saveexec_b64 s[6:7], s[4:5]
	s_cbranch_execz .LBB74_166
; %bb.159:
	s_and_b64 vcc, exec, s[2:3]
	s_cbranch_vccnz .LBB74_161
; %bb.160:
	v_cmp_eq_u32_e32 vcc, 1, v0
	v_cndmask_b32_e32 v13, v2, v3, vcc
	v_cmp_eq_u32_e32 vcc, 2, v0
	v_cndmask_b32_e32 v13, v13, v4, vcc
	;; [unrolled: 2-line block ×6, first 2 shown]
	v_cmp_eq_u32_e32 vcc, 7, v0
	ds_read_b32 v14, v46
	v_cndmask_b32_e32 v13, v13, v9, vcc
	v_cmp_eq_u32_e32 vcc, 8, v0
	v_cndmask_b32_e32 v13, v13, v10, vcc
	v_cmp_eq_u32_e32 vcc, 9, v0
	;; [unrolled: 2-line block ×3, first 2 shown]
	v_cndmask_b32_e32 v13, v13, v12, vcc
	s_waitcnt lgkmcnt(0)
	v_mul_f32_e32 v13, v13, v14
	s_cbranch_execz .LBB74_162
	s_branch .LBB74_163
.LBB74_161:
                                        ; implicit-def: $vgpr13
.LBB74_162:
	ds_read_b32 v13, v46
.LBB74_163:
	v_cmp_ne_u32_e32 vcc, 2, v0
	s_and_saveexec_b64 s[8:9], vcc
	s_cbranch_execz .LBB74_165
; %bb.164:
	v_cmp_eq_u32_e32 vcc, 1, v15
	v_cndmask_b32_e32 v14, v2, v3, vcc
	v_cmp_eq_u32_e32 vcc, 2, v15
	v_cndmask_b32_e32 v14, v14, v4, vcc
	v_cmp_eq_u32_e32 vcc, 3, v15
	v_cndmask_b32_e32 v5, v14, v5, vcc
	v_cmp_eq_u32_e32 vcc, 4, v15
	v_cndmask_b32_e32 v5, v5, v6, vcc
	v_cmp_eq_u32_e32 vcc, 5, v15
	v_cndmask_b32_e32 v5, v5, v7, vcc
	v_cmp_eq_u32_e32 vcc, 6, v15
	v_cndmask_b32_e32 v5, v5, v8, vcc
	v_cmp_eq_u32_e32 vcc, 7, v15
	v_mov_b32_e32 v14, 0
	v_cndmask_b32_e32 v5, v5, v9, vcc
	v_cmp_eq_u32_e32 vcc, 8, v15
	ds_read_b32 v16, v46 offset:4
	ds_read_b32 v14, v14 offset:56
	v_cndmask_b32_e32 v5, v5, v10, vcc
	v_cmp_eq_u32_e32 vcc, 9, v15
	v_cndmask_b32_e32 v5, v5, v11, vcc
	v_cmp_eq_u32_e32 vcc, 10, v15
	v_cndmask_b32_e32 v5, v5, v12, vcc
	s_waitcnt lgkmcnt(1)
	v_fmac_f32_e32 v13, v5, v16
	s_waitcnt lgkmcnt(0)
	v_fma_f32 v5, v4, v14, v13
	v_cndmask_b32_e64 v13, v13, v5, s[0:1]
.LBB74_165:
	s_or_b64 exec, exec, s[8:9]
	v_mov_b32_e32 v5, 0
	ds_read_b32 v5, v5 offset:12
	s_waitcnt lgkmcnt(0)
	v_mul_f32_e32 v5, v13, v5
.LBB74_166:
	s_or_b64 exec, exec, s[6:7]
	v_cmp_gt_u32_e32 vcc, 4, v0
	ds_write_b32 v46, v6
	s_waitcnt lgkmcnt(0)
	; wave barrier
	s_and_saveexec_b64 s[8:9], vcc
	s_cbranch_execz .LBB74_176
; %bb.167:
	s_and_b64 vcc, exec, s[2:3]
	s_cbranch_vccnz .LBB74_169
; %bb.168:
	v_cmp_eq_u32_e32 vcc, 1, v0
	v_cndmask_b32_e32 v13, v2, v3, vcc
	v_cmp_eq_u32_e32 vcc, 2, v0
	v_cndmask_b32_e32 v13, v13, v4, vcc
	;; [unrolled: 2-line block ×6, first 2 shown]
	v_cmp_eq_u32_e32 vcc, 7, v0
	ds_read_b32 v14, v46
	v_cndmask_b32_e32 v13, v13, v9, vcc
	v_cmp_eq_u32_e32 vcc, 8, v0
	v_cndmask_b32_e32 v13, v13, v10, vcc
	v_cmp_eq_u32_e32 vcc, 9, v0
	;; [unrolled: 2-line block ×3, first 2 shown]
	v_cndmask_b32_e32 v13, v13, v12, vcc
	s_waitcnt lgkmcnt(0)
	v_mul_f32_e32 v16, v13, v14
	s_cbranch_execz .LBB74_170
	s_branch .LBB74_171
.LBB74_169:
                                        ; implicit-def: $vgpr16
.LBB74_170:
	ds_read_b32 v16, v46
.LBB74_171:
	v_cmp_ne_u32_e32 vcc, 3, v0
	s_and_saveexec_b64 s[10:11], vcc
	s_cbranch_execz .LBB74_175
; %bb.172:
	v_mov_b32_e32 v14, v1
	v_lshl_add_u32 v17, v0, 2, 52
	s_mov_b64 s[12:13], 0
	v_mov_b32_e32 v13, v0
.LBB74_173:                             ; =>This Inner Loop Header: Depth=1
	v_add_co_u32_e32 v13, vcc, 1, v13
	v_addc_co_u32_e32 v14, vcc, 0, v14, vcc
	v_cmp_eq_u32_e32 vcc, 1, v13
	v_cndmask_b32_e32 v19, v2, v3, vcc
	v_cmp_lt_u32_e32 vcc, 2, v13
	v_cmp_eq_u32_e64 s[6:7], 2, v13
	v_cndmask_b32_e64 v19, v19, v4, s[6:7]
	s_or_b64 s[12:13], vcc, s[12:13]
	v_cmp_eq_u32_e32 vcc, 3, v13
	v_cndmask_b32_e32 v19, v19, v5, vcc
	v_cmp_eq_u32_e32 vcc, 4, v13
	v_cndmask_b32_e32 v19, v19, v6, vcc
	;; [unrolled: 2-line block ×3, first 2 shown]
	v_cmp_eq_u32_e32 vcc, 6, v13
	ds_read_b32 v18, v17
	v_cndmask_b32_e32 v19, v19, v8, vcc
	v_cmp_eq_u32_e32 vcc, 7, v13
	v_cndmask_b32_e32 v19, v19, v9, vcc
	v_cmp_eq_u32_e32 vcc, 8, v13
	;; [unrolled: 2-line block ×4, first 2 shown]
	v_cndmask_b32_e32 v19, v19, v12, vcc
	v_add_u32_e32 v17, 4, v17
	s_waitcnt lgkmcnt(0)
	v_fmac_f32_e32 v16, v19, v18
	s_andn2_b64 exec, exec, s[12:13]
	s_cbranch_execnz .LBB74_173
; %bb.174:
	s_or_b64 exec, exec, s[12:13]
.LBB74_175:
	s_or_b64 exec, exec, s[10:11]
	v_mov_b32_e32 v6, 0
	ds_read_b32 v6, v6 offset:16
	s_waitcnt lgkmcnt(0)
	v_mul_f32_e32 v6, v16, v6
.LBB74_176:
	s_or_b64 exec, exec, s[8:9]
	v_cmp_gt_u32_e64 s[6:7], 5, v0
	ds_write_b32 v46, v7
	s_waitcnt lgkmcnt(0)
	; wave barrier
	s_and_saveexec_b64 s[10:11], s[6:7]
	s_cbranch_execz .LBB74_186
; %bb.177:
	s_and_b64 vcc, exec, s[2:3]
	s_cbranch_vccnz .LBB74_179
; %bb.178:
	v_cmp_eq_u32_e32 vcc, 1, v0
	v_cndmask_b32_e32 v13, v2, v3, vcc
	v_cmp_eq_u32_e32 vcc, 2, v0
	v_cndmask_b32_e32 v13, v13, v4, vcc
	;; [unrolled: 2-line block ×6, first 2 shown]
	v_cmp_eq_u32_e32 vcc, 7, v0
	ds_read_b32 v14, v46
	v_cndmask_b32_e32 v13, v13, v9, vcc
	v_cmp_eq_u32_e32 vcc, 8, v0
	v_cndmask_b32_e32 v13, v13, v10, vcc
	v_cmp_eq_u32_e32 vcc, 9, v0
	v_cndmask_b32_e32 v13, v13, v11, vcc
	v_cmp_eq_u32_e32 vcc, 10, v0
	v_cndmask_b32_e32 v13, v13, v12, vcc
	s_waitcnt lgkmcnt(0)
	v_mul_f32_e32 v16, v13, v14
	s_cbranch_execz .LBB74_180
	s_branch .LBB74_181
.LBB74_179:
                                        ; implicit-def: $vgpr16
.LBB74_180:
	ds_read_b32 v16, v46
.LBB74_181:
	v_cmp_ne_u32_e32 vcc, 4, v0
	s_and_saveexec_b64 s[12:13], vcc
	s_cbranch_execz .LBB74_185
; %bb.182:
	v_mov_b32_e32 v14, v1
	v_lshl_add_u32 v17, v0, 2, 52
	s_mov_b64 s[14:15], 0
	v_mov_b32_e32 v13, v0
.LBB74_183:                             ; =>This Inner Loop Header: Depth=1
	v_add_co_u32_e32 v13, vcc, 1, v13
	v_addc_co_u32_e32 v14, vcc, 0, v14, vcc
	v_cmp_eq_u32_e32 vcc, 1, v13
	v_cndmask_b32_e32 v19, v2, v3, vcc
	v_cmp_lt_u32_e32 vcc, 3, v13
	v_cmp_eq_u32_e64 s[8:9], 2, v13
	v_cndmask_b32_e64 v19, v19, v4, s[8:9]
	s_or_b64 s[14:15], vcc, s[14:15]
	v_cmp_eq_u32_e32 vcc, 3, v13
	v_cndmask_b32_e32 v19, v19, v5, vcc
	v_cmp_eq_u32_e32 vcc, 4, v13
	v_cndmask_b32_e32 v19, v19, v6, vcc
	;; [unrolled: 2-line block ×3, first 2 shown]
	v_cmp_eq_u32_e32 vcc, 6, v13
	ds_read_b32 v18, v17
	v_cndmask_b32_e32 v19, v19, v8, vcc
	v_cmp_eq_u32_e32 vcc, 7, v13
	v_cndmask_b32_e32 v19, v19, v9, vcc
	v_cmp_eq_u32_e32 vcc, 8, v13
	v_cndmask_b32_e32 v19, v19, v10, vcc
	v_cmp_eq_u32_e32 vcc, 9, v13
	v_cndmask_b32_e32 v19, v19, v11, vcc
	v_cmp_eq_u32_e32 vcc, 10, v13
	v_cndmask_b32_e32 v19, v19, v12, vcc
	v_add_u32_e32 v17, 4, v17
	s_waitcnt lgkmcnt(0)
	v_fmac_f32_e32 v16, v19, v18
	s_andn2_b64 exec, exec, s[14:15]
	s_cbranch_execnz .LBB74_183
; %bb.184:
	s_or_b64 exec, exec, s[14:15]
.LBB74_185:
	s_or_b64 exec, exec, s[12:13]
	v_mov_b32_e32 v7, 0
	ds_read_b32 v7, v7 offset:20
	s_waitcnt lgkmcnt(0)
	v_mul_f32_e32 v7, v16, v7
.LBB74_186:
	s_or_b64 exec, exec, s[10:11]
	v_cmp_gt_u32_e32 vcc, 6, v0
	ds_write_b32 v46, v8
	s_waitcnt lgkmcnt(0)
	; wave barrier
	s_and_saveexec_b64 s[10:11], vcc
	s_cbranch_execz .LBB74_196
; %bb.187:
	s_and_b64 vcc, exec, s[2:3]
	s_cbranch_vccnz .LBB74_189
; %bb.188:
	v_cmp_eq_u32_e32 vcc, 1, v0
	v_cndmask_b32_e32 v13, v2, v3, vcc
	v_cmp_eq_u32_e32 vcc, 2, v0
	v_cndmask_b32_e32 v13, v13, v4, vcc
	;; [unrolled: 2-line block ×6, first 2 shown]
	v_cmp_eq_u32_e32 vcc, 7, v0
	ds_read_b32 v14, v46
	v_cndmask_b32_e32 v13, v13, v9, vcc
	v_cmp_eq_u32_e32 vcc, 8, v0
	v_cndmask_b32_e32 v13, v13, v10, vcc
	v_cmp_eq_u32_e32 vcc, 9, v0
	;; [unrolled: 2-line block ×3, first 2 shown]
	v_cndmask_b32_e32 v13, v13, v12, vcc
	s_waitcnt lgkmcnt(0)
	v_mul_f32_e32 v16, v13, v14
	s_cbranch_execz .LBB74_190
	s_branch .LBB74_191
.LBB74_189:
                                        ; implicit-def: $vgpr16
.LBB74_190:
	ds_read_b32 v16, v46
.LBB74_191:
	v_cmp_ne_u32_e32 vcc, 5, v0
	s_and_saveexec_b64 s[12:13], vcc
	s_cbranch_execz .LBB74_195
; %bb.192:
	v_mov_b32_e32 v14, v1
	v_lshl_add_u32 v17, v0, 2, 52
	s_mov_b64 s[14:15], 0
	v_mov_b32_e32 v13, v0
.LBB74_193:                             ; =>This Inner Loop Header: Depth=1
	v_add_co_u32_e32 v13, vcc, 1, v13
	v_addc_co_u32_e32 v14, vcc, 0, v14, vcc
	v_cmp_eq_u32_e32 vcc, 1, v13
	v_cndmask_b32_e32 v19, v2, v3, vcc
	v_cmp_lt_u32_e32 vcc, 4, v13
	v_cmp_eq_u32_e64 s[8:9], 2, v13
	v_cndmask_b32_e64 v19, v19, v4, s[8:9]
	s_or_b64 s[14:15], vcc, s[14:15]
	v_cmp_eq_u32_e32 vcc, 3, v13
	v_cndmask_b32_e32 v19, v19, v5, vcc
	v_cmp_eq_u32_e32 vcc, 4, v13
	v_cndmask_b32_e32 v19, v19, v6, vcc
	;; [unrolled: 2-line block ×3, first 2 shown]
	v_cmp_eq_u32_e32 vcc, 6, v13
	ds_read_b32 v18, v17
	v_cndmask_b32_e32 v19, v19, v8, vcc
	v_cmp_eq_u32_e32 vcc, 7, v13
	v_cndmask_b32_e32 v19, v19, v9, vcc
	v_cmp_eq_u32_e32 vcc, 8, v13
	;; [unrolled: 2-line block ×4, first 2 shown]
	v_cndmask_b32_e32 v19, v19, v12, vcc
	v_add_u32_e32 v17, 4, v17
	s_waitcnt lgkmcnt(0)
	v_fmac_f32_e32 v16, v19, v18
	s_andn2_b64 exec, exec, s[14:15]
	s_cbranch_execnz .LBB74_193
; %bb.194:
	s_or_b64 exec, exec, s[14:15]
.LBB74_195:
	s_or_b64 exec, exec, s[12:13]
	v_mov_b32_e32 v8, 0
	ds_read_b32 v8, v8 offset:24
	s_waitcnt lgkmcnt(0)
	v_mul_f32_e32 v8, v16, v8
.LBB74_196:
	s_or_b64 exec, exec, s[10:11]
	v_cmp_gt_u32_e64 s[10:11], 7, v0
	ds_write_b32 v46, v9
	s_waitcnt lgkmcnt(0)
	; wave barrier
	s_and_saveexec_b64 s[12:13], s[10:11]
	s_cbranch_execz .LBB74_206
; %bb.197:
	s_and_b64 vcc, exec, s[2:3]
	s_cbranch_vccnz .LBB74_199
; %bb.198:
	v_cmp_eq_u32_e32 vcc, 1, v0
	v_cndmask_b32_e32 v13, v2, v3, vcc
	v_cmp_eq_u32_e32 vcc, 2, v0
	v_cndmask_b32_e32 v13, v13, v4, vcc
	;; [unrolled: 2-line block ×6, first 2 shown]
	v_cmp_eq_u32_e32 vcc, 7, v0
	ds_read_b32 v14, v46
	v_cndmask_b32_e32 v13, v13, v9, vcc
	v_cmp_eq_u32_e32 vcc, 8, v0
	v_cndmask_b32_e32 v13, v13, v10, vcc
	v_cmp_eq_u32_e32 vcc, 9, v0
	;; [unrolled: 2-line block ×3, first 2 shown]
	v_cndmask_b32_e32 v13, v13, v12, vcc
	s_waitcnt lgkmcnt(0)
	v_mul_f32_e32 v16, v13, v14
	s_cbranch_execz .LBB74_200
	s_branch .LBB74_201
.LBB74_199:
                                        ; implicit-def: $vgpr16
.LBB74_200:
	ds_read_b32 v16, v46
.LBB74_201:
	v_cmp_ne_u32_e32 vcc, 6, v0
	s_and_saveexec_b64 s[14:15], vcc
	s_cbranch_execz .LBB74_205
; %bb.202:
	v_mov_b32_e32 v14, v1
	v_lshl_add_u32 v17, v0, 2, 52
	s_mov_b64 s[16:17], 0
	v_mov_b32_e32 v13, v0
.LBB74_203:                             ; =>This Inner Loop Header: Depth=1
	v_add_co_u32_e32 v13, vcc, 1, v13
	v_addc_co_u32_e32 v14, vcc, 0, v14, vcc
	v_cmp_eq_u32_e32 vcc, 1, v13
	v_cndmask_b32_e32 v19, v2, v3, vcc
	v_cmp_lt_u32_e32 vcc, 5, v13
	v_cmp_eq_u32_e64 s[8:9], 2, v13
	v_cndmask_b32_e64 v19, v19, v4, s[8:9]
	s_or_b64 s[16:17], vcc, s[16:17]
	v_cmp_eq_u32_e32 vcc, 3, v13
	v_cndmask_b32_e32 v19, v19, v5, vcc
	v_cmp_eq_u32_e32 vcc, 4, v13
	v_cndmask_b32_e32 v19, v19, v6, vcc
	;; [unrolled: 2-line block ×3, first 2 shown]
	v_cmp_eq_u32_e32 vcc, 6, v13
	ds_read_b32 v18, v17
	v_cndmask_b32_e32 v19, v19, v8, vcc
	v_cmp_eq_u32_e32 vcc, 7, v13
	v_cndmask_b32_e32 v19, v19, v9, vcc
	v_cmp_eq_u32_e32 vcc, 8, v13
	;; [unrolled: 2-line block ×4, first 2 shown]
	v_cndmask_b32_e32 v19, v19, v12, vcc
	v_add_u32_e32 v17, 4, v17
	s_waitcnt lgkmcnt(0)
	v_fmac_f32_e32 v16, v19, v18
	s_andn2_b64 exec, exec, s[16:17]
	s_cbranch_execnz .LBB74_203
; %bb.204:
	s_or_b64 exec, exec, s[16:17]
.LBB74_205:
	s_or_b64 exec, exec, s[14:15]
	v_mov_b32_e32 v9, 0
	ds_read_b32 v9, v9 offset:28
	s_waitcnt lgkmcnt(0)
	v_mul_f32_e32 v9, v16, v9
.LBB74_206:
	s_or_b64 exec, exec, s[12:13]
	v_cmp_gt_u32_e32 vcc, 8, v0
	ds_write_b32 v46, v10
	s_waitcnt lgkmcnt(0)
	; wave barrier
	s_and_saveexec_b64 s[12:13], vcc
	s_cbranch_execz .LBB74_216
; %bb.207:
	s_and_b64 vcc, exec, s[2:3]
	s_cbranch_vccnz .LBB74_209
; %bb.208:
	v_cmp_eq_u32_e32 vcc, 1, v0
	v_cndmask_b32_e32 v13, v2, v3, vcc
	v_cmp_eq_u32_e32 vcc, 2, v0
	v_cndmask_b32_e32 v13, v13, v4, vcc
	;; [unrolled: 2-line block ×6, first 2 shown]
	v_cmp_eq_u32_e32 vcc, 7, v0
	ds_read_b32 v14, v46
	v_cndmask_b32_e32 v13, v13, v9, vcc
	v_cmp_eq_u32_e32 vcc, 8, v0
	v_cndmask_b32_e32 v13, v13, v10, vcc
	v_cmp_eq_u32_e32 vcc, 9, v0
	;; [unrolled: 2-line block ×3, first 2 shown]
	v_cndmask_b32_e32 v13, v13, v12, vcc
	s_waitcnt lgkmcnt(0)
	v_mul_f32_e32 v16, v13, v14
	s_cbranch_execz .LBB74_210
	s_branch .LBB74_211
.LBB74_209:
                                        ; implicit-def: $vgpr16
.LBB74_210:
	ds_read_b32 v16, v46
.LBB74_211:
	v_cmp_ne_u32_e32 vcc, 7, v0
	s_and_saveexec_b64 s[14:15], vcc
	s_cbranch_execz .LBB74_215
; %bb.212:
	v_mov_b32_e32 v14, v1
	v_lshl_add_u32 v17, v0, 2, 52
	s_mov_b64 s[16:17], 0
	v_mov_b32_e32 v13, v0
.LBB74_213:                             ; =>This Inner Loop Header: Depth=1
	v_add_co_u32_e32 v13, vcc, 1, v13
	v_addc_co_u32_e32 v14, vcc, 0, v14, vcc
	v_cmp_eq_u32_e32 vcc, 1, v13
	v_cndmask_b32_e32 v19, v2, v3, vcc
	v_cmp_lt_u32_e32 vcc, 6, v13
	v_cmp_eq_u32_e64 s[8:9], 2, v13
	v_cndmask_b32_e64 v19, v19, v4, s[8:9]
	s_or_b64 s[16:17], vcc, s[16:17]
	v_cmp_eq_u32_e32 vcc, 3, v13
	v_cndmask_b32_e32 v19, v19, v5, vcc
	v_cmp_eq_u32_e32 vcc, 4, v13
	v_cndmask_b32_e32 v19, v19, v6, vcc
	;; [unrolled: 2-line block ×3, first 2 shown]
	v_cmp_eq_u32_e32 vcc, 6, v13
	ds_read_b32 v18, v17
	v_cndmask_b32_e32 v19, v19, v8, vcc
	v_cmp_eq_u32_e32 vcc, 7, v13
	v_cndmask_b32_e32 v19, v19, v9, vcc
	v_cmp_eq_u32_e32 vcc, 8, v13
	;; [unrolled: 2-line block ×4, first 2 shown]
	v_cndmask_b32_e32 v19, v19, v12, vcc
	v_add_u32_e32 v17, 4, v17
	s_waitcnt lgkmcnt(0)
	v_fmac_f32_e32 v16, v19, v18
	s_andn2_b64 exec, exec, s[16:17]
	s_cbranch_execnz .LBB74_213
; %bb.214:
	s_or_b64 exec, exec, s[16:17]
.LBB74_215:
	s_or_b64 exec, exec, s[14:15]
	v_mov_b32_e32 v10, 0
	ds_read_b32 v10, v10 offset:32
	s_waitcnt lgkmcnt(0)
	v_mul_f32_e32 v10, v16, v10
.LBB74_216:
	s_or_b64 exec, exec, s[12:13]
	v_cmp_gt_u32_e64 s[8:9], 9, v0
	ds_write_b32 v46, v11
	s_waitcnt lgkmcnt(0)
	; wave barrier
	s_and_saveexec_b64 s[12:13], s[8:9]
	s_cbranch_execz .LBB74_238
; %bb.217:
	s_and_b64 vcc, exec, s[2:3]
	s_cbranch_vccnz .LBB74_219
; %bb.218:
	v_cmp_eq_u32_e32 vcc, 1, v0
	v_cndmask_b32_e32 v13, v2, v3, vcc
	v_cmp_eq_u32_e32 vcc, 2, v0
	v_cndmask_b32_e32 v13, v13, v4, vcc
	;; [unrolled: 2-line block ×6, first 2 shown]
	v_cmp_eq_u32_e32 vcc, 7, v0
	ds_read_b32 v14, v46
	v_cndmask_b32_e32 v13, v13, v9, vcc
	v_cmp_eq_u32_e32 vcc, 8, v0
	v_cndmask_b32_e32 v13, v13, v10, vcc
	v_cmp_eq_u32_e32 vcc, 9, v0
	;; [unrolled: 2-line block ×3, first 2 shown]
	v_cndmask_b32_e32 v13, v13, v12, vcc
	s_waitcnt lgkmcnt(0)
	v_mul_f32_e32 v13, v13, v14
	s_cbranch_execz .LBB74_220
	s_branch .LBB74_221
.LBB74_219:
                                        ; implicit-def: $vgpr13
.LBB74_220:
	ds_read_b32 v13, v46
.LBB74_221:
	v_cmp_ne_u32_e32 vcc, 8, v0
	s_and_saveexec_b64 s[14:15], vcc
	s_cbranch_execz .LBB74_237
; %bb.222:
	v_cmp_eq_u32_e32 vcc, 1, v15
	v_cndmask_b32_e32 v14, v2, v3, vcc
	v_cmp_eq_u32_e32 vcc, 2, v15
	v_cndmask_b32_e32 v14, v14, v4, vcc
	v_cmp_eq_u32_e32 vcc, 3, v15
	v_cndmask_b32_e32 v14, v14, v5, vcc
	v_cmp_eq_u32_e32 vcc, 4, v15
	v_cndmask_b32_e32 v14, v14, v6, vcc
	v_cmp_eq_u32_e32 vcc, 5, v15
	v_cndmask_b32_e32 v14, v14, v7, vcc
	v_cmp_eq_u32_e32 vcc, 6, v15
	v_cndmask_b32_e32 v14, v14, v8, vcc
	v_cmp_eq_u32_e32 vcc, 7, v15
	ds_read_b32 v16, v46 offset:4
	v_cndmask_b32_e32 v14, v14, v9, vcc
	v_cmp_eq_u32_e32 vcc, 8, v15
	v_cndmask_b32_e32 v14, v14, v10, vcc
	v_cmp_eq_u32_e32 vcc, 9, v15
	v_cndmask_b32_e32 v14, v14, v11, vcc
	v_cmp_eq_u32_e32 vcc, 10, v15
	v_cndmask_b32_e32 v14, v14, v12, vcc
	s_waitcnt lgkmcnt(0)
	v_fmac_f32_e32 v13, v14, v16
	s_and_saveexec_b64 s[16:17], s[10:11]
	s_cbranch_execz .LBB74_236
; %bb.223:
	v_add_u32_e32 v14, 2, v0
	v_cmp_eq_u32_e32 vcc, 1, v14
	v_cndmask_b32_e32 v15, v2, v3, vcc
	v_cmp_eq_u32_e32 vcc, 2, v14
	v_cndmask_b32_e32 v15, v15, v4, vcc
	v_cmp_eq_u32_e32 vcc, 3, v14
	v_cndmask_b32_e32 v15, v15, v5, vcc
	v_cmp_eq_u32_e32 vcc, 4, v14
	v_cndmask_b32_e32 v15, v15, v6, vcc
	v_cmp_eq_u32_e32 vcc, 5, v14
	v_cndmask_b32_e32 v15, v15, v7, vcc
	v_cmp_eq_u32_e32 vcc, 6, v14
	v_cndmask_b32_e32 v15, v15, v8, vcc
	v_cmp_eq_u32_e32 vcc, 7, v14
	ds_read_b32 v16, v46 offset:8
	v_cndmask_b32_e32 v15, v15, v9, vcc
	v_cmp_eq_u32_e32 vcc, 8, v14
	v_cndmask_b32_e32 v15, v15, v10, vcc
	v_cmp_eq_u32_e32 vcc, 9, v14
	v_cndmask_b32_e32 v15, v15, v11, vcc
	v_cmp_eq_u32_e32 vcc, 10, v14
	v_cndmask_b32_e32 v14, v15, v12, vcc
	s_waitcnt lgkmcnt(0)
	v_fmac_f32_e32 v13, v14, v16
	v_cmp_ne_u32_e32 vcc, 6, v0
	s_and_saveexec_b64 s[10:11], vcc
	s_cbranch_execz .LBB74_235
; %bb.224:
	v_add_u32_e32 v14, 3, v0
	v_cmp_eq_u32_e32 vcc, 1, v14
	v_cndmask_b32_e32 v15, v2, v3, vcc
	v_cmp_eq_u32_e32 vcc, 2, v14
	v_cndmask_b32_e32 v15, v15, v4, vcc
	v_cmp_eq_u32_e32 vcc, 3, v14
	v_cndmask_b32_e32 v15, v15, v5, vcc
	v_cmp_eq_u32_e32 vcc, 4, v14
	v_cndmask_b32_e32 v15, v15, v6, vcc
	v_cmp_eq_u32_e32 vcc, 5, v14
	v_cndmask_b32_e32 v15, v15, v7, vcc
	v_cmp_eq_u32_e32 vcc, 6, v14
	v_cndmask_b32_e32 v15, v15, v8, vcc
	v_cmp_eq_u32_e32 vcc, 7, v14
	ds_read_b32 v16, v46 offset:12
	v_cndmask_b32_e32 v15, v15, v9, vcc
	v_cmp_eq_u32_e32 vcc, 8, v14
	v_cndmask_b32_e32 v15, v15, v10, vcc
	v_cmp_eq_u32_e32 vcc, 9, v14
	v_cndmask_b32_e32 v15, v15, v11, vcc
	v_cmp_eq_u32_e32 vcc, 10, v14
	v_cndmask_b32_e32 v14, v15, v12, vcc
	s_waitcnt lgkmcnt(0)
	v_fmac_f32_e32 v13, v14, v16
	s_and_saveexec_b64 s[18:19], s[6:7]
	s_cbranch_execz .LBB74_234
; %bb.225:
	v_add_u32_e32 v14, 4, v0
	v_cmp_eq_u32_e32 vcc, 1, v14
	v_cndmask_b32_e32 v15, v2, v3, vcc
	v_cmp_eq_u32_e32 vcc, 2, v14
	v_cndmask_b32_e32 v15, v15, v4, vcc
	v_cmp_eq_u32_e32 vcc, 3, v14
	v_cndmask_b32_e32 v15, v15, v5, vcc
	v_cmp_eq_u32_e32 vcc, 4, v14
	v_cndmask_b32_e32 v15, v15, v6, vcc
	v_cmp_eq_u32_e32 vcc, 5, v14
	v_cndmask_b32_e32 v15, v15, v7, vcc
	v_cmp_eq_u32_e32 vcc, 6, v14
	v_cndmask_b32_e32 v15, v15, v8, vcc
	v_cmp_eq_u32_e32 vcc, 7, v14
	ds_read_b32 v16, v46 offset:16
	v_cndmask_b32_e32 v15, v15, v9, vcc
	v_cmp_eq_u32_e32 vcc, 8, v14
	v_cndmask_b32_e32 v15, v15, v10, vcc
	v_cmp_eq_u32_e32 vcc, 9, v14
	v_cndmask_b32_e32 v15, v15, v11, vcc
	v_cmp_eq_u32_e32 vcc, 10, v14
	v_cndmask_b32_e32 v14, v15, v12, vcc
	s_waitcnt lgkmcnt(0)
	v_fmac_f32_e32 v13, v14, v16
	v_cmp_ne_u32_e32 vcc, 4, v0
	s_and_saveexec_b64 s[6:7], vcc
	s_cbranch_execz .LBB74_233
; %bb.226:
	v_add_u32_e32 v14, 5, v0
	;; [unrolled: 55-line block ×3, first 2 shown]
	v_cmp_eq_u32_e32 vcc, 1, v14
	v_cndmask_b32_e32 v15, v2, v3, vcc
	v_cmp_eq_u32_e32 vcc, 2, v14
	v_cndmask_b32_e32 v15, v15, v4, vcc
	;; [unrolled: 2-line block ×6, first 2 shown]
	v_cmp_eq_u32_e32 vcc, 7, v14
	ds_read_b32 v16, v46 offset:28
	v_cndmask_b32_e32 v15, v15, v9, vcc
	v_cmp_eq_u32_e32 vcc, 8, v14
	v_cndmask_b32_e32 v15, v15, v10, vcc
	v_cmp_eq_u32_e32 vcc, 9, v14
	;; [unrolled: 2-line block ×3, first 2 shown]
	v_cndmask_b32_e32 v11, v11, v12, vcc
	s_waitcnt lgkmcnt(0)
	v_fmac_f32_e32 v13, v11, v16
	s_and_saveexec_b64 s[22:23], s[0:1]
	s_cbranch_execz .LBB74_230
; %bb.229:
	ds_read_b32 v11, v46 offset:32
	s_waitcnt lgkmcnt(0)
	v_fmac_f32_e32 v13, v10, v11
.LBB74_230:
	s_or_b64 exec, exec, s[22:23]
.LBB74_231:
	s_or_b64 exec, exec, s[4:5]
.LBB74_232:
	s_or_b64 exec, exec, s[20:21]
.LBB74_233:
	s_or_b64 exec, exec, s[6:7]
.LBB74_234:
	s_or_b64 exec, exec, s[18:19]
.LBB74_235:
	s_or_b64 exec, exec, s[10:11]
.LBB74_236:
	s_or_b64 exec, exec, s[16:17]
.LBB74_237:
	s_or_b64 exec, exec, s[14:15]
	v_mov_b32_e32 v11, 0
	ds_read_b32 v11, v11 offset:36
	s_waitcnt lgkmcnt(0)
	v_mul_f32_e32 v11, v13, v11
.LBB74_238:
	s_or_b64 exec, exec, s[12:13]
	v_cmp_ne_u32_e32 vcc, 10, v0
	ds_write_b32 v46, v12
	s_waitcnt lgkmcnt(0)
	; wave barrier
	s_and_saveexec_b64 s[4:5], vcc
	s_cbranch_execz .LBB74_248
; %bb.239:
	s_and_b64 vcc, exec, s[2:3]
	s_cbranch_vccnz .LBB74_241
; %bb.240:
	v_cmp_eq_u32_e32 vcc, 1, v0
	v_cndmask_b32_e32 v13, v2, v3, vcc
	v_cmp_eq_u32_e32 vcc, 2, v0
	v_cndmask_b32_e32 v13, v13, v4, vcc
	;; [unrolled: 2-line block ×6, first 2 shown]
	v_cmp_eq_u32_e32 vcc, 7, v0
	ds_read_b32 v14, v46
	v_cndmask_b32_e32 v13, v13, v9, vcc
	v_cmp_eq_u32_e32 vcc, 8, v0
	v_cndmask_b32_e32 v13, v13, v10, vcc
	v_cmp_eq_u32_e32 vcc, 9, v0
	;; [unrolled: 2-line block ×3, first 2 shown]
	v_cndmask_b32_e32 v13, v13, v12, vcc
	s_waitcnt lgkmcnt(0)
	v_mul_f32_e32 v13, v13, v14
	s_cbranch_execz .LBB74_242
	s_branch .LBB74_243
.LBB74_241:
                                        ; implicit-def: $vgpr13
.LBB74_242:
	ds_read_b32 v13, v46
.LBB74_243:
	s_and_saveexec_b64 s[2:3], s[8:9]
	s_cbranch_execz .LBB74_247
; %bb.244:
	v_lshl_add_u32 v14, v0, 2, 52
	s_mov_b64 s[6:7], 0
.LBB74_245:                             ; =>This Inner Loop Header: Depth=1
	v_add_co_u32_e32 v0, vcc, 1, v0
	v_addc_co_u32_e32 v1, vcc, 0, v1, vcc
	v_cmp_eq_u32_e32 vcc, 1, v0
	v_cndmask_b32_e32 v16, v2, v3, vcc
	v_cmp_lt_u32_e32 vcc, 8, v0
	v_cmp_eq_u32_e64 s[0:1], 2, v0
	v_cndmask_b32_e64 v16, v16, v4, s[0:1]
	s_or_b64 s[6:7], vcc, s[6:7]
	v_cmp_eq_u32_e32 vcc, 3, v0
	v_cndmask_b32_e32 v16, v16, v5, vcc
	v_cmp_eq_u32_e32 vcc, 4, v0
	v_cndmask_b32_e32 v16, v16, v6, vcc
	;; [unrolled: 2-line block ×3, first 2 shown]
	v_cmp_eq_u32_e32 vcc, 6, v0
	ds_read_b32 v15, v14
	v_cndmask_b32_e32 v16, v16, v8, vcc
	v_cmp_eq_u32_e32 vcc, 7, v0
	v_cndmask_b32_e32 v16, v16, v9, vcc
	v_cmp_eq_u32_e32 vcc, 8, v0
	v_cndmask_b32_e32 v16, v16, v10, vcc
	v_cmp_eq_u32_e32 vcc, 9, v0
	v_cndmask_b32_e32 v16, v16, v11, vcc
	v_cmp_eq_u32_e32 vcc, 10, v0
	v_cndmask_b32_e32 v16, v16, v12, vcc
	v_add_u32_e32 v14, 4, v14
	s_waitcnt lgkmcnt(0)
	v_fmac_f32_e32 v13, v16, v15
	s_andn2_b64 exec, exec, s[6:7]
	s_cbranch_execnz .LBB74_245
; %bb.246:
	s_or_b64 exec, exec, s[6:7]
.LBB74_247:
	s_or_b64 exec, exec, s[2:3]
	v_mov_b32_e32 v0, 0
	ds_read_b32 v0, v0 offset:40
	s_waitcnt lgkmcnt(0)
	v_mul_f32_e32 v12, v13, v0
.LBB74_248:
	s_or_b64 exec, exec, s[4:5]
	v_mov_b32_e32 v23, v12
	v_mov_b32_e32 v22, v11
	v_mov_b32_e32 v21, v10
	v_mov_b32_e32 v20, v9
	v_mov_b32_e32 v19, v8
	v_mov_b32_e32 v18, v7
	v_mov_b32_e32 v17, v6
	v_mov_b32_e32 v16, v5
	v_mov_b32_e32 v15, v4
	v_mov_b32_e32 v14, v3
	v_mov_b32_e32 v13, v2
.LBB74_249:
	flat_store_dword v[42:43], v13
	flat_store_dword v[44:45], v14
	;; [unrolled: 1-line block ×11, first 2 shown]
.LBB74_250:
	s_endpgm
	.section	.rodata,"a",@progbits
	.p2align	6, 0x0
	.amdhsa_kernel _ZN9rocsolver6v33100L18trti2_kernel_smallILi11EfPKPfEEv13rocblas_fill_17rocblas_diagonal_T1_iil
		.amdhsa_group_segment_fixed_size 92
		.amdhsa_private_segment_fixed_size 0
		.amdhsa_kernarg_size 32
		.amdhsa_user_sgpr_count 6
		.amdhsa_user_sgpr_private_segment_buffer 1
		.amdhsa_user_sgpr_dispatch_ptr 0
		.amdhsa_user_sgpr_queue_ptr 0
		.amdhsa_user_sgpr_kernarg_segment_ptr 1
		.amdhsa_user_sgpr_dispatch_id 0
		.amdhsa_user_sgpr_flat_scratch_init 0
		.amdhsa_user_sgpr_private_segment_size 0
		.amdhsa_uses_dynamic_stack 0
		.amdhsa_system_sgpr_private_segment_wavefront_offset 0
		.amdhsa_system_sgpr_workgroup_id_x 1
		.amdhsa_system_sgpr_workgroup_id_y 0
		.amdhsa_system_sgpr_workgroup_id_z 0
		.amdhsa_system_sgpr_workgroup_info 0
		.amdhsa_system_vgpr_workitem_id 0
		.amdhsa_next_free_vgpr 64
		.amdhsa_next_free_sgpr 28
		.amdhsa_reserve_vcc 1
		.amdhsa_reserve_flat_scratch 0
		.amdhsa_float_round_mode_32 0
		.amdhsa_float_round_mode_16_64 0
		.amdhsa_float_denorm_mode_32 3
		.amdhsa_float_denorm_mode_16_64 3
		.amdhsa_dx10_clamp 1
		.amdhsa_ieee_mode 1
		.amdhsa_fp16_overflow 0
		.amdhsa_exception_fp_ieee_invalid_op 0
		.amdhsa_exception_fp_denorm_src 0
		.amdhsa_exception_fp_ieee_div_zero 0
		.amdhsa_exception_fp_ieee_overflow 0
		.amdhsa_exception_fp_ieee_underflow 0
		.amdhsa_exception_fp_ieee_inexact 0
		.amdhsa_exception_int_div_zero 0
	.end_amdhsa_kernel
	.section	.text._ZN9rocsolver6v33100L18trti2_kernel_smallILi11EfPKPfEEv13rocblas_fill_17rocblas_diagonal_T1_iil,"axG",@progbits,_ZN9rocsolver6v33100L18trti2_kernel_smallILi11EfPKPfEEv13rocblas_fill_17rocblas_diagonal_T1_iil,comdat
.Lfunc_end74:
	.size	_ZN9rocsolver6v33100L18trti2_kernel_smallILi11EfPKPfEEv13rocblas_fill_17rocblas_diagonal_T1_iil, .Lfunc_end74-_ZN9rocsolver6v33100L18trti2_kernel_smallILi11EfPKPfEEv13rocblas_fill_17rocblas_diagonal_T1_iil
                                        ; -- End function
	.set _ZN9rocsolver6v33100L18trti2_kernel_smallILi11EfPKPfEEv13rocblas_fill_17rocblas_diagonal_T1_iil.num_vgpr, 64
	.set _ZN9rocsolver6v33100L18trti2_kernel_smallILi11EfPKPfEEv13rocblas_fill_17rocblas_diagonal_T1_iil.num_agpr, 0
	.set _ZN9rocsolver6v33100L18trti2_kernel_smallILi11EfPKPfEEv13rocblas_fill_17rocblas_diagonal_T1_iil.numbered_sgpr, 28
	.set _ZN9rocsolver6v33100L18trti2_kernel_smallILi11EfPKPfEEv13rocblas_fill_17rocblas_diagonal_T1_iil.num_named_barrier, 0
	.set _ZN9rocsolver6v33100L18trti2_kernel_smallILi11EfPKPfEEv13rocblas_fill_17rocblas_diagonal_T1_iil.private_seg_size, 0
	.set _ZN9rocsolver6v33100L18trti2_kernel_smallILi11EfPKPfEEv13rocblas_fill_17rocblas_diagonal_T1_iil.uses_vcc, 1
	.set _ZN9rocsolver6v33100L18trti2_kernel_smallILi11EfPKPfEEv13rocblas_fill_17rocblas_diagonal_T1_iil.uses_flat_scratch, 0
	.set _ZN9rocsolver6v33100L18trti2_kernel_smallILi11EfPKPfEEv13rocblas_fill_17rocblas_diagonal_T1_iil.has_dyn_sized_stack, 0
	.set _ZN9rocsolver6v33100L18trti2_kernel_smallILi11EfPKPfEEv13rocblas_fill_17rocblas_diagonal_T1_iil.has_recursion, 0
	.set _ZN9rocsolver6v33100L18trti2_kernel_smallILi11EfPKPfEEv13rocblas_fill_17rocblas_diagonal_T1_iil.has_indirect_call, 0
	.section	.AMDGPU.csdata,"",@progbits
; Kernel info:
; codeLenInByte = 10392
; TotalNumSgprs: 32
; NumVgprs: 64
; ScratchSize: 0
; MemoryBound: 0
; FloatMode: 240
; IeeeMode: 1
; LDSByteSize: 92 bytes/workgroup (compile time only)
; SGPRBlocks: 3
; VGPRBlocks: 15
; NumSGPRsForWavesPerEU: 32
; NumVGPRsForWavesPerEU: 64
; Occupancy: 4
; WaveLimiterHint : 1
; COMPUTE_PGM_RSRC2:SCRATCH_EN: 0
; COMPUTE_PGM_RSRC2:USER_SGPR: 6
; COMPUTE_PGM_RSRC2:TRAP_HANDLER: 0
; COMPUTE_PGM_RSRC2:TGID_X_EN: 1
; COMPUTE_PGM_RSRC2:TGID_Y_EN: 0
; COMPUTE_PGM_RSRC2:TGID_Z_EN: 0
; COMPUTE_PGM_RSRC2:TIDIG_COMP_CNT: 0
	.section	.text._ZN9rocsolver6v33100L18trti2_kernel_smallILi12EfPKPfEEv13rocblas_fill_17rocblas_diagonal_T1_iil,"axG",@progbits,_ZN9rocsolver6v33100L18trti2_kernel_smallILi12EfPKPfEEv13rocblas_fill_17rocblas_diagonal_T1_iil,comdat
	.globl	_ZN9rocsolver6v33100L18trti2_kernel_smallILi12EfPKPfEEv13rocblas_fill_17rocblas_diagonal_T1_iil ; -- Begin function _ZN9rocsolver6v33100L18trti2_kernel_smallILi12EfPKPfEEv13rocblas_fill_17rocblas_diagonal_T1_iil
	.p2align	8
	.type	_ZN9rocsolver6v33100L18trti2_kernel_smallILi12EfPKPfEEv13rocblas_fill_17rocblas_diagonal_T1_iil,@function
_ZN9rocsolver6v33100L18trti2_kernel_smallILi12EfPKPfEEv13rocblas_fill_17rocblas_diagonal_T1_iil: ; @_ZN9rocsolver6v33100L18trti2_kernel_smallILi12EfPKPfEEv13rocblas_fill_17rocblas_diagonal_T1_iil
; %bb.0:
	v_cmp_gt_u32_e32 vcc, 12, v0
	s_and_saveexec_b64 s[0:1], vcc
	s_cbranch_execz .LBB75_276
; %bb.1:
	s_load_dwordx2 s[0:1], s[4:5], 0x10
	s_load_dwordx4 s[24:27], s[4:5], 0x0
	s_ashr_i32 s7, s6, 31
	s_lshl_b64 s[2:3], s[6:7], 3
	v_lshlrev_b32_e32 v14, 2, v0
	s_waitcnt lgkmcnt(0)
	s_ashr_i32 s5, s0, 31
	s_add_u32 s2, s26, s2
	s_addc_u32 s3, s27, s3
	s_load_dwordx2 s[2:3], s[2:3], 0x0
	s_mov_b32 s4, s0
	s_lshl_b64 s[4:5], s[4:5], 2
	v_mov_b32_e32 v15, -1.0
	s_waitcnt lgkmcnt(0)
	s_add_u32 s0, s2, s4
	s_addc_u32 s2, s3, s5
	s_add_i32 s3, s1, s1
	v_add_u32_e32 v1, s3, v0
	v_ashrrev_i32_e32 v2, 31, v1
	v_lshlrev_b64 v[2:3], 2, v[1:2]
	v_add_u32_e32 v1, s1, v1
	v_mov_b32_e32 v4, s2
	v_add_co_u32_e32 v26, vcc, s0, v2
	v_ashrrev_i32_e32 v2, 31, v1
	v_addc_co_u32_e32 v27, vcc, v4, v3, vcc
	v_lshlrev_b64 v[2:3], 2, v[1:2]
	v_add_u32_e32 v1, s1, v1
	v_add_co_u32_e32 v28, vcc, s0, v2
	v_ashrrev_i32_e32 v2, 31, v1
	v_addc_co_u32_e32 v29, vcc, v4, v3, vcc
	v_lshlrev_b64 v[2:3], 2, v[1:2]
	v_add_u32_e32 v1, s1, v1
	;; [unrolled: 5-line block ×8, first 2 shown]
	v_add_co_u32_e32 v42, vcc, s0, v2
	v_ashrrev_i32_e32 v2, 31, v1
	v_lshlrev_b64 v[1:2], 2, v[1:2]
	v_addc_co_u32_e32 v43, vcc, v4, v3, vcc
	v_mov_b32_e32 v3, s2
	v_add_co_u32_e32 v44, vcc, s0, v1
	v_addc_co_u32_e32 v45, vcc, v3, v2, vcc
	v_mov_b32_e32 v1, s2
	v_add_co_u32_e32 v46, vcc, s0, v14
	s_ashr_i32 s3, s1, 31
	s_mov_b32 s2, s1
	v_addc_co_u32_e32 v47, vcc, 0, v1, vcc
	s_lshl_b64 s[0:1], s[2:3], 2
	v_mov_b32_e32 v1, s1
	v_add_co_u32_e32 v48, vcc, s0, v46
	v_addc_co_u32_e32 v49, vcc, v47, v1, vcc
	flat_load_dword v2, v[46:47]
	flat_load_dword v3, v[48:49]
	;; [unrolled: 1-line block ×12, first 2 shown]
	s_cmpk_lg_i32 s25, 0x84
	v_mov_b32_e32 v1, 0
	s_cselect_b64 s[26:27], -1, 0
	s_cmpk_eq_i32 s25, 0x84
	v_cmp_eq_u32_e64 s[0:1], 0, v0
	s_cbranch_scc1 .LBB75_3
; %bb.2:
	v_cmp_eq_u32_e64 s[2:3], 1, v0
	s_waitcnt vmcnt(0) lgkmcnt(0)
	v_cndmask_b32_e64 v15, v2, v3, s[2:3]
	v_cmp_eq_u32_e64 s[4:5], 2, v0
	v_cndmask_b32_e64 v15, v15, v4, s[4:5]
	v_cmp_eq_u32_e64 s[6:7], 3, v0
	;; [unrolled: 2-line block ×10, first 2 shown]
	v_cndmask_b32_e64 v15, v15, v13, s[22:23]
	v_div_scale_f32 v16, s[28:29], v15, v15, 1.0
	v_div_scale_f32 v17, vcc, 1.0, v15, 1.0
	v_rcp_f32_e32 v18, v16
	v_fma_f32 v19, -v16, v18, 1.0
	v_fmac_f32_e32 v18, v19, v18
	v_mul_f32_e32 v19, v17, v18
	v_fma_f32 v20, -v16, v19, v17
	v_fmac_f32_e32 v19, v20, v18
	v_fma_f32 v16, -v16, v19, v17
	v_div_fmas_f32 v16, v16, v18, v19
	v_div_fixup_f32 v15, v16, v15, 1.0
	v_cndmask_b32_e64 v13, v13, v15, s[22:23]
	v_cndmask_b32_e64 v12, v12, v15, s[20:21]
	;; [unrolled: 1-line block ×12, first 2 shown]
	v_xor_b32_e32 v15, 0x80000000, v15
.LBB75_3:
	s_cmpk_eq_i32 s24, 0x79
	v_add_u32_e32 v50, 48, v14
	ds_write_b32 v14, v15
	s_cbranch_scc1 .LBB75_7
; %bb.4:
	s_waitcnt vmcnt(0) lgkmcnt(0)
	v_mov_b32_e32 v25, v13
	v_mov_b32_e32 v24, v12
	;; [unrolled: 1-line block ×12, first 2 shown]
	v_cmp_eq_u32_e64 s[0:1], 11, v0
	ds_write_b32 v50, v12
	s_waitcnt lgkmcnt(0)
	; wave barrier
	s_and_saveexec_b64 s[2:3], s[0:1]
	s_cbranch_execz .LBB75_11
; %bb.5:
	s_and_b64 vcc, exec, s[26:27]
	s_cbranch_vccz .LBB75_8
; %bb.6:
	v_cmp_eq_u32_e32 vcc, 1, v0
	v_cndmask_b32_e32 v14, v2, v3, vcc
	v_cmp_eq_u32_e32 vcc, 2, v0
	v_cndmask_b32_e32 v14, v14, v4, vcc
	;; [unrolled: 2-line block ×7, first 2 shown]
	v_cmp_eq_u32_e32 vcc, 8, v0
	ds_read_b32 v15, v50
	v_cndmask_b32_e32 v14, v14, v10, vcc
	v_cmp_eq_u32_e32 vcc, 9, v0
	v_cndmask_b32_e32 v14, v14, v11, vcc
	v_cmp_eq_u32_e32 vcc, 10, v0
	;; [unrolled: 2-line block ×3, first 2 shown]
	v_cndmask_b32_e32 v14, v14, v13, vcc
	s_waitcnt lgkmcnt(0)
	v_mul_f32_e32 v14, v14, v15
	s_cbranch_execz .LBB75_9
	s_branch .LBB75_10
.LBB75_7:
                                        ; implicit-def: $vgpr14_vgpr15_vgpr16_vgpr17_vgpr18_vgpr19_vgpr20_vgpr21_vgpr22_vgpr23_vgpr24_vgpr25
	s_cbranch_execnz .LBB75_162
	s_branch .LBB75_275
.LBB75_8:
                                        ; implicit-def: $vgpr14
.LBB75_9:
	ds_read_b32 v14, v50
.LBB75_10:
	v_mov_b32_e32 v15, 0
	ds_read_b32 v15, v15 offset:40
	s_waitcnt lgkmcnt(0)
	v_mul_f32_e32 v51, v14, v15
	v_mov_b32_e32 v25, v13
	v_mov_b32_e32 v24, v12
	;; [unrolled: 1-line block ×13, first 2 shown]
.LBB75_11:
	s_or_b64 exec, exec, s[2:3]
	v_cmp_lt_u32_e64 s[2:3], 9, v0
	ds_write_b32 v50, v23
	s_waitcnt lgkmcnt(0)
	; wave barrier
	s_and_saveexec_b64 s[4:5], s[2:3]
	s_cbranch_execz .LBB75_17
; %bb.12:
	s_andn2_b64 vcc, exec, s[26:27]
	s_cbranch_vccnz .LBB75_14
; %bb.13:
	v_cmp_eq_u32_e32 vcc, 1, v0
	v_cndmask_b32_e32 v51, v14, v15, vcc
	v_cmp_eq_u32_e32 vcc, 2, v0
	v_cndmask_b32_e32 v51, v51, v16, vcc
	;; [unrolled: 2-line block ×9, first 2 shown]
	ds_read_b32 v51, v50
	v_cmp_eq_u32_e32 vcc, 10, v0
	v_cndmask_b32_e32 v23, v23, v24, vcc
	v_cmp_eq_u32_e32 vcc, 11, v0
	v_cndmask_b32_e32 v23, v23, v25, vcc
	s_waitcnt lgkmcnt(0)
	v_mul_f32_e32 v23, v23, v51
	s_cbranch_execz .LBB75_15
	s_branch .LBB75_16
.LBB75_14:
                                        ; implicit-def: $vgpr23
.LBB75_15:
	ds_read_b32 v23, v50
.LBB75_16:
	v_mov_b32_e32 v51, 0
	ds_read2_b32 v[51:52], v51 offset0:9 offset1:22
	s_waitcnt lgkmcnt(0)
	v_fma_f32 v52, v24, v52, v23
	v_cndmask_b32_e64 v23, v23, v52, s[0:1]
	v_mul_f32_e32 v23, v23, v51
.LBB75_17:
	s_or_b64 exec, exec, s[4:5]
	v_cmp_lt_u32_e64 s[0:1], 8, v0
	ds_write_b32 v50, v22
	s_waitcnt lgkmcnt(0)
	; wave barrier
	s_and_saveexec_b64 s[4:5], s[0:1]
	s_cbranch_execz .LBB75_33
; %bb.18:
	s_andn2_b64 vcc, exec, s[26:27]
	s_cbranch_vccnz .LBB75_20
; %bb.19:
	v_cmp_eq_u32_e32 vcc, 1, v0
	v_cndmask_b32_e32 v51, v14, v15, vcc
	v_cmp_eq_u32_e32 vcc, 2, v0
	v_cndmask_b32_e32 v51, v51, v16, vcc
	;; [unrolled: 2-line block ×7, first 2 shown]
	v_cmp_eq_u32_e32 vcc, 8, v0
	ds_read_b32 v52, v50
	v_cndmask_b32_e32 v51, v51, v22, vcc
	v_cmp_eq_u32_e32 vcc, 9, v0
	v_cndmask_b32_e32 v51, v51, v23, vcc
	v_cmp_eq_u32_e32 vcc, 10, v0
	;; [unrolled: 2-line block ×3, first 2 shown]
	v_cndmask_b32_e32 v51, v51, v25, vcc
	s_waitcnt lgkmcnt(0)
	v_mul_f32_e32 v51, v51, v52
	s_cbranch_execz .LBB75_21
	s_branch .LBB75_22
.LBB75_20:
                                        ; implicit-def: $vgpr51
.LBB75_21:
	ds_read_b32 v51, v50
.LBB75_22:
	s_and_saveexec_b64 s[6:7], s[2:3]
	s_cbranch_execz .LBB75_32
; %bb.23:
	v_add_u32_e32 v53, -10, v0
	v_add_u32_e32 v52, -9, v0
	v_cmp_lt_u32_e32 vcc, 6, v53
	v_mov_b32_e32 v53, 9
	s_and_saveexec_b64 s[2:3], vcc
	s_cbranch_execz .LBB75_27
; %bb.24:
	v_and_b32_e32 v53, -8, v52
	v_sub_u32_e32 v54, 0, v53
	s_mov_b64 s[8:9], 16
	s_movk_i32 s12, 0x54
	s_mov_b64 s[10:11], 0
.LBB75_25:                              ; =>This Inner Loop Header: Depth=1
	s_add_i32 s13, s8, -7
	v_mov_b32_e32 v57, s12
	s_set_gpr_idx_on s13, gpr_idx(SRC0)
	v_mov_b32_e32 v53, v14
	s_set_gpr_idx_off
	ds_read2_b32 v[55:56], v57 offset1:1
	s_add_i32 s13, s8, -6
	s_waitcnt lgkmcnt(0)
	v_fmac_f32_e32 v51, v53, v55
	s_set_gpr_idx_on s13, gpr_idx(SRC0)
	v_mov_b32_e32 v53, v14
	s_set_gpr_idx_off
	s_add_i32 s13, s8, -5
	v_fmac_f32_e32 v51, v53, v56
	s_set_gpr_idx_on s13, gpr_idx(SRC0)
	v_mov_b32_e32 v53, v14
	s_set_gpr_idx_off
	ds_read2_b32 v[55:56], v57 offset0:2 offset1:3
	s_add_i32 s13, s8, -4
	s_waitcnt lgkmcnt(0)
	v_fmac_f32_e32 v51, v53, v55
	s_set_gpr_idx_on s13, gpr_idx(SRC0)
	v_mov_b32_e32 v53, v14
	s_set_gpr_idx_off
	s_add_i32 s13, s8, -3
	v_fmac_f32_e32 v51, v53, v56
	s_set_gpr_idx_on s13, gpr_idx(SRC0)
	v_mov_b32_e32 v53, v14
	s_set_gpr_idx_off
	ds_read2_b32 v[55:56], v57 offset0:4 offset1:5
	;; [unrolled: 12-line block ×3, first 2 shown]
	s_waitcnt lgkmcnt(0)
	v_fmac_f32_e32 v51, v53, v55
	s_set_gpr_idx_on s8, gpr_idx(SRC0)
	v_mov_b32_e32 v53, v14
	s_set_gpr_idx_off
	s_add_u32 s8, s8, 8
	v_fmac_f32_e32 v51, v53, v56
	v_add_u32_e32 v53, s8, v54
	s_addc_u32 s9, s9, 0
	s_add_i32 s12, s12, 32
	v_cmp_eq_u32_e32 vcc, 16, v53
	s_add_i32 s13, s8, -7
	s_or_b64 s[10:11], vcc, s[10:11]
	v_mov_b32_e32 v53, s13
	s_andn2_b64 exec, exec, s[10:11]
	s_cbranch_execnz .LBB75_25
; %bb.26:
	s_or_b64 exec, exec, s[10:11]
.LBB75_27:
	s_or_b64 exec, exec, s[2:3]
	v_and_b32_e32 v52, 7, v52
	v_cmp_ne_u32_e32 vcc, 0, v52
	s_and_saveexec_b64 s[8:9], vcc
	s_cbranch_execz .LBB75_31
; %bb.28:
	v_lshl_add_u32 v54, v53, 2, 48
	v_mov_b32_e32 v55, 0
	s_mov_b64 s[10:11], 0
.LBB75_29:                              ; =>This Inner Loop Header: Depth=1
	v_cmp_eq_u32_e32 vcc, 1, v53
	v_cndmask_b32_e32 v56, v14, v15, vcc
	v_add_u32_e32 v52, -1, v52
	v_cmp_eq_u32_e32 vcc, 2, v53
	v_cndmask_b32_e32 v56, v56, v16, vcc
	v_cmp_eq_u32_e32 vcc, 0, v52
	v_cmp_eq_u32_e64 s[2:3], 3, v53
	v_cndmask_b32_e64 v56, v56, v17, s[2:3]
	s_or_b64 s[10:11], vcc, s[10:11]
	v_cmp_eq_u32_e32 vcc, 4, v53
	v_cndmask_b32_e32 v56, v56, v18, vcc
	v_cmp_eq_u32_e32 vcc, 5, v53
	v_cndmask_b32_e32 v56, v56, v19, vcc
	;; [unrolled: 2-line block ×3, first 2 shown]
	v_cmp_eq_u32_e32 vcc, 7, v53
	ds_read_b32 v57, v54
	v_cndmask_b32_e32 v56, v56, v21, vcc
	v_cmp_eq_u32_e32 vcc, 8, v53
	v_cndmask_b32_e32 v56, v56, v22, vcc
	v_cmp_eq_u32_e32 vcc, 9, v53
	;; [unrolled: 2-line block ×4, first 2 shown]
	v_add_co_u32_e64 v53, s[2:3], 1, v53
	v_cndmask_b32_e32 v56, v56, v25, vcc
	v_add_u32_e32 v54, 4, v54
	v_addc_co_u32_e64 v55, s[2:3], 0, v55, s[2:3]
	s_waitcnt lgkmcnt(0)
	v_fmac_f32_e32 v51, v56, v57
	s_andn2_b64 exec, exec, s[10:11]
	s_cbranch_execnz .LBB75_29
; %bb.30:
	s_or_b64 exec, exec, s[10:11]
.LBB75_31:
	s_or_b64 exec, exec, s[8:9]
.LBB75_32:
	s_or_b64 exec, exec, s[6:7]
	v_mov_b32_e32 v22, 0
	ds_read_b32 v22, v22 offset:32
	s_waitcnt lgkmcnt(0)
	v_mul_f32_e32 v22, v51, v22
.LBB75_33:
	s_or_b64 exec, exec, s[4:5]
	v_cmp_lt_u32_e64 s[2:3], 7, v0
	ds_write_b32 v50, v21
	s_waitcnt lgkmcnt(0)
	; wave barrier
	s_and_saveexec_b64 s[4:5], s[2:3]
	s_cbranch_execz .LBB75_49
; %bb.34:
	s_andn2_b64 vcc, exec, s[26:27]
	s_cbranch_vccnz .LBB75_36
; %bb.35:
	v_cmp_eq_u32_e32 vcc, 1, v0
	v_cndmask_b32_e32 v51, v14, v15, vcc
	v_cmp_eq_u32_e32 vcc, 2, v0
	v_cndmask_b32_e32 v51, v51, v16, vcc
	;; [unrolled: 2-line block ×7, first 2 shown]
	v_cmp_eq_u32_e32 vcc, 8, v0
	ds_read_b32 v52, v50
	v_cndmask_b32_e32 v51, v51, v22, vcc
	v_cmp_eq_u32_e32 vcc, 9, v0
	v_cndmask_b32_e32 v51, v51, v23, vcc
	v_cmp_eq_u32_e32 vcc, 10, v0
	;; [unrolled: 2-line block ×3, first 2 shown]
	v_cndmask_b32_e32 v51, v51, v25, vcc
	s_waitcnt lgkmcnt(0)
	v_mul_f32_e32 v51, v51, v52
	s_cbranch_execz .LBB75_37
	s_branch .LBB75_38
.LBB75_36:
                                        ; implicit-def: $vgpr51
.LBB75_37:
	ds_read_b32 v51, v50
.LBB75_38:
	s_and_saveexec_b64 s[6:7], s[0:1]
	s_cbranch_execz .LBB75_48
; %bb.39:
	v_add_u32_e32 v52, -9, v0
	v_cmp_lt_u32_e32 vcc, 6, v52
	v_mov_b32_e32 v52, 8
	s_and_saveexec_b64 s[0:1], vcc
	s_cbranch_execz .LBB75_43
; %bb.40:
	v_and_b32_e32 v52, 8, v0
	v_sub_u32_e32 v53, 0, v52
	s_mov_b64 s[8:9], 15
	s_movk_i32 s12, 0x50
	s_mov_b64 s[10:11], 0
.LBB75_41:                              ; =>This Inner Loop Header: Depth=1
	s_add_i32 s13, s8, -7
	v_mov_b32_e32 v58, s12
	s_set_gpr_idx_on s13, gpr_idx(SRC0)
	v_mov_b32_e32 v52, v14
	s_set_gpr_idx_off
	ds_read_b128 v[54:57], v58
	ds_read_b128 v[58:61], v58 offset:16
	s_add_i32 s13, s8, -6
	s_waitcnt lgkmcnt(1)
	v_fmac_f32_e32 v51, v52, v54
	s_set_gpr_idx_on s13, gpr_idx(SRC0)
	v_mov_b32_e32 v52, v14
	s_set_gpr_idx_off
	s_add_i32 s13, s8, -5
	v_fmac_f32_e32 v51, v52, v55
	s_set_gpr_idx_on s13, gpr_idx(SRC0)
	v_mov_b32_e32 v52, v14
	s_set_gpr_idx_off
	s_add_i32 s13, s8, -4
	;; [unrolled: 5-line block ×4, first 2 shown]
	s_waitcnt lgkmcnt(0)
	v_fmac_f32_e32 v51, v52, v58
	s_set_gpr_idx_on s13, gpr_idx(SRC0)
	v_mov_b32_e32 v52, v14
	s_set_gpr_idx_off
	s_add_i32 s13, s8, -1
	v_fmac_f32_e32 v51, v52, v59
	s_set_gpr_idx_on s13, gpr_idx(SRC0)
	v_mov_b32_e32 v52, v14
	s_set_gpr_idx_off
	v_fmac_f32_e32 v51, v52, v60
	s_set_gpr_idx_on s8, gpr_idx(SRC0)
	v_mov_b32_e32 v52, v14
	s_set_gpr_idx_off
	s_add_u32 s8, s8, 8
	v_fmac_f32_e32 v51, v52, v61
	v_add_u32_e32 v52, s8, v53
	s_addc_u32 s9, s9, 0
	s_add_i32 s12, s12, 32
	v_cmp_eq_u32_e32 vcc, 7, v52
	s_add_i32 s13, s8, -7
	s_or_b64 s[10:11], vcc, s[10:11]
	v_mov_b32_e32 v52, s13
	s_andn2_b64 exec, exec, s[10:11]
	s_cbranch_execnz .LBB75_41
; %bb.42:
	s_or_b64 exec, exec, s[10:11]
.LBB75_43:
	s_or_b64 exec, exec, s[0:1]
	v_and_b32_e32 v53, 7, v0
	v_cmp_ne_u32_e32 vcc, 0, v53
	s_and_saveexec_b64 s[8:9], vcc
	s_cbranch_execz .LBB75_47
; %bb.44:
	v_lshl_add_u32 v54, v52, 2, 48
	v_mov_b32_e32 v55, 0
	s_mov_b64 s[10:11], 0
.LBB75_45:                              ; =>This Inner Loop Header: Depth=1
	v_cmp_eq_u32_e32 vcc, 1, v52
	v_cndmask_b32_e32 v56, v14, v15, vcc
	v_add_u32_e32 v53, -1, v53
	v_cmp_eq_u32_e32 vcc, 2, v52
	v_cndmask_b32_e32 v56, v56, v16, vcc
	v_cmp_eq_u32_e32 vcc, 0, v53
	v_cmp_eq_u32_e64 s[0:1], 3, v52
	v_cndmask_b32_e64 v56, v56, v17, s[0:1]
	s_or_b64 s[10:11], vcc, s[10:11]
	v_cmp_eq_u32_e32 vcc, 4, v52
	v_cndmask_b32_e32 v56, v56, v18, vcc
	v_cmp_eq_u32_e32 vcc, 5, v52
	v_cndmask_b32_e32 v56, v56, v19, vcc
	v_cmp_eq_u32_e32 vcc, 6, v52
	v_cndmask_b32_e32 v56, v56, v20, vcc
	v_cmp_eq_u32_e32 vcc, 7, v52
	ds_read_b32 v57, v54
	v_cndmask_b32_e32 v56, v56, v21, vcc
	v_cmp_eq_u32_e32 vcc, 8, v52
	v_cndmask_b32_e32 v56, v56, v22, vcc
	v_cmp_eq_u32_e32 vcc, 9, v52
	;; [unrolled: 2-line block ×4, first 2 shown]
	v_add_co_u32_e64 v52, s[0:1], 1, v52
	v_cndmask_b32_e32 v56, v56, v25, vcc
	v_add_u32_e32 v54, 4, v54
	v_addc_co_u32_e64 v55, s[0:1], 0, v55, s[0:1]
	s_waitcnt lgkmcnt(0)
	v_fmac_f32_e32 v51, v56, v57
	s_andn2_b64 exec, exec, s[10:11]
	s_cbranch_execnz .LBB75_45
; %bb.46:
	s_or_b64 exec, exec, s[10:11]
.LBB75_47:
	s_or_b64 exec, exec, s[8:9]
.LBB75_48:
	s_or_b64 exec, exec, s[6:7]
	v_mov_b32_e32 v21, 0
	ds_read_b32 v21, v21 offset:28
	s_waitcnt lgkmcnt(0)
	v_mul_f32_e32 v21, v51, v21
.LBB75_49:
	s_or_b64 exec, exec, s[4:5]
	v_cmp_lt_u32_e64 s[0:1], 6, v0
	ds_write_b32 v50, v20
	s_waitcnt lgkmcnt(0)
	; wave barrier
	s_and_saveexec_b64 s[4:5], s[0:1]
	s_cbranch_execz .LBB75_65
; %bb.50:
	s_andn2_b64 vcc, exec, s[26:27]
	s_cbranch_vccnz .LBB75_52
; %bb.51:
	v_cmp_eq_u32_e32 vcc, 1, v0
	v_cndmask_b32_e32 v51, v14, v15, vcc
	v_cmp_eq_u32_e32 vcc, 2, v0
	v_cndmask_b32_e32 v51, v51, v16, vcc
	;; [unrolled: 2-line block ×7, first 2 shown]
	v_cmp_eq_u32_e32 vcc, 8, v0
	ds_read_b32 v52, v50
	v_cndmask_b32_e32 v51, v51, v22, vcc
	v_cmp_eq_u32_e32 vcc, 9, v0
	v_cndmask_b32_e32 v51, v51, v23, vcc
	v_cmp_eq_u32_e32 vcc, 10, v0
	;; [unrolled: 2-line block ×3, first 2 shown]
	v_cndmask_b32_e32 v51, v51, v25, vcc
	s_waitcnt lgkmcnt(0)
	v_mul_f32_e32 v51, v51, v52
	s_cbranch_execz .LBB75_53
	s_branch .LBB75_54
.LBB75_52:
                                        ; implicit-def: $vgpr51
.LBB75_53:
	ds_read_b32 v51, v50
.LBB75_54:
	s_and_saveexec_b64 s[6:7], s[2:3]
	s_cbranch_execz .LBB75_64
; %bb.55:
	v_add_u32_e32 v53, -8, v0
	v_add_u32_e32 v52, -7, v0
	v_cmp_lt_u32_e32 vcc, 6, v53
	v_mov_b32_e32 v53, 7
	s_and_saveexec_b64 s[2:3], vcc
	s_cbranch_execz .LBB75_59
; %bb.56:
	v_and_b32_e32 v53, -8, v52
	v_sub_u32_e32 v54, 0, v53
	s_mov_b64 s[8:9], 14
	s_movk_i32 s12, 0x4c
	s_mov_b64 s[10:11], 0
.LBB75_57:                              ; =>This Inner Loop Header: Depth=1
	s_add_i32 s13, s8, -7
	v_mov_b32_e32 v57, s12
	s_set_gpr_idx_on s13, gpr_idx(SRC0)
	v_mov_b32_e32 v53, v14
	s_set_gpr_idx_off
	ds_read2_b32 v[55:56], v57 offset1:1
	s_add_i32 s13, s8, -6
	s_waitcnt lgkmcnt(0)
	v_fmac_f32_e32 v51, v53, v55
	s_set_gpr_idx_on s13, gpr_idx(SRC0)
	v_mov_b32_e32 v53, v14
	s_set_gpr_idx_off
	s_add_i32 s13, s8, -5
	v_fmac_f32_e32 v51, v53, v56
	s_set_gpr_idx_on s13, gpr_idx(SRC0)
	v_mov_b32_e32 v53, v14
	s_set_gpr_idx_off
	ds_read2_b32 v[55:56], v57 offset0:2 offset1:3
	s_add_i32 s13, s8, -4
	s_waitcnt lgkmcnt(0)
	v_fmac_f32_e32 v51, v53, v55
	s_set_gpr_idx_on s13, gpr_idx(SRC0)
	v_mov_b32_e32 v53, v14
	s_set_gpr_idx_off
	s_add_i32 s13, s8, -3
	v_fmac_f32_e32 v51, v53, v56
	s_set_gpr_idx_on s13, gpr_idx(SRC0)
	v_mov_b32_e32 v53, v14
	s_set_gpr_idx_off
	ds_read2_b32 v[55:56], v57 offset0:4 offset1:5
	;; [unrolled: 12-line block ×3, first 2 shown]
	s_waitcnt lgkmcnt(0)
	v_fmac_f32_e32 v51, v53, v55
	s_set_gpr_idx_on s8, gpr_idx(SRC0)
	v_mov_b32_e32 v53, v14
	s_set_gpr_idx_off
	s_add_u32 s8, s8, 8
	v_fmac_f32_e32 v51, v53, v56
	v_add_u32_e32 v53, s8, v54
	s_addc_u32 s9, s9, 0
	s_add_i32 s12, s12, 32
	v_cmp_eq_u32_e32 vcc, 14, v53
	s_add_i32 s13, s8, -7
	s_or_b64 s[10:11], vcc, s[10:11]
	v_mov_b32_e32 v53, s13
	s_andn2_b64 exec, exec, s[10:11]
	s_cbranch_execnz .LBB75_57
; %bb.58:
	s_or_b64 exec, exec, s[10:11]
.LBB75_59:
	s_or_b64 exec, exec, s[2:3]
	v_and_b32_e32 v52, 7, v52
	v_cmp_ne_u32_e32 vcc, 0, v52
	s_and_saveexec_b64 s[8:9], vcc
	s_cbranch_execz .LBB75_63
; %bb.60:
	v_lshl_add_u32 v54, v53, 2, 48
	v_mov_b32_e32 v55, 0
	s_mov_b64 s[10:11], 0
.LBB75_61:                              ; =>This Inner Loop Header: Depth=1
	v_cmp_eq_u32_e32 vcc, 1, v53
	v_cndmask_b32_e32 v56, v14, v15, vcc
	v_add_u32_e32 v52, -1, v52
	v_cmp_eq_u32_e32 vcc, 2, v53
	v_cndmask_b32_e32 v56, v56, v16, vcc
	v_cmp_eq_u32_e32 vcc, 0, v52
	v_cmp_eq_u32_e64 s[2:3], 3, v53
	v_cndmask_b32_e64 v56, v56, v17, s[2:3]
	s_or_b64 s[10:11], vcc, s[10:11]
	v_cmp_eq_u32_e32 vcc, 4, v53
	v_cndmask_b32_e32 v56, v56, v18, vcc
	v_cmp_eq_u32_e32 vcc, 5, v53
	v_cndmask_b32_e32 v56, v56, v19, vcc
	;; [unrolled: 2-line block ×3, first 2 shown]
	v_cmp_eq_u32_e32 vcc, 7, v53
	ds_read_b32 v57, v54
	v_cndmask_b32_e32 v56, v56, v21, vcc
	v_cmp_eq_u32_e32 vcc, 8, v53
	v_cndmask_b32_e32 v56, v56, v22, vcc
	v_cmp_eq_u32_e32 vcc, 9, v53
	;; [unrolled: 2-line block ×4, first 2 shown]
	v_add_co_u32_e64 v53, s[2:3], 1, v53
	v_cndmask_b32_e32 v56, v56, v25, vcc
	v_add_u32_e32 v54, 4, v54
	v_addc_co_u32_e64 v55, s[2:3], 0, v55, s[2:3]
	s_waitcnt lgkmcnt(0)
	v_fmac_f32_e32 v51, v56, v57
	s_andn2_b64 exec, exec, s[10:11]
	s_cbranch_execnz .LBB75_61
; %bb.62:
	s_or_b64 exec, exec, s[10:11]
.LBB75_63:
	s_or_b64 exec, exec, s[8:9]
.LBB75_64:
	s_or_b64 exec, exec, s[6:7]
	v_mov_b32_e32 v20, 0
	ds_read_b32 v20, v20 offset:24
	s_waitcnt lgkmcnt(0)
	v_mul_f32_e32 v20, v51, v20
.LBB75_65:
	s_or_b64 exec, exec, s[4:5]
	v_cmp_lt_u32_e64 s[2:3], 5, v0
	ds_write_b32 v50, v19
	s_waitcnt lgkmcnt(0)
	; wave barrier
	s_and_saveexec_b64 s[4:5], s[2:3]
	s_cbranch_execz .LBB75_81
; %bb.66:
	s_andn2_b64 vcc, exec, s[26:27]
	s_cbranch_vccnz .LBB75_68
; %bb.67:
	v_cmp_eq_u32_e32 vcc, 1, v0
	v_cndmask_b32_e32 v51, v14, v15, vcc
	v_cmp_eq_u32_e32 vcc, 2, v0
	v_cndmask_b32_e32 v51, v51, v16, vcc
	;; [unrolled: 2-line block ×7, first 2 shown]
	v_cmp_eq_u32_e32 vcc, 8, v0
	ds_read_b32 v52, v50
	v_cndmask_b32_e32 v51, v51, v22, vcc
	v_cmp_eq_u32_e32 vcc, 9, v0
	v_cndmask_b32_e32 v51, v51, v23, vcc
	v_cmp_eq_u32_e32 vcc, 10, v0
	;; [unrolled: 2-line block ×3, first 2 shown]
	v_cndmask_b32_e32 v51, v51, v25, vcc
	s_waitcnt lgkmcnt(0)
	v_mul_f32_e32 v51, v51, v52
	s_cbranch_execz .LBB75_69
	s_branch .LBB75_70
.LBB75_68:
                                        ; implicit-def: $vgpr51
.LBB75_69:
	ds_read_b32 v51, v50
.LBB75_70:
	s_and_saveexec_b64 s[6:7], s[0:1]
	s_cbranch_execz .LBB75_80
; %bb.71:
	v_add_u32_e32 v54, -7, v0
	v_add_u32_e32 v52, -6, v0
	v_mov_b32_e32 v53, 6
	v_cmp_lt_u32_e32 vcc, 6, v54
	s_and_saveexec_b64 s[0:1], vcc
	s_cbranch_execz .LBB75_75
; %bb.72:
	v_and_b32_e32 v53, -8, v52
	v_sub_u32_e32 v54, 0, v53
	s_mov_b64 s[8:9], 13
	s_movk_i32 s12, 0x48
	s_mov_b64 s[10:11], 0
.LBB75_73:                              ; =>This Inner Loop Header: Depth=1
	s_add_i32 s13, s8, -7
	v_mov_b32_e32 v59, s12
	s_set_gpr_idx_on s13, gpr_idx(SRC0)
	v_mov_b32_e32 v53, v14
	s_set_gpr_idx_off
	ds_read2_b64 v[55:58], v59 offset1:1
	s_add_i32 s13, s8, -6
	s_waitcnt lgkmcnt(0)
	v_fmac_f32_e32 v51, v53, v55
	s_set_gpr_idx_on s13, gpr_idx(SRC0)
	v_mov_b32_e32 v53, v14
	s_set_gpr_idx_off
	s_add_i32 s13, s8, -5
	v_fmac_f32_e32 v51, v53, v56
	s_set_gpr_idx_on s13, gpr_idx(SRC0)
	v_mov_b32_e32 v53, v14
	s_set_gpr_idx_off
	s_add_i32 s13, s8, -4
	;; [unrolled: 5-line block ×3, first 2 shown]
	v_fmac_f32_e32 v51, v53, v58
	s_set_gpr_idx_on s13, gpr_idx(SRC0)
	v_mov_b32_e32 v53, v14
	s_set_gpr_idx_off
	ds_read2_b64 v[55:58], v59 offset0:2 offset1:3
	s_add_i32 s13, s8, -2
	s_waitcnt lgkmcnt(0)
	v_fmac_f32_e32 v51, v53, v55
	s_set_gpr_idx_on s13, gpr_idx(SRC0)
	v_mov_b32_e32 v53, v14
	s_set_gpr_idx_off
	s_add_i32 s13, s8, -1
	v_fmac_f32_e32 v51, v53, v56
	s_set_gpr_idx_on s13, gpr_idx(SRC0)
	v_mov_b32_e32 v53, v14
	s_set_gpr_idx_off
	v_fmac_f32_e32 v51, v53, v57
	s_set_gpr_idx_on s8, gpr_idx(SRC0)
	v_mov_b32_e32 v53, v14
	s_set_gpr_idx_off
	s_add_u32 s8, s8, 8
	v_fmac_f32_e32 v51, v53, v58
	v_add_u32_e32 v53, s8, v54
	s_addc_u32 s9, s9, 0
	s_add_i32 s12, s12, 32
	v_cmp_eq_u32_e32 vcc, 13, v53
	s_add_i32 s13, s8, -7
	s_or_b64 s[10:11], vcc, s[10:11]
	v_mov_b32_e32 v53, s13
	s_andn2_b64 exec, exec, s[10:11]
	s_cbranch_execnz .LBB75_73
; %bb.74:
	s_or_b64 exec, exec, s[10:11]
.LBB75_75:
	s_or_b64 exec, exec, s[0:1]
	v_and_b32_e32 v52, 7, v52
	v_cmp_ne_u32_e32 vcc, 0, v52
	s_and_saveexec_b64 s[8:9], vcc
	s_cbranch_execz .LBB75_79
; %bb.76:
	v_lshl_add_u32 v54, v53, 2, 48
	v_mov_b32_e32 v55, 0
	s_mov_b64 s[10:11], 0
.LBB75_77:                              ; =>This Inner Loop Header: Depth=1
	v_cmp_eq_u32_e32 vcc, 1, v53
	v_cndmask_b32_e32 v56, v14, v15, vcc
	v_add_u32_e32 v52, -1, v52
	v_cmp_eq_u32_e32 vcc, 2, v53
	v_cndmask_b32_e32 v56, v56, v16, vcc
	v_cmp_eq_u32_e32 vcc, 0, v52
	v_cmp_eq_u32_e64 s[0:1], 3, v53
	v_cndmask_b32_e64 v56, v56, v17, s[0:1]
	s_or_b64 s[10:11], vcc, s[10:11]
	v_cmp_eq_u32_e32 vcc, 4, v53
	v_cndmask_b32_e32 v56, v56, v18, vcc
	v_cmp_eq_u32_e32 vcc, 5, v53
	v_cndmask_b32_e32 v56, v56, v19, vcc
	;; [unrolled: 2-line block ×3, first 2 shown]
	v_cmp_eq_u32_e32 vcc, 7, v53
	ds_read_b32 v57, v54
	v_cndmask_b32_e32 v56, v56, v21, vcc
	v_cmp_eq_u32_e32 vcc, 8, v53
	v_cndmask_b32_e32 v56, v56, v22, vcc
	v_cmp_eq_u32_e32 vcc, 9, v53
	;; [unrolled: 2-line block ×4, first 2 shown]
	v_add_co_u32_e64 v53, s[0:1], 1, v53
	v_cndmask_b32_e32 v56, v56, v25, vcc
	v_add_u32_e32 v54, 4, v54
	v_addc_co_u32_e64 v55, s[0:1], 0, v55, s[0:1]
	s_waitcnt lgkmcnt(0)
	v_fmac_f32_e32 v51, v56, v57
	s_andn2_b64 exec, exec, s[10:11]
	s_cbranch_execnz .LBB75_77
; %bb.78:
	s_or_b64 exec, exec, s[10:11]
.LBB75_79:
	s_or_b64 exec, exec, s[8:9]
.LBB75_80:
	s_or_b64 exec, exec, s[6:7]
	v_mov_b32_e32 v19, 0
	ds_read_b32 v19, v19 offset:20
	s_waitcnt lgkmcnt(0)
	v_mul_f32_e32 v19, v51, v19
.LBB75_81:
	s_or_b64 exec, exec, s[4:5]
	v_cmp_lt_u32_e64 s[0:1], 4, v0
	ds_write_b32 v50, v18
	s_waitcnt lgkmcnt(0)
	; wave barrier
	s_and_saveexec_b64 s[4:5], s[0:1]
	s_cbranch_execz .LBB75_97
; %bb.82:
	s_andn2_b64 vcc, exec, s[26:27]
	s_cbranch_vccnz .LBB75_84
; %bb.83:
	v_cmp_eq_u32_e32 vcc, 1, v0
	v_cndmask_b32_e32 v51, v14, v15, vcc
	v_cmp_eq_u32_e32 vcc, 2, v0
	v_cndmask_b32_e32 v51, v51, v16, vcc
	v_cmp_eq_u32_e32 vcc, 3, v0
	v_cndmask_b32_e32 v51, v51, v17, vcc
	v_cmp_eq_u32_e32 vcc, 4, v0
	v_cndmask_b32_e32 v51, v51, v18, vcc
	v_cmp_eq_u32_e32 vcc, 5, v0
	v_cndmask_b32_e32 v51, v51, v19, vcc
	v_cmp_eq_u32_e32 vcc, 6, v0
	v_cndmask_b32_e32 v51, v51, v20, vcc
	v_cmp_eq_u32_e32 vcc, 7, v0
	v_cndmask_b32_e32 v51, v51, v21, vcc
	v_cmp_eq_u32_e32 vcc, 8, v0
	ds_read_b32 v52, v50
	v_cndmask_b32_e32 v51, v51, v22, vcc
	v_cmp_eq_u32_e32 vcc, 9, v0
	v_cndmask_b32_e32 v51, v51, v23, vcc
	v_cmp_eq_u32_e32 vcc, 10, v0
	;; [unrolled: 2-line block ×3, first 2 shown]
	v_cndmask_b32_e32 v51, v51, v25, vcc
	s_waitcnt lgkmcnt(0)
	v_mul_f32_e32 v51, v51, v52
	s_cbranch_execz .LBB75_85
	s_branch .LBB75_86
.LBB75_84:
                                        ; implicit-def: $vgpr51
.LBB75_85:
	ds_read_b32 v51, v50
.LBB75_86:
	s_and_saveexec_b64 s[6:7], s[2:3]
	s_cbranch_execz .LBB75_96
; %bb.87:
	v_add_u32_e32 v53, -6, v0
	v_add_u32_e32 v52, -5, v0
	v_cmp_lt_u32_e32 vcc, 6, v53
	v_mov_b32_e32 v53, 5
	s_and_saveexec_b64 s[2:3], vcc
	s_cbranch_execz .LBB75_91
; %bb.88:
	v_and_b32_e32 v53, -8, v52
	v_sub_u32_e32 v54, 0, v53
	s_mov_b64 s[8:9], 12
	s_movk_i32 s12, 0x44
	s_mov_b64 s[10:11], 0
.LBB75_89:                              ; =>This Inner Loop Header: Depth=1
	s_add_i32 s13, s8, -7
	v_mov_b32_e32 v57, s12
	s_set_gpr_idx_on s13, gpr_idx(SRC0)
	v_mov_b32_e32 v53, v14
	s_set_gpr_idx_off
	ds_read2_b32 v[55:56], v57 offset1:1
	s_add_i32 s13, s8, -6
	s_waitcnt lgkmcnt(0)
	v_fmac_f32_e32 v51, v53, v55
	s_set_gpr_idx_on s13, gpr_idx(SRC0)
	v_mov_b32_e32 v53, v14
	s_set_gpr_idx_off
	s_add_i32 s13, s8, -5
	v_fmac_f32_e32 v51, v53, v56
	s_set_gpr_idx_on s13, gpr_idx(SRC0)
	v_mov_b32_e32 v53, v14
	s_set_gpr_idx_off
	ds_read2_b32 v[55:56], v57 offset0:2 offset1:3
	s_add_i32 s13, s8, -4
	s_waitcnt lgkmcnt(0)
	v_fmac_f32_e32 v51, v53, v55
	s_set_gpr_idx_on s13, gpr_idx(SRC0)
	v_mov_b32_e32 v53, v14
	s_set_gpr_idx_off
	s_add_i32 s13, s8, -3
	v_fmac_f32_e32 v51, v53, v56
	s_set_gpr_idx_on s13, gpr_idx(SRC0)
	v_mov_b32_e32 v53, v14
	s_set_gpr_idx_off
	ds_read2_b32 v[55:56], v57 offset0:4 offset1:5
	;; [unrolled: 12-line block ×3, first 2 shown]
	s_waitcnt lgkmcnt(0)
	v_fmac_f32_e32 v51, v53, v55
	s_set_gpr_idx_on s8, gpr_idx(SRC0)
	v_mov_b32_e32 v53, v14
	s_set_gpr_idx_off
	s_add_u32 s8, s8, 8
	v_fmac_f32_e32 v51, v53, v56
	v_add_u32_e32 v53, s8, v54
	s_addc_u32 s9, s9, 0
	s_add_i32 s12, s12, 32
	v_cmp_eq_u32_e32 vcc, 12, v53
	s_add_i32 s13, s8, -7
	s_or_b64 s[10:11], vcc, s[10:11]
	v_mov_b32_e32 v53, s13
	s_andn2_b64 exec, exec, s[10:11]
	s_cbranch_execnz .LBB75_89
; %bb.90:
	s_or_b64 exec, exec, s[10:11]
.LBB75_91:
	s_or_b64 exec, exec, s[2:3]
	v_and_b32_e32 v52, 7, v52
	v_cmp_ne_u32_e32 vcc, 0, v52
	s_and_saveexec_b64 s[8:9], vcc
	s_cbranch_execz .LBB75_95
; %bb.92:
	v_lshl_add_u32 v54, v53, 2, 48
	v_mov_b32_e32 v55, 0
	s_mov_b64 s[10:11], 0
.LBB75_93:                              ; =>This Inner Loop Header: Depth=1
	v_cmp_eq_u32_e32 vcc, 1, v53
	v_cndmask_b32_e32 v56, v14, v15, vcc
	v_add_u32_e32 v52, -1, v52
	v_cmp_eq_u32_e32 vcc, 2, v53
	v_cndmask_b32_e32 v56, v56, v16, vcc
	v_cmp_eq_u32_e32 vcc, 0, v52
	v_cmp_eq_u32_e64 s[2:3], 3, v53
	v_cndmask_b32_e64 v56, v56, v17, s[2:3]
	s_or_b64 s[10:11], vcc, s[10:11]
	v_cmp_eq_u32_e32 vcc, 4, v53
	v_cndmask_b32_e32 v56, v56, v18, vcc
	v_cmp_eq_u32_e32 vcc, 5, v53
	v_cndmask_b32_e32 v56, v56, v19, vcc
	;; [unrolled: 2-line block ×3, first 2 shown]
	v_cmp_eq_u32_e32 vcc, 7, v53
	ds_read_b32 v57, v54
	v_cndmask_b32_e32 v56, v56, v21, vcc
	v_cmp_eq_u32_e32 vcc, 8, v53
	v_cndmask_b32_e32 v56, v56, v22, vcc
	v_cmp_eq_u32_e32 vcc, 9, v53
	;; [unrolled: 2-line block ×4, first 2 shown]
	v_add_co_u32_e64 v53, s[2:3], 1, v53
	v_cndmask_b32_e32 v56, v56, v25, vcc
	v_add_u32_e32 v54, 4, v54
	v_addc_co_u32_e64 v55, s[2:3], 0, v55, s[2:3]
	s_waitcnt lgkmcnt(0)
	v_fmac_f32_e32 v51, v56, v57
	s_andn2_b64 exec, exec, s[10:11]
	s_cbranch_execnz .LBB75_93
; %bb.94:
	s_or_b64 exec, exec, s[10:11]
.LBB75_95:
	s_or_b64 exec, exec, s[8:9]
.LBB75_96:
	s_or_b64 exec, exec, s[6:7]
	v_mov_b32_e32 v18, 0
	ds_read_b32 v18, v18 offset:16
	s_waitcnt lgkmcnt(0)
	v_mul_f32_e32 v18, v51, v18
.LBB75_97:
	s_or_b64 exec, exec, s[4:5]
	v_cmp_lt_u32_e64 s[2:3], 3, v0
	ds_write_b32 v50, v17
	s_waitcnt lgkmcnt(0)
	; wave barrier
	s_and_saveexec_b64 s[4:5], s[2:3]
	s_cbranch_execz .LBB75_113
; %bb.98:
	s_andn2_b64 vcc, exec, s[26:27]
	s_cbranch_vccnz .LBB75_100
; %bb.99:
	v_cmp_eq_u32_e32 vcc, 1, v0
	v_cndmask_b32_e32 v51, v14, v15, vcc
	v_cmp_eq_u32_e32 vcc, 2, v0
	v_cndmask_b32_e32 v51, v51, v16, vcc
	;; [unrolled: 2-line block ×7, first 2 shown]
	v_cmp_eq_u32_e32 vcc, 8, v0
	ds_read_b32 v52, v50
	v_cndmask_b32_e32 v51, v51, v22, vcc
	v_cmp_eq_u32_e32 vcc, 9, v0
	v_cndmask_b32_e32 v51, v51, v23, vcc
	v_cmp_eq_u32_e32 vcc, 10, v0
	;; [unrolled: 2-line block ×3, first 2 shown]
	v_cndmask_b32_e32 v51, v51, v25, vcc
	s_waitcnt lgkmcnt(0)
	v_mul_f32_e32 v51, v51, v52
	s_cbranch_execz .LBB75_101
	s_branch .LBB75_102
.LBB75_100:
                                        ; implicit-def: $vgpr51
.LBB75_101:
	ds_read_b32 v51, v50
.LBB75_102:
	s_and_saveexec_b64 s[6:7], s[0:1]
	s_cbranch_execz .LBB75_112
; %bb.103:
	v_add_u32_e32 v53, -5, v0
	v_add_u32_e32 v52, -4, v0
	v_cmp_lt_u32_e32 vcc, 6, v53
	v_mov_b32_e32 v53, 4
	s_and_saveexec_b64 s[0:1], vcc
	s_cbranch_execz .LBB75_107
; %bb.104:
	v_and_b32_e32 v53, -8, v52
	v_sub_u32_e32 v54, 0, v53
	s_mov_b64 s[8:9], 5
	s_mov_b32 s12, 64
	s_mov_b64 s[10:11], 0
.LBB75_105:                             ; =>This Inner Loop Header: Depth=1
	s_add_i32 s13, s8, -1
	v_mov_b32_e32 v59, s12
	s_set_gpr_idx_on s13, gpr_idx(SRC0)
	v_mov_b32_e32 v53, v14
	s_set_gpr_idx_off
	ds_read_b128 v[55:58], v59
	ds_read_b128 v[59:62], v59 offset:16
	s_add_i32 s13, s8, 1
	s_waitcnt lgkmcnt(1)
	v_fmac_f32_e32 v51, v53, v55
	s_set_gpr_idx_on s8, gpr_idx(SRC0)
	v_mov_b32_e32 v53, v14
	s_set_gpr_idx_off
	v_fmac_f32_e32 v51, v53, v56
	s_set_gpr_idx_on s13, gpr_idx(SRC0)
	v_mov_b32_e32 v53, v14
	s_set_gpr_idx_off
	s_add_i32 s13, s8, 2
	v_fmac_f32_e32 v51, v53, v57
	s_set_gpr_idx_on s13, gpr_idx(SRC0)
	v_mov_b32_e32 v53, v14
	s_set_gpr_idx_off
	s_add_i32 s13, s8, 3
	;; [unrolled: 5-line block ×3, first 2 shown]
	s_waitcnt lgkmcnt(0)
	v_fmac_f32_e32 v51, v53, v59
	s_set_gpr_idx_on s13, gpr_idx(SRC0)
	v_mov_b32_e32 v53, v14
	s_set_gpr_idx_off
	s_add_i32 s13, s8, 5
	v_fmac_f32_e32 v51, v53, v60
	s_set_gpr_idx_on s13, gpr_idx(SRC0)
	v_mov_b32_e32 v53, v14
	s_set_gpr_idx_off
	s_add_i32 s13, s8, 6
	v_fmac_f32_e32 v51, v53, v61
	s_set_gpr_idx_on s13, gpr_idx(SRC0)
	v_mov_b32_e32 v53, v14
	s_set_gpr_idx_off
	s_add_u32 s8, s8, 8
	v_fmac_f32_e32 v51, v53, v62
	v_add_u32_e32 v53, s8, v54
	s_addc_u32 s9, s9, 0
	s_add_i32 s12, s12, 32
	v_cmp_eq_u32_e32 vcc, 5, v53
	s_add_i32 s13, s8, -1
	s_or_b64 s[10:11], vcc, s[10:11]
	v_mov_b32_e32 v53, s13
	s_andn2_b64 exec, exec, s[10:11]
	s_cbranch_execnz .LBB75_105
; %bb.106:
	s_or_b64 exec, exec, s[10:11]
.LBB75_107:
	s_or_b64 exec, exec, s[0:1]
	v_and_b32_e32 v52, 7, v52
	v_cmp_ne_u32_e32 vcc, 0, v52
	s_and_saveexec_b64 s[8:9], vcc
	s_cbranch_execz .LBB75_111
; %bb.108:
	v_lshl_add_u32 v54, v53, 2, 48
	v_mov_b32_e32 v55, 0
	s_mov_b64 s[10:11], 0
.LBB75_109:                             ; =>This Inner Loop Header: Depth=1
	v_cmp_eq_u32_e32 vcc, 1, v53
	v_cndmask_b32_e32 v56, v14, v15, vcc
	v_add_u32_e32 v52, -1, v52
	v_cmp_eq_u32_e32 vcc, 2, v53
	v_cndmask_b32_e32 v56, v56, v16, vcc
	v_cmp_eq_u32_e32 vcc, 0, v52
	v_cmp_eq_u32_e64 s[0:1], 3, v53
	v_cndmask_b32_e64 v56, v56, v17, s[0:1]
	s_or_b64 s[10:11], vcc, s[10:11]
	v_cmp_eq_u32_e32 vcc, 4, v53
	v_cndmask_b32_e32 v56, v56, v18, vcc
	v_cmp_eq_u32_e32 vcc, 5, v53
	v_cndmask_b32_e32 v56, v56, v19, vcc
	;; [unrolled: 2-line block ×3, first 2 shown]
	v_cmp_eq_u32_e32 vcc, 7, v53
	ds_read_b32 v57, v54
	v_cndmask_b32_e32 v56, v56, v21, vcc
	v_cmp_eq_u32_e32 vcc, 8, v53
	v_cndmask_b32_e32 v56, v56, v22, vcc
	v_cmp_eq_u32_e32 vcc, 9, v53
	v_cndmask_b32_e32 v56, v56, v23, vcc
	v_cmp_eq_u32_e32 vcc, 10, v53
	v_cndmask_b32_e32 v56, v56, v24, vcc
	v_cmp_eq_u32_e32 vcc, 11, v53
	v_add_co_u32_e64 v53, s[0:1], 1, v53
	v_cndmask_b32_e32 v56, v56, v25, vcc
	v_add_u32_e32 v54, 4, v54
	v_addc_co_u32_e64 v55, s[0:1], 0, v55, s[0:1]
	s_waitcnt lgkmcnt(0)
	v_fmac_f32_e32 v51, v56, v57
	s_andn2_b64 exec, exec, s[10:11]
	s_cbranch_execnz .LBB75_109
; %bb.110:
	s_or_b64 exec, exec, s[10:11]
.LBB75_111:
	s_or_b64 exec, exec, s[8:9]
.LBB75_112:
	s_or_b64 exec, exec, s[6:7]
	v_mov_b32_e32 v17, 0
	ds_read_b32 v17, v17 offset:12
	s_waitcnt lgkmcnt(0)
	v_mul_f32_e32 v17, v51, v17
.LBB75_113:
	s_or_b64 exec, exec, s[4:5]
	v_cmp_lt_u32_e64 s[0:1], 2, v0
	ds_write_b32 v50, v16
	s_waitcnt lgkmcnt(0)
	; wave barrier
	s_and_saveexec_b64 s[4:5], s[0:1]
	s_cbranch_execz .LBB75_129
; %bb.114:
	s_andn2_b64 vcc, exec, s[26:27]
	s_cbranch_vccnz .LBB75_116
; %bb.115:
	v_cmp_eq_u32_e32 vcc, 1, v0
	v_cndmask_b32_e32 v51, v14, v15, vcc
	v_cmp_eq_u32_e32 vcc, 2, v0
	v_cndmask_b32_e32 v51, v51, v16, vcc
	;; [unrolled: 2-line block ×7, first 2 shown]
	v_cmp_eq_u32_e32 vcc, 8, v0
	ds_read_b32 v52, v50
	v_cndmask_b32_e32 v51, v51, v22, vcc
	v_cmp_eq_u32_e32 vcc, 9, v0
	v_cndmask_b32_e32 v51, v51, v23, vcc
	v_cmp_eq_u32_e32 vcc, 10, v0
	;; [unrolled: 2-line block ×3, first 2 shown]
	v_cndmask_b32_e32 v51, v51, v25, vcc
	s_waitcnt lgkmcnt(0)
	v_mul_f32_e32 v51, v51, v52
	s_cbranch_execz .LBB75_117
	s_branch .LBB75_118
.LBB75_116:
                                        ; implicit-def: $vgpr51
.LBB75_117:
	ds_read_b32 v51, v50
.LBB75_118:
	s_and_saveexec_b64 s[6:7], s[2:3]
	s_cbranch_execz .LBB75_128
; %bb.119:
	v_add_u32_e32 v53, -4, v0
	v_add_u32_e32 v52, -3, v0
	v_cmp_lt_u32_e32 vcc, 6, v53
	v_mov_b32_e32 v53, 3
	s_and_saveexec_b64 s[2:3], vcc
	s_cbranch_execz .LBB75_123
; %bb.120:
	v_and_b32_e32 v53, -8, v52
	v_sub_u32_e32 v54, 0, v53
	s_mov_b64 s[8:9], 10
	s_mov_b32 s12, 60
	s_mov_b64 s[10:11], 0
.LBB75_121:                             ; =>This Inner Loop Header: Depth=1
	s_add_i32 s13, s8, -7
	v_mov_b32_e32 v57, s12
	s_set_gpr_idx_on s13, gpr_idx(SRC0)
	v_mov_b32_e32 v53, v14
	s_set_gpr_idx_off
	ds_read2_b32 v[55:56], v57 offset1:1
	s_add_i32 s13, s8, -6
	s_waitcnt lgkmcnt(0)
	v_fmac_f32_e32 v51, v53, v55
	s_set_gpr_idx_on s13, gpr_idx(SRC0)
	v_mov_b32_e32 v53, v14
	s_set_gpr_idx_off
	s_add_i32 s13, s8, -5
	v_fmac_f32_e32 v51, v53, v56
	s_set_gpr_idx_on s13, gpr_idx(SRC0)
	v_mov_b32_e32 v53, v14
	s_set_gpr_idx_off
	ds_read2_b32 v[55:56], v57 offset0:2 offset1:3
	s_add_i32 s13, s8, -4
	s_waitcnt lgkmcnt(0)
	v_fmac_f32_e32 v51, v53, v55
	s_set_gpr_idx_on s13, gpr_idx(SRC0)
	v_mov_b32_e32 v53, v14
	s_set_gpr_idx_off
	s_add_i32 s13, s8, -3
	v_fmac_f32_e32 v51, v53, v56
	s_set_gpr_idx_on s13, gpr_idx(SRC0)
	v_mov_b32_e32 v53, v14
	s_set_gpr_idx_off
	ds_read2_b32 v[55:56], v57 offset0:4 offset1:5
	;; [unrolled: 12-line block ×3, first 2 shown]
	s_waitcnt lgkmcnt(0)
	v_fmac_f32_e32 v51, v53, v55
	s_set_gpr_idx_on s8, gpr_idx(SRC0)
	v_mov_b32_e32 v53, v14
	s_set_gpr_idx_off
	s_add_u32 s8, s8, 8
	v_fmac_f32_e32 v51, v53, v56
	v_add_u32_e32 v53, s8, v54
	s_addc_u32 s9, s9, 0
	s_add_i32 s12, s12, 32
	v_cmp_eq_u32_e32 vcc, 10, v53
	s_add_i32 s13, s8, -7
	s_or_b64 s[10:11], vcc, s[10:11]
	v_mov_b32_e32 v53, s13
	s_andn2_b64 exec, exec, s[10:11]
	s_cbranch_execnz .LBB75_121
; %bb.122:
	s_or_b64 exec, exec, s[10:11]
.LBB75_123:
	s_or_b64 exec, exec, s[2:3]
	v_and_b32_e32 v52, 7, v52
	v_cmp_ne_u32_e32 vcc, 0, v52
	s_and_saveexec_b64 s[8:9], vcc
	s_cbranch_execz .LBB75_127
; %bb.124:
	v_lshl_add_u32 v54, v53, 2, 48
	v_mov_b32_e32 v55, 0
	s_mov_b64 s[10:11], 0
.LBB75_125:                             ; =>This Inner Loop Header: Depth=1
	v_cmp_eq_u32_e32 vcc, 1, v53
	v_cndmask_b32_e32 v56, v14, v15, vcc
	v_add_u32_e32 v52, -1, v52
	v_cmp_eq_u32_e32 vcc, 2, v53
	v_cndmask_b32_e32 v56, v56, v16, vcc
	v_cmp_eq_u32_e32 vcc, 0, v52
	v_cmp_eq_u32_e64 s[2:3], 3, v53
	v_cndmask_b32_e64 v56, v56, v17, s[2:3]
	s_or_b64 s[10:11], vcc, s[10:11]
	v_cmp_eq_u32_e32 vcc, 4, v53
	v_cndmask_b32_e32 v56, v56, v18, vcc
	v_cmp_eq_u32_e32 vcc, 5, v53
	v_cndmask_b32_e32 v56, v56, v19, vcc
	;; [unrolled: 2-line block ×3, first 2 shown]
	v_cmp_eq_u32_e32 vcc, 7, v53
	ds_read_b32 v57, v54
	v_cndmask_b32_e32 v56, v56, v21, vcc
	v_cmp_eq_u32_e32 vcc, 8, v53
	v_cndmask_b32_e32 v56, v56, v22, vcc
	v_cmp_eq_u32_e32 vcc, 9, v53
	;; [unrolled: 2-line block ×4, first 2 shown]
	v_add_co_u32_e64 v53, s[2:3], 1, v53
	v_cndmask_b32_e32 v56, v56, v25, vcc
	v_add_u32_e32 v54, 4, v54
	v_addc_co_u32_e64 v55, s[2:3], 0, v55, s[2:3]
	s_waitcnt lgkmcnt(0)
	v_fmac_f32_e32 v51, v56, v57
	s_andn2_b64 exec, exec, s[10:11]
	s_cbranch_execnz .LBB75_125
; %bb.126:
	s_or_b64 exec, exec, s[10:11]
.LBB75_127:
	s_or_b64 exec, exec, s[8:9]
.LBB75_128:
	s_or_b64 exec, exec, s[6:7]
	v_mov_b32_e32 v16, 0
	ds_read_b32 v16, v16 offset:8
	s_waitcnt lgkmcnt(0)
	v_mul_f32_e32 v16, v51, v16
.LBB75_129:
	s_or_b64 exec, exec, s[4:5]
	v_cmp_lt_u32_e64 s[2:3], 1, v0
	ds_write_b32 v50, v15
	s_waitcnt lgkmcnt(0)
	; wave barrier
	s_and_saveexec_b64 s[4:5], s[2:3]
	s_cbranch_execz .LBB75_145
; %bb.130:
	s_andn2_b64 vcc, exec, s[26:27]
	s_cbranch_vccnz .LBB75_132
; %bb.131:
	v_cmp_eq_u32_e32 vcc, 1, v0
	v_cndmask_b32_e32 v51, v14, v15, vcc
	v_cmp_eq_u32_e32 vcc, 2, v0
	v_cndmask_b32_e32 v51, v51, v16, vcc
	;; [unrolled: 2-line block ×7, first 2 shown]
	v_cmp_eq_u32_e32 vcc, 8, v0
	ds_read_b32 v52, v50
	v_cndmask_b32_e32 v51, v51, v22, vcc
	v_cmp_eq_u32_e32 vcc, 9, v0
	v_cndmask_b32_e32 v51, v51, v23, vcc
	v_cmp_eq_u32_e32 vcc, 10, v0
	v_cndmask_b32_e32 v51, v51, v24, vcc
	v_cmp_eq_u32_e32 vcc, 11, v0
	v_cndmask_b32_e32 v51, v51, v25, vcc
	s_waitcnt lgkmcnt(0)
	v_mul_f32_e32 v51, v51, v52
	s_cbranch_execz .LBB75_133
	s_branch .LBB75_134
.LBB75_132:
                                        ; implicit-def: $vgpr51
.LBB75_133:
	ds_read_b32 v51, v50
.LBB75_134:
	s_and_saveexec_b64 s[6:7], s[0:1]
	s_cbranch_execz .LBB75_144
; %bb.135:
	v_add_u32_e32 v53, -3, v0
	v_add_u32_e32 v52, -2, v0
	v_cmp_lt_u32_e32 vcc, 6, v53
	v_mov_b32_e32 v53, 2
	s_and_saveexec_b64 s[0:1], vcc
	s_cbranch_execz .LBB75_139
; %bb.136:
	v_and_b32_e32 v53, -8, v52
	v_sub_u32_e32 v54, 0, v53
	s_mov_b64 s[8:9], 9
	s_mov_b32 s12, 56
	s_mov_b64 s[10:11], 0
.LBB75_137:                             ; =>This Inner Loop Header: Depth=1
	s_add_i32 s13, s8, -7
	v_mov_b32_e32 v59, s12
	s_set_gpr_idx_on s13, gpr_idx(SRC0)
	v_mov_b32_e32 v53, v14
	s_set_gpr_idx_off
	ds_read2_b64 v[55:58], v59 offset1:1
	s_add_i32 s13, s8, -6
	s_waitcnt lgkmcnt(0)
	v_fmac_f32_e32 v51, v53, v55
	s_set_gpr_idx_on s13, gpr_idx(SRC0)
	v_mov_b32_e32 v53, v14
	s_set_gpr_idx_off
	s_add_i32 s13, s8, -5
	v_fmac_f32_e32 v51, v53, v56
	s_set_gpr_idx_on s13, gpr_idx(SRC0)
	v_mov_b32_e32 v53, v14
	s_set_gpr_idx_off
	s_add_i32 s13, s8, -4
	;; [unrolled: 5-line block ×3, first 2 shown]
	v_fmac_f32_e32 v51, v53, v58
	s_set_gpr_idx_on s13, gpr_idx(SRC0)
	v_mov_b32_e32 v53, v14
	s_set_gpr_idx_off
	ds_read2_b64 v[55:58], v59 offset0:2 offset1:3
	s_add_i32 s13, s8, -2
	s_waitcnt lgkmcnt(0)
	v_fmac_f32_e32 v51, v53, v55
	s_set_gpr_idx_on s13, gpr_idx(SRC0)
	v_mov_b32_e32 v53, v14
	s_set_gpr_idx_off
	s_add_i32 s13, s8, -1
	v_fmac_f32_e32 v51, v53, v56
	s_set_gpr_idx_on s13, gpr_idx(SRC0)
	v_mov_b32_e32 v53, v14
	s_set_gpr_idx_off
	v_fmac_f32_e32 v51, v53, v57
	s_set_gpr_idx_on s8, gpr_idx(SRC0)
	v_mov_b32_e32 v53, v14
	s_set_gpr_idx_off
	s_add_u32 s8, s8, 8
	v_fmac_f32_e32 v51, v53, v58
	v_add_u32_e32 v53, s8, v54
	s_addc_u32 s9, s9, 0
	s_add_i32 s12, s12, 32
	v_cmp_eq_u32_e32 vcc, 9, v53
	s_add_i32 s13, s8, -7
	s_or_b64 s[10:11], vcc, s[10:11]
	v_mov_b32_e32 v53, s13
	s_andn2_b64 exec, exec, s[10:11]
	s_cbranch_execnz .LBB75_137
; %bb.138:
	s_or_b64 exec, exec, s[10:11]
.LBB75_139:
	s_or_b64 exec, exec, s[0:1]
	v_and_b32_e32 v52, 7, v52
	v_cmp_ne_u32_e32 vcc, 0, v52
	s_and_saveexec_b64 s[8:9], vcc
	s_cbranch_execz .LBB75_143
; %bb.140:
	v_lshl_add_u32 v54, v53, 2, 48
	v_mov_b32_e32 v55, 0
	s_mov_b64 s[10:11], 0
.LBB75_141:                             ; =>This Inner Loop Header: Depth=1
	v_cmp_eq_u32_e32 vcc, 1, v53
	v_cndmask_b32_e32 v56, v14, v15, vcc
	v_add_u32_e32 v52, -1, v52
	v_cmp_eq_u32_e32 vcc, 2, v53
	v_cndmask_b32_e32 v56, v56, v16, vcc
	v_cmp_eq_u32_e32 vcc, 0, v52
	v_cmp_eq_u32_e64 s[0:1], 3, v53
	v_cndmask_b32_e64 v56, v56, v17, s[0:1]
	s_or_b64 s[10:11], vcc, s[10:11]
	v_cmp_eq_u32_e32 vcc, 4, v53
	v_cndmask_b32_e32 v56, v56, v18, vcc
	v_cmp_eq_u32_e32 vcc, 5, v53
	v_cndmask_b32_e32 v56, v56, v19, vcc
	;; [unrolled: 2-line block ×3, first 2 shown]
	v_cmp_eq_u32_e32 vcc, 7, v53
	ds_read_b32 v57, v54
	v_cndmask_b32_e32 v56, v56, v21, vcc
	v_cmp_eq_u32_e32 vcc, 8, v53
	v_cndmask_b32_e32 v56, v56, v22, vcc
	v_cmp_eq_u32_e32 vcc, 9, v53
	;; [unrolled: 2-line block ×4, first 2 shown]
	v_add_co_u32_e64 v53, s[0:1], 1, v53
	v_cndmask_b32_e32 v56, v56, v25, vcc
	v_add_u32_e32 v54, 4, v54
	v_addc_co_u32_e64 v55, s[0:1], 0, v55, s[0:1]
	s_waitcnt lgkmcnt(0)
	v_fmac_f32_e32 v51, v56, v57
	s_andn2_b64 exec, exec, s[10:11]
	s_cbranch_execnz .LBB75_141
; %bb.142:
	s_or_b64 exec, exec, s[10:11]
.LBB75_143:
	s_or_b64 exec, exec, s[8:9]
.LBB75_144:
	s_or_b64 exec, exec, s[6:7]
	v_mov_b32_e32 v15, 0
	ds_read_b32 v15, v15 offset:4
	s_waitcnt lgkmcnt(0)
	v_mul_f32_e32 v15, v51, v15
.LBB75_145:
	s_or_b64 exec, exec, s[4:5]
	v_cmp_ne_u32_e32 vcc, 0, v0
	ds_write_b32 v50, v14
	s_waitcnt lgkmcnt(0)
	; wave barrier
	s_and_saveexec_b64 s[4:5], vcc
	s_cbranch_execz .LBB75_161
; %bb.146:
	s_andn2_b64 vcc, exec, s[26:27]
	s_cbranch_vccnz .LBB75_148
; %bb.147:
	v_cmp_eq_u32_e32 vcc, 1, v0
	v_cndmask_b32_e32 v51, v14, v15, vcc
	v_cmp_eq_u32_e32 vcc, 2, v0
	v_cndmask_b32_e32 v51, v51, v16, vcc
	;; [unrolled: 2-line block ×7, first 2 shown]
	v_cmp_eq_u32_e32 vcc, 8, v0
	ds_read_b32 v52, v50
	v_cndmask_b32_e32 v51, v51, v22, vcc
	v_cmp_eq_u32_e32 vcc, 9, v0
	v_cndmask_b32_e32 v51, v51, v23, vcc
	v_cmp_eq_u32_e32 vcc, 10, v0
	;; [unrolled: 2-line block ×3, first 2 shown]
	v_cndmask_b32_e32 v51, v51, v25, vcc
	s_waitcnt lgkmcnt(0)
	v_mul_f32_e32 v51, v51, v52
	s_cbranch_execz .LBB75_149
	s_branch .LBB75_150
.LBB75_148:
                                        ; implicit-def: $vgpr51
.LBB75_149:
	ds_read_b32 v51, v50
.LBB75_150:
	s_and_saveexec_b64 s[6:7], s[2:3]
	s_cbranch_execz .LBB75_160
; %bb.151:
	v_add_u32_e32 v53, -2, v0
	v_add_u32_e32 v52, -1, v0
	v_cmp_lt_u32_e32 vcc, 6, v53
	v_mov_b32_e32 v53, 1
	s_and_saveexec_b64 s[0:1], vcc
	s_cbranch_execz .LBB75_155
; %bb.152:
	v_and_b32_e32 v53, -8, v52
	v_sub_u32_e32 v54, 0, v53
	s_mov_b64 s[2:3], 8
	s_mov_b32 s10, 52
	s_mov_b64 s[8:9], 0
.LBB75_153:                             ; =>This Inner Loop Header: Depth=1
	s_add_i32 s11, s2, -7
	v_mov_b32_e32 v57, s10
	s_set_gpr_idx_on s11, gpr_idx(SRC0)
	v_mov_b32_e32 v53, v14
	s_set_gpr_idx_off
	ds_read2_b32 v[55:56], v57 offset1:1
	s_add_i32 s11, s2, -6
	s_waitcnt lgkmcnt(0)
	v_fmac_f32_e32 v51, v53, v55
	s_set_gpr_idx_on s11, gpr_idx(SRC0)
	v_mov_b32_e32 v53, v14
	s_set_gpr_idx_off
	s_add_i32 s11, s2, -5
	v_fmac_f32_e32 v51, v53, v56
	s_set_gpr_idx_on s11, gpr_idx(SRC0)
	v_mov_b32_e32 v53, v14
	s_set_gpr_idx_off
	ds_read2_b32 v[55:56], v57 offset0:2 offset1:3
	s_add_i32 s11, s2, -4
	s_waitcnt lgkmcnt(0)
	v_fmac_f32_e32 v51, v53, v55
	s_set_gpr_idx_on s11, gpr_idx(SRC0)
	v_mov_b32_e32 v53, v14
	s_set_gpr_idx_off
	s_add_i32 s11, s2, -3
	v_fmac_f32_e32 v51, v53, v56
	s_set_gpr_idx_on s11, gpr_idx(SRC0)
	v_mov_b32_e32 v53, v14
	s_set_gpr_idx_off
	ds_read2_b32 v[55:56], v57 offset0:4 offset1:5
	s_add_i32 s11, s2, -2
	s_waitcnt lgkmcnt(0)
	v_fmac_f32_e32 v51, v53, v55
	s_set_gpr_idx_on s11, gpr_idx(SRC0)
	v_mov_b32_e32 v53, v14
	s_set_gpr_idx_off
	s_add_i32 s11, s2, -1
	v_fmac_f32_e32 v51, v53, v56
	s_set_gpr_idx_on s11, gpr_idx(SRC0)
	v_mov_b32_e32 v53, v14
	s_set_gpr_idx_off
	ds_read2_b32 v[55:56], v57 offset0:6 offset1:7
	s_waitcnt lgkmcnt(0)
	v_fmac_f32_e32 v51, v53, v55
	s_set_gpr_idx_on s2, gpr_idx(SRC0)
	v_mov_b32_e32 v53, v14
	s_set_gpr_idx_off
	s_add_u32 s2, s2, 8
	v_fmac_f32_e32 v51, v53, v56
	v_add_u32_e32 v53, s2, v54
	s_addc_u32 s3, s3, 0
	s_add_i32 s10, s10, 32
	v_cmp_eq_u32_e32 vcc, 8, v53
	s_add_i32 s11, s2, -7
	s_or_b64 s[8:9], vcc, s[8:9]
	v_mov_b32_e32 v53, s11
	s_andn2_b64 exec, exec, s[8:9]
	s_cbranch_execnz .LBB75_153
; %bb.154:
	s_or_b64 exec, exec, s[8:9]
.LBB75_155:
	s_or_b64 exec, exec, s[0:1]
	v_and_b32_e32 v52, 7, v52
	v_cmp_ne_u32_e32 vcc, 0, v52
	s_and_saveexec_b64 s[2:3], vcc
	s_cbranch_execz .LBB75_159
; %bb.156:
	v_lshl_add_u32 v54, v53, 2, 48
	v_mov_b32_e32 v55, 0
	s_mov_b64 s[8:9], 0
.LBB75_157:                             ; =>This Inner Loop Header: Depth=1
	v_cmp_eq_u32_e32 vcc, 1, v53
	v_cndmask_b32_e32 v56, v14, v15, vcc
	v_add_u32_e32 v52, -1, v52
	v_cmp_eq_u32_e32 vcc, 2, v53
	v_cndmask_b32_e32 v56, v56, v16, vcc
	v_cmp_eq_u32_e32 vcc, 0, v52
	v_cmp_eq_u32_e64 s[0:1], 3, v53
	v_cndmask_b32_e64 v56, v56, v17, s[0:1]
	s_or_b64 s[8:9], vcc, s[8:9]
	v_cmp_eq_u32_e32 vcc, 4, v53
	v_cndmask_b32_e32 v56, v56, v18, vcc
	v_cmp_eq_u32_e32 vcc, 5, v53
	v_cndmask_b32_e32 v56, v56, v19, vcc
	;; [unrolled: 2-line block ×3, first 2 shown]
	v_cmp_eq_u32_e32 vcc, 7, v53
	ds_read_b32 v57, v54
	v_cndmask_b32_e32 v56, v56, v21, vcc
	v_cmp_eq_u32_e32 vcc, 8, v53
	v_cndmask_b32_e32 v56, v56, v22, vcc
	v_cmp_eq_u32_e32 vcc, 9, v53
	;; [unrolled: 2-line block ×4, first 2 shown]
	v_add_co_u32_e64 v53, s[0:1], 1, v53
	v_cndmask_b32_e32 v56, v56, v25, vcc
	v_add_u32_e32 v54, 4, v54
	v_addc_co_u32_e64 v55, s[0:1], 0, v55, s[0:1]
	s_waitcnt lgkmcnt(0)
	v_fmac_f32_e32 v51, v56, v57
	s_andn2_b64 exec, exec, s[8:9]
	s_cbranch_execnz .LBB75_157
; %bb.158:
	s_or_b64 exec, exec, s[8:9]
.LBB75_159:
	s_or_b64 exec, exec, s[2:3]
.LBB75_160:
	s_or_b64 exec, exec, s[6:7]
	v_mov_b32_e32 v14, 0
	ds_read_b32 v14, v14
	s_waitcnt lgkmcnt(0)
	v_mul_f32_e32 v14, v51, v14
.LBB75_161:
	s_or_b64 exec, exec, s[4:5]
	s_branch .LBB75_275
.LBB75_162:
	v_cmp_eq_u32_e64 s[2:3], 0, v0
	s_waitcnt vmcnt(0) lgkmcnt(0)
	ds_write_b32 v50, v3
	s_waitcnt lgkmcnt(0)
	; wave barrier
	s_and_saveexec_b64 s[0:1], s[2:3]
	s_cbranch_execz .LBB75_168
; %bb.163:
	s_and_b64 vcc, exec, s[26:27]
	s_cbranch_vccz .LBB75_165
; %bb.164:
	v_cmp_eq_u32_e32 vcc, 1, v0
	v_cndmask_b32_e32 v3, v2, v3, vcc
	v_cmp_eq_u32_e32 vcc, 2, v0
	v_cndmask_b32_e32 v3, v3, v4, vcc
	v_cmp_eq_u32_e32 vcc, 3, v0
	v_cndmask_b32_e32 v3, v3, v5, vcc
	v_cmp_eq_u32_e32 vcc, 4, v0
	v_cndmask_b32_e32 v3, v3, v6, vcc
	v_cmp_eq_u32_e32 vcc, 5, v0
	v_cndmask_b32_e32 v3, v3, v7, vcc
	v_cmp_eq_u32_e32 vcc, 6, v0
	v_cndmask_b32_e32 v3, v3, v8, vcc
	v_cmp_eq_u32_e32 vcc, 7, v0
	v_cndmask_b32_e32 v3, v3, v9, vcc
	v_cmp_eq_u32_e32 vcc, 8, v0
	ds_read_b32 v14, v50
	v_cndmask_b32_e32 v3, v3, v10, vcc
	v_cmp_eq_u32_e32 vcc, 9, v0
	v_cndmask_b32_e32 v3, v3, v11, vcc
	v_cmp_eq_u32_e32 vcc, 10, v0
	;; [unrolled: 2-line block ×3, first 2 shown]
	v_cndmask_b32_e32 v3, v3, v13, vcc
	s_waitcnt lgkmcnt(0)
	v_mul_f32_e32 v3, v3, v14
	s_cbranch_execz .LBB75_166
	s_branch .LBB75_167
.LBB75_165:
                                        ; implicit-def: $vgpr3
.LBB75_166:
	ds_read_b32 v3, v50
.LBB75_167:
	v_mov_b32_e32 v14, 0
	ds_read_b32 v14, v14 offset:4
	s_waitcnt lgkmcnt(0)
	v_mul_f32_e32 v3, v3, v14
.LBB75_168:
	s_or_b64 exec, exec, s[0:1]
	v_cndmask_b32_e64 v14, 0, 1, s[26:27]
	v_cmp_gt_u32_e32 vcc, 2, v0
	v_cmp_ne_u32_e64 s[0:1], 1, v14
	ds_write_b32 v50, v4
	s_waitcnt lgkmcnt(0)
	; wave barrier
	s_and_saveexec_b64 s[4:5], vcc
	s_cbranch_execz .LBB75_174
; %bb.169:
	s_and_b64 vcc, exec, s[0:1]
	s_cbranch_vccnz .LBB75_171
; %bb.170:
	v_cmp_eq_u32_e32 vcc, 1, v0
	v_cndmask_b32_e32 v14, v2, v3, vcc
	v_cmp_eq_u32_e32 vcc, 2, v0
	v_cndmask_b32_e32 v4, v14, v4, vcc
	;; [unrolled: 2-line block ×7, first 2 shown]
	v_cmp_eq_u32_e32 vcc, 8, v0
	ds_read_b32 v14, v50
	v_cndmask_b32_e32 v4, v4, v10, vcc
	v_cmp_eq_u32_e32 vcc, 9, v0
	v_cndmask_b32_e32 v4, v4, v11, vcc
	v_cmp_eq_u32_e32 vcc, 10, v0
	;; [unrolled: 2-line block ×3, first 2 shown]
	v_cndmask_b32_e32 v4, v4, v13, vcc
	s_waitcnt lgkmcnt(0)
	v_mul_f32_e32 v4, v4, v14
	s_cbranch_execz .LBB75_172
	s_branch .LBB75_173
.LBB75_171:
                                        ; implicit-def: $vgpr4
.LBB75_172:
	ds_read_b32 v4, v50
.LBB75_173:
	v_mov_b32_e32 v14, 0
	ds_read2_b32 v[14:15], v14 offset0:2 offset1:13
	s_waitcnt lgkmcnt(0)
	v_fma_f32 v15, v3, v15, v4
	v_cndmask_b32_e64 v4, v4, v15, s[2:3]
	v_mul_f32_e32 v4, v4, v14
.LBB75_174:
	s_or_b64 exec, exec, s[4:5]
	v_add_u32_e32 v16, 1, v0
	v_cmp_gt_u32_e64 s[4:5], 3, v0
	ds_write_b32 v50, v5
	s_waitcnt lgkmcnt(0)
	; wave barrier
	s_and_saveexec_b64 s[6:7], s[4:5]
	s_cbranch_execz .LBB75_182
; %bb.175:
	s_and_b64 vcc, exec, s[0:1]
	s_cbranch_vccnz .LBB75_177
; %bb.176:
	v_cmp_eq_u32_e32 vcc, 1, v0
	v_cndmask_b32_e32 v14, v2, v3, vcc
	v_cmp_eq_u32_e32 vcc, 2, v0
	v_cndmask_b32_e32 v14, v14, v4, vcc
	;; [unrolled: 2-line block ×7, first 2 shown]
	v_cmp_eq_u32_e32 vcc, 8, v0
	ds_read_b32 v15, v50
	v_cndmask_b32_e32 v14, v14, v10, vcc
	v_cmp_eq_u32_e32 vcc, 9, v0
	v_cndmask_b32_e32 v14, v14, v11, vcc
	v_cmp_eq_u32_e32 vcc, 10, v0
	;; [unrolled: 2-line block ×3, first 2 shown]
	v_cndmask_b32_e32 v14, v14, v13, vcc
	s_waitcnt lgkmcnt(0)
	v_mul_f32_e32 v14, v14, v15
	s_cbranch_execz .LBB75_178
	s_branch .LBB75_179
.LBB75_177:
                                        ; implicit-def: $vgpr14
.LBB75_178:
	ds_read_b32 v14, v50
.LBB75_179:
	v_cmp_ne_u32_e32 vcc, 2, v0
	s_and_saveexec_b64 s[8:9], vcc
	s_cbranch_execz .LBB75_181
; %bb.180:
	v_cmp_eq_u32_e32 vcc, 1, v16
	v_cndmask_b32_e32 v15, v2, v3, vcc
	v_cmp_eq_u32_e32 vcc, 2, v16
	v_cndmask_b32_e32 v15, v15, v4, vcc
	;; [unrolled: 2-line block ×7, first 2 shown]
	v_cmp_eq_u32_e32 vcc, 8, v16
	v_mov_b32_e32 v15, 0
	v_cndmask_b32_e32 v5, v5, v10, vcc
	v_cmp_eq_u32_e32 vcc, 9, v16
	ds_read_b32 v17, v50 offset:4
	ds_read_b32 v15, v15 offset:56
	v_cndmask_b32_e32 v5, v5, v11, vcc
	v_cmp_eq_u32_e32 vcc, 10, v16
	v_cndmask_b32_e32 v5, v5, v12, vcc
	v_cmp_eq_u32_e32 vcc, 11, v16
	v_cndmask_b32_e32 v5, v5, v13, vcc
	s_waitcnt lgkmcnt(1)
	v_fmac_f32_e32 v14, v5, v17
	s_waitcnt lgkmcnt(0)
	v_fma_f32 v5, v4, v15, v14
	v_cndmask_b32_e64 v14, v14, v5, s[2:3]
.LBB75_181:
	s_or_b64 exec, exec, s[8:9]
	v_mov_b32_e32 v5, 0
	ds_read_b32 v5, v5 offset:12
	s_waitcnt lgkmcnt(0)
	v_mul_f32_e32 v5, v14, v5
.LBB75_182:
	s_or_b64 exec, exec, s[6:7]
	v_cmp_gt_u32_e32 vcc, 4, v0
	ds_write_b32 v50, v6
	s_waitcnt lgkmcnt(0)
	; wave barrier
	s_and_saveexec_b64 s[8:9], vcc
	s_cbranch_execz .LBB75_192
; %bb.183:
	s_and_b64 vcc, exec, s[0:1]
	s_cbranch_vccnz .LBB75_185
; %bb.184:
	v_cmp_eq_u32_e32 vcc, 1, v0
	v_cndmask_b32_e32 v14, v2, v3, vcc
	v_cmp_eq_u32_e32 vcc, 2, v0
	v_cndmask_b32_e32 v14, v14, v4, vcc
	;; [unrolled: 2-line block ×7, first 2 shown]
	v_cmp_eq_u32_e32 vcc, 8, v0
	ds_read_b32 v15, v50
	v_cndmask_b32_e32 v14, v14, v10, vcc
	v_cmp_eq_u32_e32 vcc, 9, v0
	v_cndmask_b32_e32 v14, v14, v11, vcc
	v_cmp_eq_u32_e32 vcc, 10, v0
	;; [unrolled: 2-line block ×3, first 2 shown]
	v_cndmask_b32_e32 v14, v14, v13, vcc
	s_waitcnt lgkmcnt(0)
	v_mul_f32_e32 v17, v14, v15
	s_cbranch_execz .LBB75_186
	s_branch .LBB75_187
.LBB75_185:
                                        ; implicit-def: $vgpr17
.LBB75_186:
	ds_read_b32 v17, v50
.LBB75_187:
	v_cmp_ne_u32_e32 vcc, 3, v0
	s_and_saveexec_b64 s[10:11], vcc
	s_cbranch_execz .LBB75_191
; %bb.188:
	v_mov_b32_e32 v15, v1
	v_lshl_add_u32 v18, v0, 2, 52
	s_mov_b64 s[12:13], 0
	v_mov_b32_e32 v14, v0
.LBB75_189:                             ; =>This Inner Loop Header: Depth=1
	v_add_co_u32_e32 v14, vcc, 1, v14
	v_addc_co_u32_e32 v15, vcc, 0, v15, vcc
	v_cmp_eq_u32_e32 vcc, 1, v14
	v_cndmask_b32_e32 v20, v2, v3, vcc
	v_cmp_lt_u32_e32 vcc, 2, v14
	v_cmp_eq_u32_e64 s[6:7], 2, v14
	v_cndmask_b32_e64 v20, v20, v4, s[6:7]
	s_or_b64 s[12:13], vcc, s[12:13]
	v_cmp_eq_u32_e32 vcc, 3, v14
	v_cndmask_b32_e32 v20, v20, v5, vcc
	v_cmp_eq_u32_e32 vcc, 4, v14
	v_cndmask_b32_e32 v20, v20, v6, vcc
	v_cmp_eq_u32_e32 vcc, 5, v14
	v_cndmask_b32_e32 v20, v20, v7, vcc
	v_cmp_eq_u32_e32 vcc, 6, v14
	v_cndmask_b32_e32 v20, v20, v8, vcc
	v_cmp_eq_u32_e32 vcc, 7, v14
	ds_read_b32 v19, v18
	v_cndmask_b32_e32 v20, v20, v9, vcc
	v_cmp_eq_u32_e32 vcc, 8, v14
	v_cndmask_b32_e32 v20, v20, v10, vcc
	v_cmp_eq_u32_e32 vcc, 9, v14
	;; [unrolled: 2-line block ×4, first 2 shown]
	v_cndmask_b32_e32 v20, v20, v13, vcc
	v_add_u32_e32 v18, 4, v18
	s_waitcnt lgkmcnt(0)
	v_fmac_f32_e32 v17, v20, v19
	s_andn2_b64 exec, exec, s[12:13]
	s_cbranch_execnz .LBB75_189
; %bb.190:
	s_or_b64 exec, exec, s[12:13]
.LBB75_191:
	s_or_b64 exec, exec, s[10:11]
	v_mov_b32_e32 v6, 0
	ds_read_b32 v6, v6 offset:16
	s_waitcnt lgkmcnt(0)
	v_mul_f32_e32 v6, v17, v6
.LBB75_192:
	s_or_b64 exec, exec, s[8:9]
	v_cmp_gt_u32_e64 s[6:7], 5, v0
	ds_write_b32 v50, v7
	s_waitcnt lgkmcnt(0)
	; wave barrier
	s_and_saveexec_b64 s[10:11], s[6:7]
	s_cbranch_execz .LBB75_202
; %bb.193:
	s_and_b64 vcc, exec, s[0:1]
	s_cbranch_vccnz .LBB75_195
; %bb.194:
	v_cmp_eq_u32_e32 vcc, 1, v0
	v_cndmask_b32_e32 v14, v2, v3, vcc
	v_cmp_eq_u32_e32 vcc, 2, v0
	v_cndmask_b32_e32 v14, v14, v4, vcc
	v_cmp_eq_u32_e32 vcc, 3, v0
	v_cndmask_b32_e32 v14, v14, v5, vcc
	v_cmp_eq_u32_e32 vcc, 4, v0
	v_cndmask_b32_e32 v14, v14, v6, vcc
	v_cmp_eq_u32_e32 vcc, 5, v0
	v_cndmask_b32_e32 v14, v14, v7, vcc
	v_cmp_eq_u32_e32 vcc, 6, v0
	v_cndmask_b32_e32 v14, v14, v8, vcc
	v_cmp_eq_u32_e32 vcc, 7, v0
	v_cndmask_b32_e32 v14, v14, v9, vcc
	v_cmp_eq_u32_e32 vcc, 8, v0
	ds_read_b32 v15, v50
	v_cndmask_b32_e32 v14, v14, v10, vcc
	v_cmp_eq_u32_e32 vcc, 9, v0
	v_cndmask_b32_e32 v14, v14, v11, vcc
	v_cmp_eq_u32_e32 vcc, 10, v0
	;; [unrolled: 2-line block ×3, first 2 shown]
	v_cndmask_b32_e32 v14, v14, v13, vcc
	s_waitcnt lgkmcnt(0)
	v_mul_f32_e32 v17, v14, v15
	s_cbranch_execz .LBB75_196
	s_branch .LBB75_197
.LBB75_195:
                                        ; implicit-def: $vgpr17
.LBB75_196:
	ds_read_b32 v17, v50
.LBB75_197:
	v_cmp_ne_u32_e32 vcc, 4, v0
	s_and_saveexec_b64 s[12:13], vcc
	s_cbranch_execz .LBB75_201
; %bb.198:
	v_mov_b32_e32 v15, v1
	v_lshl_add_u32 v18, v0, 2, 52
	s_mov_b64 s[14:15], 0
	v_mov_b32_e32 v14, v0
.LBB75_199:                             ; =>This Inner Loop Header: Depth=1
	v_add_co_u32_e32 v14, vcc, 1, v14
	v_addc_co_u32_e32 v15, vcc, 0, v15, vcc
	v_cmp_eq_u32_e32 vcc, 1, v14
	v_cndmask_b32_e32 v20, v2, v3, vcc
	v_cmp_lt_u32_e32 vcc, 3, v14
	v_cmp_eq_u32_e64 s[8:9], 2, v14
	v_cndmask_b32_e64 v20, v20, v4, s[8:9]
	s_or_b64 s[14:15], vcc, s[14:15]
	v_cmp_eq_u32_e32 vcc, 3, v14
	v_cndmask_b32_e32 v20, v20, v5, vcc
	v_cmp_eq_u32_e32 vcc, 4, v14
	v_cndmask_b32_e32 v20, v20, v6, vcc
	;; [unrolled: 2-line block ×4, first 2 shown]
	v_cmp_eq_u32_e32 vcc, 7, v14
	ds_read_b32 v19, v18
	v_cndmask_b32_e32 v20, v20, v9, vcc
	v_cmp_eq_u32_e32 vcc, 8, v14
	v_cndmask_b32_e32 v20, v20, v10, vcc
	v_cmp_eq_u32_e32 vcc, 9, v14
	;; [unrolled: 2-line block ×4, first 2 shown]
	v_cndmask_b32_e32 v20, v20, v13, vcc
	v_add_u32_e32 v18, 4, v18
	s_waitcnt lgkmcnt(0)
	v_fmac_f32_e32 v17, v20, v19
	s_andn2_b64 exec, exec, s[14:15]
	s_cbranch_execnz .LBB75_199
; %bb.200:
	s_or_b64 exec, exec, s[14:15]
.LBB75_201:
	s_or_b64 exec, exec, s[12:13]
	v_mov_b32_e32 v7, 0
	ds_read_b32 v7, v7 offset:20
	s_waitcnt lgkmcnt(0)
	v_mul_f32_e32 v7, v17, v7
.LBB75_202:
	s_or_b64 exec, exec, s[10:11]
	v_cmp_gt_u32_e32 vcc, 6, v0
	ds_write_b32 v50, v8
	s_waitcnt lgkmcnt(0)
	; wave barrier
	s_and_saveexec_b64 s[10:11], vcc
	s_cbranch_execz .LBB75_212
; %bb.203:
	s_and_b64 vcc, exec, s[0:1]
	s_cbranch_vccnz .LBB75_205
; %bb.204:
	v_cmp_eq_u32_e32 vcc, 1, v0
	v_cndmask_b32_e32 v14, v2, v3, vcc
	v_cmp_eq_u32_e32 vcc, 2, v0
	v_cndmask_b32_e32 v14, v14, v4, vcc
	;; [unrolled: 2-line block ×7, first 2 shown]
	v_cmp_eq_u32_e32 vcc, 8, v0
	ds_read_b32 v15, v50
	v_cndmask_b32_e32 v14, v14, v10, vcc
	v_cmp_eq_u32_e32 vcc, 9, v0
	v_cndmask_b32_e32 v14, v14, v11, vcc
	v_cmp_eq_u32_e32 vcc, 10, v0
	;; [unrolled: 2-line block ×3, first 2 shown]
	v_cndmask_b32_e32 v14, v14, v13, vcc
	s_waitcnt lgkmcnt(0)
	v_mul_f32_e32 v17, v14, v15
	s_cbranch_execz .LBB75_206
	s_branch .LBB75_207
.LBB75_205:
                                        ; implicit-def: $vgpr17
.LBB75_206:
	ds_read_b32 v17, v50
.LBB75_207:
	v_cmp_ne_u32_e32 vcc, 5, v0
	s_and_saveexec_b64 s[12:13], vcc
	s_cbranch_execz .LBB75_211
; %bb.208:
	v_mov_b32_e32 v15, v1
	v_lshl_add_u32 v18, v0, 2, 52
	s_mov_b64 s[14:15], 0
	v_mov_b32_e32 v14, v0
.LBB75_209:                             ; =>This Inner Loop Header: Depth=1
	v_add_co_u32_e32 v14, vcc, 1, v14
	v_addc_co_u32_e32 v15, vcc, 0, v15, vcc
	v_cmp_eq_u32_e32 vcc, 1, v14
	v_cndmask_b32_e32 v20, v2, v3, vcc
	v_cmp_lt_u32_e32 vcc, 4, v14
	v_cmp_eq_u32_e64 s[8:9], 2, v14
	v_cndmask_b32_e64 v20, v20, v4, s[8:9]
	s_or_b64 s[14:15], vcc, s[14:15]
	v_cmp_eq_u32_e32 vcc, 3, v14
	v_cndmask_b32_e32 v20, v20, v5, vcc
	v_cmp_eq_u32_e32 vcc, 4, v14
	v_cndmask_b32_e32 v20, v20, v6, vcc
	;; [unrolled: 2-line block ×4, first 2 shown]
	v_cmp_eq_u32_e32 vcc, 7, v14
	ds_read_b32 v19, v18
	v_cndmask_b32_e32 v20, v20, v9, vcc
	v_cmp_eq_u32_e32 vcc, 8, v14
	v_cndmask_b32_e32 v20, v20, v10, vcc
	v_cmp_eq_u32_e32 vcc, 9, v14
	;; [unrolled: 2-line block ×4, first 2 shown]
	v_cndmask_b32_e32 v20, v20, v13, vcc
	v_add_u32_e32 v18, 4, v18
	s_waitcnt lgkmcnt(0)
	v_fmac_f32_e32 v17, v20, v19
	s_andn2_b64 exec, exec, s[14:15]
	s_cbranch_execnz .LBB75_209
; %bb.210:
	s_or_b64 exec, exec, s[14:15]
.LBB75_211:
	s_or_b64 exec, exec, s[12:13]
	v_mov_b32_e32 v8, 0
	ds_read_b32 v8, v8 offset:24
	s_waitcnt lgkmcnt(0)
	v_mul_f32_e32 v8, v17, v8
.LBB75_212:
	s_or_b64 exec, exec, s[10:11]
	v_cmp_gt_u32_e64 s[8:9], 7, v0
	ds_write_b32 v50, v9
	s_waitcnt lgkmcnt(0)
	; wave barrier
	s_and_saveexec_b64 s[12:13], s[8:9]
	s_cbranch_execz .LBB75_222
; %bb.213:
	s_and_b64 vcc, exec, s[0:1]
	s_cbranch_vccnz .LBB75_215
; %bb.214:
	v_cmp_eq_u32_e32 vcc, 1, v0
	v_cndmask_b32_e32 v14, v2, v3, vcc
	v_cmp_eq_u32_e32 vcc, 2, v0
	v_cndmask_b32_e32 v14, v14, v4, vcc
	;; [unrolled: 2-line block ×7, first 2 shown]
	v_cmp_eq_u32_e32 vcc, 8, v0
	ds_read_b32 v15, v50
	v_cndmask_b32_e32 v14, v14, v10, vcc
	v_cmp_eq_u32_e32 vcc, 9, v0
	v_cndmask_b32_e32 v14, v14, v11, vcc
	v_cmp_eq_u32_e32 vcc, 10, v0
	;; [unrolled: 2-line block ×3, first 2 shown]
	v_cndmask_b32_e32 v14, v14, v13, vcc
	s_waitcnt lgkmcnt(0)
	v_mul_f32_e32 v17, v14, v15
	s_cbranch_execz .LBB75_216
	s_branch .LBB75_217
.LBB75_215:
                                        ; implicit-def: $vgpr17
.LBB75_216:
	ds_read_b32 v17, v50
.LBB75_217:
	v_cmp_ne_u32_e32 vcc, 6, v0
	s_and_saveexec_b64 s[14:15], vcc
	s_cbranch_execz .LBB75_221
; %bb.218:
	v_mov_b32_e32 v15, v1
	v_lshl_add_u32 v18, v0, 2, 52
	s_mov_b64 s[16:17], 0
	v_mov_b32_e32 v14, v0
.LBB75_219:                             ; =>This Inner Loop Header: Depth=1
	v_add_co_u32_e32 v14, vcc, 1, v14
	v_addc_co_u32_e32 v15, vcc, 0, v15, vcc
	v_cmp_eq_u32_e32 vcc, 1, v14
	v_cndmask_b32_e32 v20, v2, v3, vcc
	v_cmp_lt_u32_e32 vcc, 5, v14
	v_cmp_eq_u32_e64 s[10:11], 2, v14
	v_cndmask_b32_e64 v20, v20, v4, s[10:11]
	s_or_b64 s[16:17], vcc, s[16:17]
	v_cmp_eq_u32_e32 vcc, 3, v14
	v_cndmask_b32_e32 v20, v20, v5, vcc
	v_cmp_eq_u32_e32 vcc, 4, v14
	v_cndmask_b32_e32 v20, v20, v6, vcc
	;; [unrolled: 2-line block ×4, first 2 shown]
	v_cmp_eq_u32_e32 vcc, 7, v14
	ds_read_b32 v19, v18
	v_cndmask_b32_e32 v20, v20, v9, vcc
	v_cmp_eq_u32_e32 vcc, 8, v14
	v_cndmask_b32_e32 v20, v20, v10, vcc
	v_cmp_eq_u32_e32 vcc, 9, v14
	;; [unrolled: 2-line block ×4, first 2 shown]
	v_cndmask_b32_e32 v20, v20, v13, vcc
	v_add_u32_e32 v18, 4, v18
	s_waitcnt lgkmcnt(0)
	v_fmac_f32_e32 v17, v20, v19
	s_andn2_b64 exec, exec, s[16:17]
	s_cbranch_execnz .LBB75_219
; %bb.220:
	s_or_b64 exec, exec, s[16:17]
.LBB75_221:
	s_or_b64 exec, exec, s[14:15]
	v_mov_b32_e32 v9, 0
	ds_read_b32 v9, v9 offset:28
	s_waitcnt lgkmcnt(0)
	v_mul_f32_e32 v9, v17, v9
.LBB75_222:
	s_or_b64 exec, exec, s[12:13]
	v_cmp_gt_u32_e32 vcc, 8, v0
	ds_write_b32 v50, v10
	s_waitcnt lgkmcnt(0)
	; wave barrier
	s_and_saveexec_b64 s[12:13], vcc
	s_cbranch_execz .LBB75_232
; %bb.223:
	s_and_b64 vcc, exec, s[0:1]
	s_cbranch_vccnz .LBB75_225
; %bb.224:
	v_cmp_eq_u32_e32 vcc, 1, v0
	v_cndmask_b32_e32 v14, v2, v3, vcc
	v_cmp_eq_u32_e32 vcc, 2, v0
	v_cndmask_b32_e32 v14, v14, v4, vcc
	;; [unrolled: 2-line block ×7, first 2 shown]
	v_cmp_eq_u32_e32 vcc, 8, v0
	ds_read_b32 v15, v50
	v_cndmask_b32_e32 v14, v14, v10, vcc
	v_cmp_eq_u32_e32 vcc, 9, v0
	v_cndmask_b32_e32 v14, v14, v11, vcc
	v_cmp_eq_u32_e32 vcc, 10, v0
	v_cndmask_b32_e32 v14, v14, v12, vcc
	v_cmp_eq_u32_e32 vcc, 11, v0
	v_cndmask_b32_e32 v14, v14, v13, vcc
	s_waitcnt lgkmcnt(0)
	v_mul_f32_e32 v17, v14, v15
	s_cbranch_execz .LBB75_226
	s_branch .LBB75_227
.LBB75_225:
                                        ; implicit-def: $vgpr17
.LBB75_226:
	ds_read_b32 v17, v50
.LBB75_227:
	v_cmp_ne_u32_e32 vcc, 7, v0
	s_and_saveexec_b64 s[14:15], vcc
	s_cbranch_execz .LBB75_231
; %bb.228:
	v_mov_b32_e32 v15, v1
	v_lshl_add_u32 v18, v0, 2, 52
	s_mov_b64 s[16:17], 0
	v_mov_b32_e32 v14, v0
.LBB75_229:                             ; =>This Inner Loop Header: Depth=1
	v_add_co_u32_e32 v14, vcc, 1, v14
	v_addc_co_u32_e32 v15, vcc, 0, v15, vcc
	v_cmp_eq_u32_e32 vcc, 1, v14
	v_cndmask_b32_e32 v20, v2, v3, vcc
	v_cmp_lt_u32_e32 vcc, 6, v14
	v_cmp_eq_u32_e64 s[10:11], 2, v14
	v_cndmask_b32_e64 v20, v20, v4, s[10:11]
	s_or_b64 s[16:17], vcc, s[16:17]
	v_cmp_eq_u32_e32 vcc, 3, v14
	v_cndmask_b32_e32 v20, v20, v5, vcc
	v_cmp_eq_u32_e32 vcc, 4, v14
	v_cndmask_b32_e32 v20, v20, v6, vcc
	;; [unrolled: 2-line block ×4, first 2 shown]
	v_cmp_eq_u32_e32 vcc, 7, v14
	ds_read_b32 v19, v18
	v_cndmask_b32_e32 v20, v20, v9, vcc
	v_cmp_eq_u32_e32 vcc, 8, v14
	v_cndmask_b32_e32 v20, v20, v10, vcc
	v_cmp_eq_u32_e32 vcc, 9, v14
	;; [unrolled: 2-line block ×4, first 2 shown]
	v_cndmask_b32_e32 v20, v20, v13, vcc
	v_add_u32_e32 v18, 4, v18
	s_waitcnt lgkmcnt(0)
	v_fmac_f32_e32 v17, v20, v19
	s_andn2_b64 exec, exec, s[16:17]
	s_cbranch_execnz .LBB75_229
; %bb.230:
	s_or_b64 exec, exec, s[16:17]
.LBB75_231:
	s_or_b64 exec, exec, s[14:15]
	v_mov_b32_e32 v10, 0
	ds_read_b32 v10, v10 offset:32
	s_waitcnt lgkmcnt(0)
	v_mul_f32_e32 v10, v17, v10
.LBB75_232:
	s_or_b64 exec, exec, s[12:13]
	v_cmp_gt_u32_e32 vcc, 9, v0
	ds_write_b32 v50, v11
	s_waitcnt lgkmcnt(0)
	; wave barrier
	s_and_saveexec_b64 s[10:11], vcc
	s_cbranch_execz .LBB75_254
; %bb.233:
	s_and_b64 vcc, exec, s[0:1]
	s_cbranch_vccnz .LBB75_235
; %bb.234:
	v_cmp_eq_u32_e32 vcc, 1, v0
	v_cndmask_b32_e32 v14, v2, v3, vcc
	v_cmp_eq_u32_e32 vcc, 2, v0
	v_cndmask_b32_e32 v14, v14, v4, vcc
	;; [unrolled: 2-line block ×7, first 2 shown]
	v_cmp_eq_u32_e32 vcc, 8, v0
	ds_read_b32 v15, v50
	v_cndmask_b32_e32 v14, v14, v10, vcc
	v_cmp_eq_u32_e32 vcc, 9, v0
	v_cndmask_b32_e32 v14, v14, v11, vcc
	v_cmp_eq_u32_e32 vcc, 10, v0
	;; [unrolled: 2-line block ×3, first 2 shown]
	v_cndmask_b32_e32 v14, v14, v13, vcc
	s_waitcnt lgkmcnt(0)
	v_mul_f32_e32 v14, v14, v15
	s_cbranch_execz .LBB75_236
	s_branch .LBB75_237
.LBB75_235:
                                        ; implicit-def: $vgpr14
.LBB75_236:
	ds_read_b32 v14, v50
.LBB75_237:
	v_cmp_ne_u32_e32 vcc, 8, v0
	s_and_saveexec_b64 s[12:13], vcc
	s_cbranch_execz .LBB75_253
; %bb.238:
	v_cmp_eq_u32_e32 vcc, 1, v16
	v_cndmask_b32_e32 v15, v2, v3, vcc
	v_cmp_eq_u32_e32 vcc, 2, v16
	v_cndmask_b32_e32 v15, v15, v4, vcc
	v_cmp_eq_u32_e32 vcc, 3, v16
	v_cndmask_b32_e32 v15, v15, v5, vcc
	v_cmp_eq_u32_e32 vcc, 4, v16
	v_cndmask_b32_e32 v15, v15, v6, vcc
	v_cmp_eq_u32_e32 vcc, 5, v16
	v_cndmask_b32_e32 v15, v15, v7, vcc
	v_cmp_eq_u32_e32 vcc, 6, v16
	v_cndmask_b32_e32 v15, v15, v8, vcc
	v_cmp_eq_u32_e32 vcc, 7, v16
	v_cndmask_b32_e32 v15, v15, v9, vcc
	v_cmp_eq_u32_e32 vcc, 8, v16
	ds_read_b32 v17, v50 offset:4
	v_cndmask_b32_e32 v15, v15, v10, vcc
	v_cmp_eq_u32_e32 vcc, 9, v16
	v_cndmask_b32_e32 v15, v15, v11, vcc
	v_cmp_eq_u32_e32 vcc, 10, v16
	v_cndmask_b32_e32 v15, v15, v12, vcc
	v_cmp_eq_u32_e32 vcc, 11, v16
	v_cndmask_b32_e32 v15, v15, v13, vcc
	s_waitcnt lgkmcnt(0)
	v_fmac_f32_e32 v14, v15, v17
	s_and_saveexec_b64 s[14:15], s[8:9]
	s_cbranch_execz .LBB75_252
; %bb.239:
	v_add_u32_e32 v15, 2, v0
	v_cmp_eq_u32_e32 vcc, 1, v15
	v_cndmask_b32_e32 v16, v2, v3, vcc
	v_cmp_eq_u32_e32 vcc, 2, v15
	v_cndmask_b32_e32 v16, v16, v4, vcc
	v_cmp_eq_u32_e32 vcc, 3, v15
	v_cndmask_b32_e32 v16, v16, v5, vcc
	v_cmp_eq_u32_e32 vcc, 4, v15
	v_cndmask_b32_e32 v16, v16, v6, vcc
	v_cmp_eq_u32_e32 vcc, 5, v15
	v_cndmask_b32_e32 v16, v16, v7, vcc
	v_cmp_eq_u32_e32 vcc, 6, v15
	v_cndmask_b32_e32 v16, v16, v8, vcc
	v_cmp_eq_u32_e32 vcc, 7, v15
	v_cndmask_b32_e32 v16, v16, v9, vcc
	v_cmp_eq_u32_e32 vcc, 8, v15
	ds_read_b32 v17, v50 offset:8
	v_cndmask_b32_e32 v16, v16, v10, vcc
	v_cmp_eq_u32_e32 vcc, 9, v15
	v_cndmask_b32_e32 v16, v16, v11, vcc
	v_cmp_eq_u32_e32 vcc, 10, v15
	v_cndmask_b32_e32 v16, v16, v12, vcc
	v_cmp_eq_u32_e32 vcc, 11, v15
	v_cndmask_b32_e32 v15, v16, v13, vcc
	s_waitcnt lgkmcnt(0)
	v_fmac_f32_e32 v14, v15, v17
	v_cmp_ne_u32_e32 vcc, 6, v0
	s_and_saveexec_b64 s[8:9], vcc
	s_cbranch_execz .LBB75_251
; %bb.240:
	v_add_u32_e32 v15, 3, v0
	v_cmp_eq_u32_e32 vcc, 1, v15
	v_cndmask_b32_e32 v16, v2, v3, vcc
	v_cmp_eq_u32_e32 vcc, 2, v15
	v_cndmask_b32_e32 v16, v16, v4, vcc
	v_cmp_eq_u32_e32 vcc, 3, v15
	v_cndmask_b32_e32 v16, v16, v5, vcc
	v_cmp_eq_u32_e32 vcc, 4, v15
	v_cndmask_b32_e32 v16, v16, v6, vcc
	v_cmp_eq_u32_e32 vcc, 5, v15
	v_cndmask_b32_e32 v16, v16, v7, vcc
	v_cmp_eq_u32_e32 vcc, 6, v15
	v_cndmask_b32_e32 v16, v16, v8, vcc
	v_cmp_eq_u32_e32 vcc, 7, v15
	v_cndmask_b32_e32 v16, v16, v9, vcc
	v_cmp_eq_u32_e32 vcc, 8, v15
	ds_read_b32 v17, v50 offset:12
	v_cndmask_b32_e32 v16, v16, v10, vcc
	v_cmp_eq_u32_e32 vcc, 9, v15
	v_cndmask_b32_e32 v16, v16, v11, vcc
	v_cmp_eq_u32_e32 vcc, 10, v15
	v_cndmask_b32_e32 v16, v16, v12, vcc
	v_cmp_eq_u32_e32 vcc, 11, v15
	v_cndmask_b32_e32 v15, v16, v13, vcc
	s_waitcnt lgkmcnt(0)
	v_fmac_f32_e32 v14, v15, v17
	s_and_saveexec_b64 s[16:17], s[6:7]
	s_cbranch_execz .LBB75_250
; %bb.241:
	v_add_u32_e32 v15, 4, v0
	v_cmp_eq_u32_e32 vcc, 1, v15
	v_cndmask_b32_e32 v16, v2, v3, vcc
	v_cmp_eq_u32_e32 vcc, 2, v15
	v_cndmask_b32_e32 v16, v16, v4, vcc
	v_cmp_eq_u32_e32 vcc, 3, v15
	v_cndmask_b32_e32 v16, v16, v5, vcc
	v_cmp_eq_u32_e32 vcc, 4, v15
	v_cndmask_b32_e32 v16, v16, v6, vcc
	v_cmp_eq_u32_e32 vcc, 5, v15
	v_cndmask_b32_e32 v16, v16, v7, vcc
	v_cmp_eq_u32_e32 vcc, 6, v15
	v_cndmask_b32_e32 v16, v16, v8, vcc
	v_cmp_eq_u32_e32 vcc, 7, v15
	v_cndmask_b32_e32 v16, v16, v9, vcc
	v_cmp_eq_u32_e32 vcc, 8, v15
	ds_read_b32 v17, v50 offset:16
	v_cndmask_b32_e32 v16, v16, v10, vcc
	v_cmp_eq_u32_e32 vcc, 9, v15
	v_cndmask_b32_e32 v16, v16, v11, vcc
	v_cmp_eq_u32_e32 vcc, 10, v15
	v_cndmask_b32_e32 v16, v16, v12, vcc
	v_cmp_eq_u32_e32 vcc, 11, v15
	v_cndmask_b32_e32 v15, v16, v13, vcc
	s_waitcnt lgkmcnt(0)
	v_fmac_f32_e32 v14, v15, v17
	v_cmp_ne_u32_e32 vcc, 4, v0
	s_and_saveexec_b64 s[6:7], vcc
	s_cbranch_execz .LBB75_249
; %bb.242:
	v_add_u32_e32 v15, 5, v0
	;; [unrolled: 59-line block ×3, first 2 shown]
	v_cmp_eq_u32_e32 vcc, 1, v15
	v_cndmask_b32_e32 v16, v2, v3, vcc
	v_cmp_eq_u32_e32 vcc, 2, v15
	v_cndmask_b32_e32 v16, v16, v4, vcc
	;; [unrolled: 2-line block ×9, first 2 shown]
	ds_read_b32 v16, v50 offset:28
	v_cmp_eq_u32_e32 vcc, 10, v15
	v_cndmask_b32_e32 v11, v11, v12, vcc
	v_cmp_eq_u32_e32 vcc, 11, v15
	v_cndmask_b32_e32 v11, v11, v13, vcc
	s_waitcnt lgkmcnt(0)
	v_fmac_f32_e32 v14, v11, v16
	s_and_saveexec_b64 s[20:21], s[2:3]
	s_cbranch_execz .LBB75_246
; %bb.245:
	ds_read_b32 v11, v50 offset:32
	s_waitcnt lgkmcnt(0)
	v_fmac_f32_e32 v14, v10, v11
.LBB75_246:
	s_or_b64 exec, exec, s[20:21]
.LBB75_247:
	s_or_b64 exec, exec, s[4:5]
.LBB75_248:
	s_or_b64 exec, exec, s[18:19]
.LBB75_249:
	s_or_b64 exec, exec, s[6:7]
.LBB75_250:
	s_or_b64 exec, exec, s[16:17]
.LBB75_251:
	s_or_b64 exec, exec, s[8:9]
.LBB75_252:
	s_or_b64 exec, exec, s[14:15]
.LBB75_253:
	s_or_b64 exec, exec, s[12:13]
	v_mov_b32_e32 v11, 0
	ds_read_b32 v11, v11 offset:36
	s_waitcnt lgkmcnt(0)
	v_mul_f32_e32 v11, v14, v11
.LBB75_254:
	s_or_b64 exec, exec, s[10:11]
	v_cmp_gt_u32_e64 s[2:3], 10, v0
	ds_write_b32 v50, v12
	s_waitcnt lgkmcnt(0)
	; wave barrier
	s_and_saveexec_b64 s[6:7], s[2:3]
	s_cbranch_execz .LBB75_264
; %bb.255:
	s_and_b64 vcc, exec, s[0:1]
	s_cbranch_vccnz .LBB75_257
; %bb.256:
	v_cmp_eq_u32_e32 vcc, 1, v0
	v_cndmask_b32_e32 v14, v2, v3, vcc
	v_cmp_eq_u32_e32 vcc, 2, v0
	v_cndmask_b32_e32 v14, v14, v4, vcc
	;; [unrolled: 2-line block ×7, first 2 shown]
	v_cmp_eq_u32_e32 vcc, 8, v0
	ds_read_b32 v15, v50
	v_cndmask_b32_e32 v14, v14, v10, vcc
	v_cmp_eq_u32_e32 vcc, 9, v0
	v_cndmask_b32_e32 v14, v14, v11, vcc
	v_cmp_eq_u32_e32 vcc, 10, v0
	;; [unrolled: 2-line block ×3, first 2 shown]
	v_cndmask_b32_e32 v14, v14, v13, vcc
	s_waitcnt lgkmcnt(0)
	v_mul_f32_e32 v16, v14, v15
	s_cbranch_execz .LBB75_258
	s_branch .LBB75_259
.LBB75_257:
                                        ; implicit-def: $vgpr16
.LBB75_258:
	ds_read_b32 v16, v50
.LBB75_259:
	v_cmp_ne_u32_e32 vcc, 9, v0
	s_and_saveexec_b64 s[8:9], vcc
	s_cbranch_execz .LBB75_263
; %bb.260:
	v_mov_b32_e32 v15, v1
	v_lshl_add_u32 v17, v0, 2, 52
	s_mov_b64 s[10:11], 0
	v_mov_b32_e32 v14, v0
.LBB75_261:                             ; =>This Inner Loop Header: Depth=1
	v_add_co_u32_e32 v14, vcc, 1, v14
	v_addc_co_u32_e32 v15, vcc, 0, v15, vcc
	v_cmp_eq_u32_e32 vcc, 1, v14
	v_cndmask_b32_e32 v19, v2, v3, vcc
	v_cmp_lt_u32_e32 vcc, 8, v14
	v_cmp_eq_u32_e64 s[4:5], 2, v14
	v_cndmask_b32_e64 v19, v19, v4, s[4:5]
	s_or_b64 s[10:11], vcc, s[10:11]
	v_cmp_eq_u32_e32 vcc, 3, v14
	v_cndmask_b32_e32 v19, v19, v5, vcc
	v_cmp_eq_u32_e32 vcc, 4, v14
	v_cndmask_b32_e32 v19, v19, v6, vcc
	;; [unrolled: 2-line block ×4, first 2 shown]
	v_cmp_eq_u32_e32 vcc, 7, v14
	ds_read_b32 v18, v17
	v_cndmask_b32_e32 v19, v19, v9, vcc
	v_cmp_eq_u32_e32 vcc, 8, v14
	v_cndmask_b32_e32 v19, v19, v10, vcc
	v_cmp_eq_u32_e32 vcc, 9, v14
	;; [unrolled: 2-line block ×4, first 2 shown]
	v_cndmask_b32_e32 v19, v19, v13, vcc
	v_add_u32_e32 v17, 4, v17
	s_waitcnt lgkmcnt(0)
	v_fmac_f32_e32 v16, v19, v18
	s_andn2_b64 exec, exec, s[10:11]
	s_cbranch_execnz .LBB75_261
; %bb.262:
	s_or_b64 exec, exec, s[10:11]
.LBB75_263:
	s_or_b64 exec, exec, s[8:9]
	v_mov_b32_e32 v12, 0
	ds_read_b32 v12, v12 offset:40
	s_waitcnt lgkmcnt(0)
	v_mul_f32_e32 v12, v16, v12
.LBB75_264:
	s_or_b64 exec, exec, s[6:7]
	v_cmp_ne_u32_e32 vcc, 11, v0
	ds_write_b32 v50, v13
	s_waitcnt lgkmcnt(0)
	; wave barrier
	s_and_saveexec_b64 s[4:5], vcc
	s_cbranch_execz .LBB75_274
; %bb.265:
	s_and_b64 vcc, exec, s[0:1]
	s_cbranch_vccnz .LBB75_267
; %bb.266:
	v_cmp_eq_u32_e32 vcc, 1, v0
	v_cndmask_b32_e32 v14, v2, v3, vcc
	v_cmp_eq_u32_e32 vcc, 2, v0
	v_cndmask_b32_e32 v14, v14, v4, vcc
	v_cmp_eq_u32_e32 vcc, 3, v0
	v_cndmask_b32_e32 v14, v14, v5, vcc
	v_cmp_eq_u32_e32 vcc, 4, v0
	v_cndmask_b32_e32 v14, v14, v6, vcc
	v_cmp_eq_u32_e32 vcc, 5, v0
	v_cndmask_b32_e32 v14, v14, v7, vcc
	v_cmp_eq_u32_e32 vcc, 6, v0
	v_cndmask_b32_e32 v14, v14, v8, vcc
	v_cmp_eq_u32_e32 vcc, 7, v0
	v_cndmask_b32_e32 v14, v14, v9, vcc
	v_cmp_eq_u32_e32 vcc, 8, v0
	ds_read_b32 v15, v50
	v_cndmask_b32_e32 v14, v14, v10, vcc
	v_cmp_eq_u32_e32 vcc, 9, v0
	v_cndmask_b32_e32 v14, v14, v11, vcc
	v_cmp_eq_u32_e32 vcc, 10, v0
	;; [unrolled: 2-line block ×3, first 2 shown]
	v_cndmask_b32_e32 v14, v14, v13, vcc
	s_waitcnt lgkmcnt(0)
	v_mul_f32_e32 v14, v14, v15
	s_cbranch_execz .LBB75_268
	s_branch .LBB75_269
.LBB75_267:
                                        ; implicit-def: $vgpr14
.LBB75_268:
	ds_read_b32 v14, v50
.LBB75_269:
	s_and_saveexec_b64 s[6:7], s[2:3]
	s_cbranch_execz .LBB75_273
; %bb.270:
	v_lshl_add_u32 v15, v0, 2, 52
	s_mov_b64 s[2:3], 0
.LBB75_271:                             ; =>This Inner Loop Header: Depth=1
	v_add_co_u32_e32 v0, vcc, 1, v0
	v_addc_co_u32_e32 v1, vcc, 0, v1, vcc
	v_cmp_eq_u32_e32 vcc, 1, v0
	v_cndmask_b32_e32 v17, v2, v3, vcc
	v_cmp_lt_u32_e32 vcc, 9, v0
	v_cmp_eq_u32_e64 s[0:1], 2, v0
	v_cndmask_b32_e64 v17, v17, v4, s[0:1]
	s_or_b64 s[2:3], vcc, s[2:3]
	v_cmp_eq_u32_e32 vcc, 3, v0
	v_cndmask_b32_e32 v17, v17, v5, vcc
	v_cmp_eq_u32_e32 vcc, 4, v0
	v_cndmask_b32_e32 v17, v17, v6, vcc
	;; [unrolled: 2-line block ×4, first 2 shown]
	v_cmp_eq_u32_e32 vcc, 7, v0
	ds_read_b32 v16, v15
	v_cndmask_b32_e32 v17, v17, v9, vcc
	v_cmp_eq_u32_e32 vcc, 8, v0
	v_cndmask_b32_e32 v17, v17, v10, vcc
	v_cmp_eq_u32_e32 vcc, 9, v0
	;; [unrolled: 2-line block ×4, first 2 shown]
	v_cndmask_b32_e32 v17, v17, v13, vcc
	v_add_u32_e32 v15, 4, v15
	s_waitcnt lgkmcnt(0)
	v_fmac_f32_e32 v14, v17, v16
	s_andn2_b64 exec, exec, s[2:3]
	s_cbranch_execnz .LBB75_271
; %bb.272:
	s_or_b64 exec, exec, s[2:3]
.LBB75_273:
	s_or_b64 exec, exec, s[6:7]
	v_mov_b32_e32 v0, 0
	ds_read_b32 v0, v0 offset:44
	s_waitcnt lgkmcnt(0)
	v_mul_f32_e32 v13, v14, v0
.LBB75_274:
	s_or_b64 exec, exec, s[4:5]
	v_mov_b32_e32 v25, v13
	v_mov_b32_e32 v24, v12
	;; [unrolled: 1-line block ×12, first 2 shown]
.LBB75_275:
	flat_store_dword v[46:47], v14
	flat_store_dword v[48:49], v15
	;; [unrolled: 1-line block ×12, first 2 shown]
.LBB75_276:
	s_endpgm
	.section	.rodata,"a",@progbits
	.p2align	6, 0x0
	.amdhsa_kernel _ZN9rocsolver6v33100L18trti2_kernel_smallILi12EfPKPfEEv13rocblas_fill_17rocblas_diagonal_T1_iil
		.amdhsa_group_segment_fixed_size 96
		.amdhsa_private_segment_fixed_size 0
		.amdhsa_kernarg_size 32
		.amdhsa_user_sgpr_count 6
		.amdhsa_user_sgpr_private_segment_buffer 1
		.amdhsa_user_sgpr_dispatch_ptr 0
		.amdhsa_user_sgpr_queue_ptr 0
		.amdhsa_user_sgpr_kernarg_segment_ptr 1
		.amdhsa_user_sgpr_dispatch_id 0
		.amdhsa_user_sgpr_flat_scratch_init 0
		.amdhsa_user_sgpr_private_segment_size 0
		.amdhsa_uses_dynamic_stack 0
		.amdhsa_system_sgpr_private_segment_wavefront_offset 0
		.amdhsa_system_sgpr_workgroup_id_x 1
		.amdhsa_system_sgpr_workgroup_id_y 0
		.amdhsa_system_sgpr_workgroup_id_z 0
		.amdhsa_system_sgpr_workgroup_info 0
		.amdhsa_system_vgpr_workitem_id 0
		.amdhsa_next_free_vgpr 63
		.amdhsa_next_free_sgpr 30
		.amdhsa_reserve_vcc 1
		.amdhsa_reserve_flat_scratch 0
		.amdhsa_float_round_mode_32 0
		.amdhsa_float_round_mode_16_64 0
		.amdhsa_float_denorm_mode_32 3
		.amdhsa_float_denorm_mode_16_64 3
		.amdhsa_dx10_clamp 1
		.amdhsa_ieee_mode 1
		.amdhsa_fp16_overflow 0
		.amdhsa_exception_fp_ieee_invalid_op 0
		.amdhsa_exception_fp_denorm_src 0
		.amdhsa_exception_fp_ieee_div_zero 0
		.amdhsa_exception_fp_ieee_overflow 0
		.amdhsa_exception_fp_ieee_underflow 0
		.amdhsa_exception_fp_ieee_inexact 0
		.amdhsa_exception_int_div_zero 0
	.end_amdhsa_kernel
	.section	.text._ZN9rocsolver6v33100L18trti2_kernel_smallILi12EfPKPfEEv13rocblas_fill_17rocblas_diagonal_T1_iil,"axG",@progbits,_ZN9rocsolver6v33100L18trti2_kernel_smallILi12EfPKPfEEv13rocblas_fill_17rocblas_diagonal_T1_iil,comdat
.Lfunc_end75:
	.size	_ZN9rocsolver6v33100L18trti2_kernel_smallILi12EfPKPfEEv13rocblas_fill_17rocblas_diagonal_T1_iil, .Lfunc_end75-_ZN9rocsolver6v33100L18trti2_kernel_smallILi12EfPKPfEEv13rocblas_fill_17rocblas_diagonal_T1_iil
                                        ; -- End function
	.set _ZN9rocsolver6v33100L18trti2_kernel_smallILi12EfPKPfEEv13rocblas_fill_17rocblas_diagonal_T1_iil.num_vgpr, 63
	.set _ZN9rocsolver6v33100L18trti2_kernel_smallILi12EfPKPfEEv13rocblas_fill_17rocblas_diagonal_T1_iil.num_agpr, 0
	.set _ZN9rocsolver6v33100L18trti2_kernel_smallILi12EfPKPfEEv13rocblas_fill_17rocblas_diagonal_T1_iil.numbered_sgpr, 30
	.set _ZN9rocsolver6v33100L18trti2_kernel_smallILi12EfPKPfEEv13rocblas_fill_17rocblas_diagonal_T1_iil.num_named_barrier, 0
	.set _ZN9rocsolver6v33100L18trti2_kernel_smallILi12EfPKPfEEv13rocblas_fill_17rocblas_diagonal_T1_iil.private_seg_size, 0
	.set _ZN9rocsolver6v33100L18trti2_kernel_smallILi12EfPKPfEEv13rocblas_fill_17rocblas_diagonal_T1_iil.uses_vcc, 1
	.set _ZN9rocsolver6v33100L18trti2_kernel_smallILi12EfPKPfEEv13rocblas_fill_17rocblas_diagonal_T1_iil.uses_flat_scratch, 0
	.set _ZN9rocsolver6v33100L18trti2_kernel_smallILi12EfPKPfEEv13rocblas_fill_17rocblas_diagonal_T1_iil.has_dyn_sized_stack, 0
	.set _ZN9rocsolver6v33100L18trti2_kernel_smallILi12EfPKPfEEv13rocblas_fill_17rocblas_diagonal_T1_iil.has_recursion, 0
	.set _ZN9rocsolver6v33100L18trti2_kernel_smallILi12EfPKPfEEv13rocblas_fill_17rocblas_diagonal_T1_iil.has_indirect_call, 0
	.section	.AMDGPU.csdata,"",@progbits
; Kernel info:
; codeLenInByte = 11844
; TotalNumSgprs: 34
; NumVgprs: 63
; ScratchSize: 0
; MemoryBound: 0
; FloatMode: 240
; IeeeMode: 1
; LDSByteSize: 96 bytes/workgroup (compile time only)
; SGPRBlocks: 4
; VGPRBlocks: 15
; NumSGPRsForWavesPerEU: 34
; NumVGPRsForWavesPerEU: 63
; Occupancy: 4
; WaveLimiterHint : 1
; COMPUTE_PGM_RSRC2:SCRATCH_EN: 0
; COMPUTE_PGM_RSRC2:USER_SGPR: 6
; COMPUTE_PGM_RSRC2:TRAP_HANDLER: 0
; COMPUTE_PGM_RSRC2:TGID_X_EN: 1
; COMPUTE_PGM_RSRC2:TGID_Y_EN: 0
; COMPUTE_PGM_RSRC2:TGID_Z_EN: 0
; COMPUTE_PGM_RSRC2:TIDIG_COMP_CNT: 0
	.section	.text._ZN9rocsolver6v33100L18trti2_kernel_smallILi13EfPKPfEEv13rocblas_fill_17rocblas_diagonal_T1_iil,"axG",@progbits,_ZN9rocsolver6v33100L18trti2_kernel_smallILi13EfPKPfEEv13rocblas_fill_17rocblas_diagonal_T1_iil,comdat
	.globl	_ZN9rocsolver6v33100L18trti2_kernel_smallILi13EfPKPfEEv13rocblas_fill_17rocblas_diagonal_T1_iil ; -- Begin function _ZN9rocsolver6v33100L18trti2_kernel_smallILi13EfPKPfEEv13rocblas_fill_17rocblas_diagonal_T1_iil
	.p2align	8
	.type	_ZN9rocsolver6v33100L18trti2_kernel_smallILi13EfPKPfEEv13rocblas_fill_17rocblas_diagonal_T1_iil,@function
_ZN9rocsolver6v33100L18trti2_kernel_smallILi13EfPKPfEEv13rocblas_fill_17rocblas_diagonal_T1_iil: ; @_ZN9rocsolver6v33100L18trti2_kernel_smallILi13EfPKPfEEv13rocblas_fill_17rocblas_diagonal_T1_iil
; %bb.0:
	v_cmp_gt_u32_e32 vcc, 13, v0
	s_and_saveexec_b64 s[0:1], vcc
	s_cbranch_execz .LBB76_302
; %bb.1:
	s_load_dwordx2 s[0:1], s[4:5], 0x10
	s_load_dwordx4 s[28:31], s[4:5], 0x0
	s_ashr_i32 s7, s6, 31
	s_lshl_b64 s[2:3], s[6:7], 3
	v_lshlrev_b32_e32 v18, 2, v0
	s_waitcnt lgkmcnt(0)
	s_ashr_i32 s5, s0, 31
	s_add_u32 s2, s30, s2
	s_addc_u32 s3, s31, s3
	s_load_dwordx2 s[2:3], s[2:3], 0x0
	s_mov_b32 s4, s0
	s_lshl_b64 s[4:5], s[4:5], 2
	v_mov_b32_e32 v19, -1.0
	s_waitcnt lgkmcnt(0)
	s_add_u32 s0, s2, s4
	s_addc_u32 s2, s3, s5
	s_add_i32 s3, s1, s1
	v_add_u32_e32 v1, s3, v0
	v_ashrrev_i32_e32 v2, 31, v1
	v_lshlrev_b64 v[2:3], 2, v[1:2]
	v_add_u32_e32 v1, s1, v1
	v_mov_b32_e32 v4, s2
	v_add_co_u32_e32 v34, vcc, s0, v2
	v_ashrrev_i32_e32 v2, 31, v1
	v_addc_co_u32_e32 v35, vcc, v4, v3, vcc
	v_lshlrev_b64 v[2:3], 2, v[1:2]
	v_add_u32_e32 v1, s1, v1
	v_add_co_u32_e32 v36, vcc, s0, v2
	v_ashrrev_i32_e32 v2, 31, v1
	v_addc_co_u32_e32 v37, vcc, v4, v3, vcc
	v_lshlrev_b64 v[2:3], 2, v[1:2]
	v_add_u32_e32 v1, s1, v1
	;; [unrolled: 5-line block ×9, first 2 shown]
	v_add_co_u32_e32 v52, vcc, s0, v2
	v_ashrrev_i32_e32 v2, 31, v1
	v_lshlrev_b64 v[1:2], 2, v[1:2]
	v_addc_co_u32_e32 v53, vcc, v4, v3, vcc
	v_mov_b32_e32 v3, s2
	v_add_co_u32_e32 v54, vcc, s0, v1
	v_addc_co_u32_e32 v55, vcc, v3, v2, vcc
	v_mov_b32_e32 v1, s2
	v_add_co_u32_e32 v56, vcc, s0, v18
	s_ashr_i32 s3, s1, 31
	s_mov_b32 s2, s1
	v_addc_co_u32_e32 v57, vcc, 0, v1, vcc
	s_lshl_b64 s[0:1], s[2:3], 2
	v_mov_b32_e32 v1, s1
	v_add_co_u32_e32 v58, vcc, s0, v56
	v_addc_co_u32_e32 v59, vcc, v57, v1, vcc
	flat_load_dword v2, v[56:57]
	flat_load_dword v3, v[58:59]
	flat_load_dword v4, v[34:35]
	flat_load_dword v5, v[36:37]
	flat_load_dword v6, v[38:39]
	flat_load_dword v7, v[40:41]
	flat_load_dword v8, v[42:43]
	flat_load_dword v9, v[44:45]
	flat_load_dword v10, v[46:47]
	flat_load_dword v11, v[48:49]
	flat_load_dword v12, v[50:51]
	flat_load_dword v13, v[52:53]
	flat_load_dword v14, v[54:55]
	s_cmpk_lg_i32 s29, 0x84
	v_mov_b32_e32 v1, 0
	s_cselect_b64 s[26:27], -1, 0
	s_cmpk_eq_i32 s29, 0x84
	v_cmp_eq_u32_e64 s[0:1], 0, v0
	s_cbranch_scc1 .LBB76_3
; %bb.2:
	v_cmp_eq_u32_e64 s[2:3], 1, v0
	s_waitcnt vmcnt(0) lgkmcnt(0)
	v_cndmask_b32_e64 v15, v2, v3, s[2:3]
	v_cmp_eq_u32_e64 s[4:5], 2, v0
	v_cndmask_b32_e64 v15, v15, v4, s[4:5]
	v_cmp_eq_u32_e64 s[6:7], 3, v0
	;; [unrolled: 2-line block ×11, first 2 shown]
	v_cndmask_b32_e64 v15, v15, v14, s[24:25]
	v_div_scale_f32 v16, s[30:31], v15, v15, 1.0
	v_div_scale_f32 v17, vcc, 1.0, v15, 1.0
	v_rcp_f32_e32 v19, v16
	v_fma_f32 v20, -v16, v19, 1.0
	v_fmac_f32_e32 v19, v20, v19
	v_mul_f32_e32 v20, v17, v19
	v_fma_f32 v21, -v16, v20, v17
	v_fmac_f32_e32 v20, v21, v19
	v_fma_f32 v16, -v16, v20, v17
	v_div_fmas_f32 v16, v16, v19, v20
	v_div_fixup_f32 v15, v16, v15, 1.0
	v_cndmask_b32_e64 v14, v14, v15, s[24:25]
	v_cndmask_b32_e64 v13, v13, v15, s[22:23]
	;; [unrolled: 1-line block ×13, first 2 shown]
	v_xor_b32_e32 v19, 0x80000000, v15
.LBB76_3:
	s_cmpk_eq_i32 s28, 0x79
	v_add_u32_e32 v60, 64, v18
	ds_write_b32 v18, v19
	s_cbranch_scc1 .LBB76_7
; %bb.4:
	s_waitcnt vmcnt(0) lgkmcnt(0)
	v_mov_b32_e32 v33, v17
	v_mov_b32_e32 v32, v16
	;; [unrolled: 1-line block ×16, first 2 shown]
	v_cmp_eq_u32_e64 s[2:3], 12, v0
	ds_write_b32 v60, v13
	s_waitcnt lgkmcnt(0)
	; wave barrier
	s_and_saveexec_b64 s[0:1], s[2:3]
	s_cbranch_execz .LBB76_11
; %bb.5:
	s_and_b64 vcc, exec, s[26:27]
	s_cbranch_vccz .LBB76_8
; %bb.6:
	v_cmp_eq_u32_e32 vcc, 1, v0
	v_cndmask_b32_e32 v18, v2, v3, vcc
	v_cmp_eq_u32_e32 vcc, 2, v0
	v_cndmask_b32_e32 v18, v18, v4, vcc
	;; [unrolled: 2-line block ×8, first 2 shown]
	v_cmp_eq_u32_e32 vcc, 9, v0
	ds_read_b32 v19, v60
	v_cndmask_b32_e32 v18, v18, v11, vcc
	v_cmp_eq_u32_e32 vcc, 10, v0
	v_cndmask_b32_e32 v18, v18, v12, vcc
	v_cmp_eq_u32_e32 vcc, 11, v0
	;; [unrolled: 2-line block ×3, first 2 shown]
	v_cndmask_b32_e32 v18, v18, v14, vcc
	s_waitcnt lgkmcnt(0)
	v_mul_f32_e32 v22, v18, v19
	s_cbranch_execz .LBB76_9
	s_branch .LBB76_10
.LBB76_7:
                                        ; implicit-def: $vgpr18_vgpr19_vgpr20_vgpr21_vgpr22_vgpr23_vgpr24_vgpr25_vgpr26_vgpr27_vgpr28_vgpr29_vgpr30_vgpr31_vgpr32_vgpr33
	s_cbranch_execnz .LBB76_178
	s_branch .LBB76_301
.LBB76_8:
                                        ; implicit-def: $vgpr22
.LBB76_9:
	ds_read_b32 v22, v60
.LBB76_10:
	v_mov_b32_e32 v18, 0
	ds_read_b32 v23, v18 offset:44
	v_mov_b32_e32 v18, v2
	v_mov_b32_e32 v19, v3
	;; [unrolled: 1-line block ×4, first 2 shown]
	s_waitcnt lgkmcnt(0)
	v_mul_f32_e32 v29, v22, v23
	v_mov_b32_e32 v22, v6
	v_mov_b32_e32 v23, v7
	;; [unrolled: 1-line block ×8, first 2 shown]
.LBB76_11:
	s_or_b64 exec, exec, s[0:1]
	v_cmp_lt_u32_e64 s[0:1], 10, v0
	ds_write_b32 v60, v28
	s_waitcnt lgkmcnt(0)
	; wave barrier
	s_and_saveexec_b64 s[4:5], s[0:1]
	s_cbranch_execz .LBB76_17
; %bb.12:
	s_andn2_b64 vcc, exec, s[26:27]
	s_cbranch_vccnz .LBB76_14
; %bb.13:
	v_cmp_eq_u32_e32 vcc, 1, v0
	v_cndmask_b32_e32 v31, v18, v19, vcc
	v_cmp_eq_u32_e32 vcc, 2, v0
	v_cndmask_b32_e32 v31, v31, v20, vcc
	;; [unrolled: 2-line block ×10, first 2 shown]
	ds_read_b32 v31, v60
	v_cmp_eq_u32_e32 vcc, 11, v0
	v_cndmask_b32_e32 v28, v28, v29, vcc
	v_cmp_eq_u32_e32 vcc, 12, v0
	v_cndmask_b32_e32 v28, v28, v30, vcc
	s_waitcnt lgkmcnt(0)
	v_mul_f32_e32 v28, v28, v31
	s_cbranch_execz .LBB76_15
	s_branch .LBB76_16
.LBB76_14:
                                        ; implicit-def: $vgpr28
.LBB76_15:
	ds_read_b32 v28, v60
.LBB76_16:
	v_mov_b32_e32 v31, 0
	ds_read2_b32 v[31:32], v31 offset0:10 offset1:27
	s_waitcnt lgkmcnt(0)
	v_fma_f32 v32, v29, v32, v28
	v_cndmask_b32_e64 v28, v28, v32, s[2:3]
	v_mul_f32_e32 v28, v28, v31
.LBB76_17:
	s_or_b64 exec, exec, s[4:5]
	v_cmp_lt_u32_e64 s[2:3], 9, v0
	ds_write_b32 v60, v27
	s_waitcnt lgkmcnt(0)
	; wave barrier
	s_and_saveexec_b64 s[4:5], s[2:3]
	s_cbranch_execz .LBB76_33
; %bb.18:
	s_andn2_b64 vcc, exec, s[26:27]
	s_cbranch_vccnz .LBB76_20
; %bb.19:
	v_cmp_eq_u32_e32 vcc, 1, v0
	v_cndmask_b32_e32 v61, v18, v19, vcc
	v_cmp_eq_u32_e32 vcc, 2, v0
	v_cndmask_b32_e32 v61, v61, v20, vcc
	;; [unrolled: 2-line block ×8, first 2 shown]
	v_cmp_eq_u32_e32 vcc, 9, v0
	ds_read_b32 v62, v60
	v_cndmask_b32_e32 v61, v61, v27, vcc
	v_cmp_eq_u32_e32 vcc, 10, v0
	v_cndmask_b32_e32 v61, v61, v28, vcc
	v_cmp_eq_u32_e32 vcc, 11, v0
	;; [unrolled: 2-line block ×3, first 2 shown]
	v_cndmask_b32_e32 v61, v61, v30, vcc
	s_waitcnt lgkmcnt(0)
	v_mul_f32_e32 v61, v61, v62
	s_cbranch_execz .LBB76_21
	s_branch .LBB76_22
.LBB76_20:
                                        ; implicit-def: $vgpr61
.LBB76_21:
	ds_read_b32 v61, v60
.LBB76_22:
	s_and_saveexec_b64 s[6:7], s[0:1]
	s_cbranch_execz .LBB76_32
; %bb.23:
	v_add_u32_e32 v62, -11, v0
	v_add_u32_e32 v63, -10, v0
	v_cmp_lt_u32_e32 vcc, 6, v62
	v_mov_b32_e32 v62, 10
	s_and_saveexec_b64 s[0:1], vcc
	s_cbranch_execz .LBB76_27
; %bb.24:
	v_and_b32_e32 v62, -8, v63
	v_sub_u32_e32 v64, 0, v62
	s_mov_b64 s[8:9], 17
	s_movk_i32 s12, 0x68
	s_mov_b64 s[10:11], 0
.LBB76_25:                              ; =>This Inner Loop Header: Depth=1
	s_add_i32 s13, s8, -7
	v_mov_b32_e32 v62, s12
	s_add_i32 s14, s8, -6
	s_set_gpr_idx_on s13, gpr_idx(SRC0)
	v_mov_b32_e32 v73, v18
	s_set_gpr_idx_off
	ds_read2_b64 v[65:68], v62 offset1:1
	s_add_i32 s15, s8, -5
	s_set_gpr_idx_on s14, gpr_idx(SRC0)
	v_mov_b32_e32 v74, v18
	s_set_gpr_idx_off
	s_add_i32 s16, s8, -4
	s_set_gpr_idx_on s15, gpr_idx(SRC0)
	v_mov_b32_e32 v75, v18
	s_set_gpr_idx_off
	;; [unrolled: 4-line block ×4, first 2 shown]
	ds_read2_b64 v[69:72], v62 offset0:2 offset1:3
	s_add_i32 s19, s8, -1
	s_waitcnt lgkmcnt(1)
	v_fmac_f32_e32 v61, v73, v65
	s_set_gpr_idx_on s18, gpr_idx(SRC0)
	v_mov_b32_e32 v65, v18
	s_set_gpr_idx_off
	v_fmac_f32_e32 v61, v74, v66
	s_set_gpr_idx_on s19, gpr_idx(SRC0)
	v_mov_b32_e32 v66, v18
	s_set_gpr_idx_off
	;; [unrolled: 4-line block ×3, first 2 shown]
	v_fmac_f32_e32 v61, v76, v68
	s_add_u32 s8, s8, 8
	s_waitcnt lgkmcnt(0)
	v_fmac_f32_e32 v61, v77, v69
	v_add_u32_e32 v62, s8, v64
	v_fmac_f32_e32 v61, v65, v70
	s_addc_u32 s9, s9, 0
	s_add_i32 s12, s12, 32
	s_add_i32 s13, s8, -7
	v_cmp_eq_u32_e32 vcc, 17, v62
	v_fmac_f32_e32 v61, v66, v71
	v_mov_b32_e32 v62, s13
	s_or_b64 s[10:11], vcc, s[10:11]
	v_fmac_f32_e32 v61, v67, v72
	s_andn2_b64 exec, exec, s[10:11]
	s_cbranch_execnz .LBB76_25
; %bb.26:
	s_or_b64 exec, exec, s[10:11]
.LBB76_27:
	s_or_b64 exec, exec, s[0:1]
	v_and_b32_e32 v31, 7, v63
	v_cmp_ne_u32_e32 vcc, 0, v31
	s_and_saveexec_b64 s[8:9], vcc
	s_cbranch_execz .LBB76_31
; %bb.28:
	v_lshl_add_u32 v32, v62, 2, 64
	v_mov_b32_e32 v33, 0
	s_mov_b64 s[10:11], 0
.LBB76_29:                              ; =>This Inner Loop Header: Depth=1
	v_cmp_eq_u32_e32 vcc, 1, v62
	v_cndmask_b32_e32 v63, v18, v19, vcc
	v_add_u32_e32 v31, -1, v31
	v_cmp_eq_u32_e32 vcc, 2, v62
	v_cndmask_b32_e32 v63, v63, v20, vcc
	v_cmp_eq_u32_e32 vcc, 0, v31
	v_cmp_eq_u32_e64 s[0:1], 3, v62
	v_cndmask_b32_e64 v63, v63, v21, s[0:1]
	s_or_b64 s[10:11], vcc, s[10:11]
	v_cmp_eq_u32_e32 vcc, 4, v62
	v_cndmask_b32_e32 v63, v63, v22, vcc
	v_cmp_eq_u32_e32 vcc, 5, v62
	v_cndmask_b32_e32 v63, v63, v23, vcc
	v_cmp_eq_u32_e32 vcc, 6, v62
	v_cndmask_b32_e32 v63, v63, v24, vcc
	v_cmp_eq_u32_e32 vcc, 7, v62
	v_cndmask_b32_e32 v63, v63, v25, vcc
	v_cmp_eq_u32_e32 vcc, 8, v62
	ds_read_b32 v64, v32
	v_cndmask_b32_e32 v63, v63, v26, vcc
	v_cmp_eq_u32_e32 vcc, 9, v62
	v_cndmask_b32_e32 v63, v63, v27, vcc
	v_cmp_eq_u32_e32 vcc, 10, v62
	;; [unrolled: 2-line block ×4, first 2 shown]
	v_add_co_u32_e64 v62, s[0:1], 1, v62
	v_cndmask_b32_e32 v63, v63, v30, vcc
	v_add_u32_e32 v32, 4, v32
	v_addc_co_u32_e64 v33, s[0:1], 0, v33, s[0:1]
	s_waitcnt lgkmcnt(0)
	v_fmac_f32_e32 v61, v63, v64
	s_andn2_b64 exec, exec, s[10:11]
	s_cbranch_execnz .LBB76_29
; %bb.30:
	s_or_b64 exec, exec, s[10:11]
.LBB76_31:
	s_or_b64 exec, exec, s[8:9]
.LBB76_32:
	s_or_b64 exec, exec, s[6:7]
	v_mov_b32_e32 v27, 0
	ds_read_b32 v27, v27 offset:36
	s_waitcnt lgkmcnt(0)
	v_mul_f32_e32 v27, v61, v27
.LBB76_33:
	s_or_b64 exec, exec, s[4:5]
	v_cmp_lt_u32_e64 s[0:1], 8, v0
	ds_write_b32 v60, v26
	s_waitcnt lgkmcnt(0)
	; wave barrier
	s_and_saveexec_b64 s[4:5], s[0:1]
	s_cbranch_execz .LBB76_49
; %bb.34:
	s_andn2_b64 vcc, exec, s[26:27]
	s_cbranch_vccnz .LBB76_36
; %bb.35:
	v_cmp_eq_u32_e32 vcc, 1, v0
	v_cndmask_b32_e32 v61, v18, v19, vcc
	v_cmp_eq_u32_e32 vcc, 2, v0
	v_cndmask_b32_e32 v61, v61, v20, vcc
	;; [unrolled: 2-line block ×8, first 2 shown]
	v_cmp_eq_u32_e32 vcc, 9, v0
	ds_read_b32 v62, v60
	v_cndmask_b32_e32 v61, v61, v27, vcc
	v_cmp_eq_u32_e32 vcc, 10, v0
	v_cndmask_b32_e32 v61, v61, v28, vcc
	v_cmp_eq_u32_e32 vcc, 11, v0
	;; [unrolled: 2-line block ×3, first 2 shown]
	v_cndmask_b32_e32 v61, v61, v30, vcc
	s_waitcnt lgkmcnt(0)
	v_mul_f32_e32 v61, v61, v62
	s_cbranch_execz .LBB76_37
	s_branch .LBB76_38
.LBB76_36:
                                        ; implicit-def: $vgpr61
.LBB76_37:
	ds_read_b32 v61, v60
.LBB76_38:
	s_and_saveexec_b64 s[6:7], s[2:3]
	s_cbranch_execz .LBB76_48
; %bb.39:
	v_add_u32_e32 v62, -10, v0
	v_add_u32_e32 v63, -9, v0
	v_cmp_lt_u32_e32 vcc, 6, v62
	v_mov_b32_e32 v62, 9
	s_and_saveexec_b64 s[2:3], vcc
	s_cbranch_execz .LBB76_43
; %bb.40:
	v_and_b32_e32 v62, -8, v63
	v_sub_u32_e32 v64, 0, v62
	s_mov_b64 s[8:9], 16
	s_movk_i32 s12, 0x64
	s_mov_b64 s[10:11], 0
.LBB76_41:                              ; =>This Inner Loop Header: Depth=1
	s_add_i32 s13, s8, -7
	v_mov_b32_e32 v62, s12
	s_add_i32 s14, s8, -6
	s_set_gpr_idx_on s13, gpr_idx(SRC0)
	v_mov_b32_e32 v71, v18
	s_set_gpr_idx_off
	ds_read2_b32 v[65:66], v62 offset1:1
	s_add_i32 s15, s8, -5
	s_set_gpr_idx_on s14, gpr_idx(SRC0)
	v_mov_b32_e32 v72, v18
	s_set_gpr_idx_off
	s_add_i32 s16, s8, -4
	s_set_gpr_idx_on s15, gpr_idx(SRC0)
	v_mov_b32_e32 v73, v18
	s_set_gpr_idx_off
	ds_read2_b32 v[67:68], v62 offset0:2 offset1:3
	s_add_i32 s17, s8, -3
	s_set_gpr_idx_on s16, gpr_idx(SRC0)
	v_mov_b32_e32 v74, v18
	s_set_gpr_idx_off
	s_add_i32 s18, s8, -2
	s_set_gpr_idx_on s17, gpr_idx(SRC0)
	v_mov_b32_e32 v75, v18
	s_set_gpr_idx_off
	ds_read2_b32 v[69:70], v62 offset0:4 offset1:5
	s_add_i32 s19, s8, -1
	s_waitcnt lgkmcnt(2)
	v_fmac_f32_e32 v61, v71, v65
	s_set_gpr_idx_on s18, gpr_idx(SRC0)
	v_mov_b32_e32 v71, v18
	s_set_gpr_idx_off
	v_fmac_f32_e32 v61, v72, v66
	s_set_gpr_idx_on s19, gpr_idx(SRC0)
	v_mov_b32_e32 v72, v18
	s_set_gpr_idx_off
	ds_read2_b32 v[65:66], v62 offset0:6 offset1:7
	s_waitcnt lgkmcnt(2)
	v_fmac_f32_e32 v61, v73, v67
	s_set_gpr_idx_on s8, gpr_idx(SRC0)
	v_mov_b32_e32 v67, v18
	s_set_gpr_idx_off
	v_fmac_f32_e32 v61, v74, v68
	s_add_u32 s8, s8, 8
	s_waitcnt lgkmcnt(1)
	v_fmac_f32_e32 v61, v75, v69
	v_add_u32_e32 v62, s8, v64
	v_fmac_f32_e32 v61, v71, v70
	s_addc_u32 s9, s9, 0
	s_add_i32 s12, s12, 32
	s_add_i32 s13, s8, -7
	v_cmp_eq_u32_e32 vcc, 16, v62
	s_waitcnt lgkmcnt(0)
	v_fmac_f32_e32 v61, v72, v65
	v_mov_b32_e32 v62, s13
	s_or_b64 s[10:11], vcc, s[10:11]
	v_fmac_f32_e32 v61, v67, v66
	s_andn2_b64 exec, exec, s[10:11]
	s_cbranch_execnz .LBB76_41
; %bb.42:
	s_or_b64 exec, exec, s[10:11]
.LBB76_43:
	s_or_b64 exec, exec, s[2:3]
	v_and_b32_e32 v31, 7, v63
	v_cmp_ne_u32_e32 vcc, 0, v31
	s_and_saveexec_b64 s[8:9], vcc
	s_cbranch_execz .LBB76_47
; %bb.44:
	v_lshl_add_u32 v32, v62, 2, 64
	v_mov_b32_e32 v33, 0
	s_mov_b64 s[10:11], 0
.LBB76_45:                              ; =>This Inner Loop Header: Depth=1
	v_cmp_eq_u32_e32 vcc, 1, v62
	v_cndmask_b32_e32 v63, v18, v19, vcc
	v_add_u32_e32 v31, -1, v31
	v_cmp_eq_u32_e32 vcc, 2, v62
	v_cndmask_b32_e32 v63, v63, v20, vcc
	v_cmp_eq_u32_e32 vcc, 0, v31
	v_cmp_eq_u32_e64 s[2:3], 3, v62
	v_cndmask_b32_e64 v63, v63, v21, s[2:3]
	s_or_b64 s[10:11], vcc, s[10:11]
	v_cmp_eq_u32_e32 vcc, 4, v62
	v_cndmask_b32_e32 v63, v63, v22, vcc
	v_cmp_eq_u32_e32 vcc, 5, v62
	v_cndmask_b32_e32 v63, v63, v23, vcc
	;; [unrolled: 2-line block ×4, first 2 shown]
	v_cmp_eq_u32_e32 vcc, 8, v62
	ds_read_b32 v64, v32
	v_cndmask_b32_e32 v63, v63, v26, vcc
	v_cmp_eq_u32_e32 vcc, 9, v62
	v_cndmask_b32_e32 v63, v63, v27, vcc
	v_cmp_eq_u32_e32 vcc, 10, v62
	;; [unrolled: 2-line block ×4, first 2 shown]
	v_add_co_u32_e64 v62, s[2:3], 1, v62
	v_cndmask_b32_e32 v63, v63, v30, vcc
	v_add_u32_e32 v32, 4, v32
	v_addc_co_u32_e64 v33, s[2:3], 0, v33, s[2:3]
	s_waitcnt lgkmcnt(0)
	v_fmac_f32_e32 v61, v63, v64
	s_andn2_b64 exec, exec, s[10:11]
	s_cbranch_execnz .LBB76_45
; %bb.46:
	s_or_b64 exec, exec, s[10:11]
.LBB76_47:
	s_or_b64 exec, exec, s[8:9]
.LBB76_48:
	s_or_b64 exec, exec, s[6:7]
	v_mov_b32_e32 v26, 0
	ds_read_b32 v26, v26 offset:32
	s_waitcnt lgkmcnt(0)
	v_mul_f32_e32 v26, v61, v26
.LBB76_49:
	s_or_b64 exec, exec, s[4:5]
	v_cmp_lt_u32_e64 s[2:3], 7, v0
	ds_write_b32 v60, v25
	s_waitcnt lgkmcnt(0)
	; wave barrier
	s_and_saveexec_b64 s[4:5], s[2:3]
	s_cbranch_execz .LBB76_65
; %bb.50:
	s_andn2_b64 vcc, exec, s[26:27]
	s_cbranch_vccnz .LBB76_52
; %bb.51:
	v_cmp_eq_u32_e32 vcc, 1, v0
	v_cndmask_b32_e32 v61, v18, v19, vcc
	v_cmp_eq_u32_e32 vcc, 2, v0
	v_cndmask_b32_e32 v61, v61, v20, vcc
	;; [unrolled: 2-line block ×8, first 2 shown]
	v_cmp_eq_u32_e32 vcc, 9, v0
	ds_read_b32 v62, v60
	v_cndmask_b32_e32 v61, v61, v27, vcc
	v_cmp_eq_u32_e32 vcc, 10, v0
	v_cndmask_b32_e32 v61, v61, v28, vcc
	v_cmp_eq_u32_e32 vcc, 11, v0
	;; [unrolled: 2-line block ×3, first 2 shown]
	v_cndmask_b32_e32 v61, v61, v30, vcc
	s_waitcnt lgkmcnt(0)
	v_mul_f32_e32 v61, v61, v62
	s_cbranch_execz .LBB76_53
	s_branch .LBB76_54
.LBB76_52:
                                        ; implicit-def: $vgpr61
.LBB76_53:
	ds_read_b32 v61, v60
.LBB76_54:
	s_and_saveexec_b64 s[6:7], s[0:1]
	s_cbranch_execz .LBB76_64
; %bb.55:
	v_add_u32_e32 v62, -9, v0
	v_cmp_lt_u32_e32 vcc, 6, v62
	v_mov_b32_e32 v62, 8
	s_and_saveexec_b64 s[0:1], vcc
	s_cbranch_execz .LBB76_59
; %bb.56:
	v_and_b32_e32 v62, 8, v0
	v_sub_u32_e32 v63, 0, v62
	s_mov_b64 s[8:9], 15
	s_movk_i32 s12, 0x60
	s_mov_b64 s[10:11], 0
.LBB76_57:                              ; =>This Inner Loop Header: Depth=1
	s_add_i32 s13, s8, -7
	v_mov_b32_e32 v62, s12
	s_add_i32 s14, s8, -6
	s_set_gpr_idx_on s13, gpr_idx(SRC0)
	v_mov_b32_e32 v72, v18
	s_set_gpr_idx_off
	s_add_i32 s15, s8, -5
	ds_read_b128 v[64:67], v62
	ds_read_b128 v[68:71], v62 offset:16
	s_set_gpr_idx_on s14, gpr_idx(SRC0)
	v_mov_b32_e32 v62, v18
	s_set_gpr_idx_off
	s_add_i32 s16, s8, -4
	s_set_gpr_idx_on s15, gpr_idx(SRC0)
	v_mov_b32_e32 v73, v18
	s_set_gpr_idx_off
	s_add_i32 s17, s8, -3
	;; [unrolled: 4-line block ×4, first 2 shown]
	s_waitcnt lgkmcnt(1)
	v_fmac_f32_e32 v61, v72, v64
	s_set_gpr_idx_on s18, gpr_idx(SRC0)
	v_mov_b32_e32 v64, v18
	s_set_gpr_idx_off
	v_fmac_f32_e32 v61, v62, v65
	s_set_gpr_idx_on s19, gpr_idx(SRC0)
	v_mov_b32_e32 v65, v18
	s_set_gpr_idx_off
	;; [unrolled: 4-line block ×3, first 2 shown]
	v_fmac_f32_e32 v61, v74, v67
	s_add_u32 s8, s8, 8
	s_waitcnt lgkmcnt(0)
	v_fmac_f32_e32 v61, v75, v68
	v_add_u32_e32 v62, s8, v63
	v_fmac_f32_e32 v61, v64, v69
	s_addc_u32 s9, s9, 0
	s_add_i32 s12, s12, 32
	s_add_i32 s13, s8, -7
	v_cmp_eq_u32_e32 vcc, 7, v62
	v_fmac_f32_e32 v61, v65, v70
	v_mov_b32_e32 v62, s13
	s_or_b64 s[10:11], vcc, s[10:11]
	v_fmac_f32_e32 v61, v66, v71
	s_andn2_b64 exec, exec, s[10:11]
	s_cbranch_execnz .LBB76_57
; %bb.58:
	s_or_b64 exec, exec, s[10:11]
.LBB76_59:
	s_or_b64 exec, exec, s[0:1]
	v_and_b32_e32 v31, 7, v0
	v_cmp_ne_u32_e32 vcc, 0, v31
	s_and_saveexec_b64 s[8:9], vcc
	s_cbranch_execz .LBB76_63
; %bb.60:
	v_lshl_add_u32 v32, v62, 2, 64
	v_mov_b32_e32 v33, 0
	s_mov_b64 s[10:11], 0
.LBB76_61:                              ; =>This Inner Loop Header: Depth=1
	v_cmp_eq_u32_e32 vcc, 1, v62
	v_cndmask_b32_e32 v63, v18, v19, vcc
	v_add_u32_e32 v31, -1, v31
	v_cmp_eq_u32_e32 vcc, 2, v62
	v_cndmask_b32_e32 v63, v63, v20, vcc
	v_cmp_eq_u32_e32 vcc, 0, v31
	v_cmp_eq_u32_e64 s[0:1], 3, v62
	v_cndmask_b32_e64 v63, v63, v21, s[0:1]
	s_or_b64 s[10:11], vcc, s[10:11]
	v_cmp_eq_u32_e32 vcc, 4, v62
	v_cndmask_b32_e32 v63, v63, v22, vcc
	v_cmp_eq_u32_e32 vcc, 5, v62
	v_cndmask_b32_e32 v63, v63, v23, vcc
	;; [unrolled: 2-line block ×4, first 2 shown]
	v_cmp_eq_u32_e32 vcc, 8, v62
	ds_read_b32 v64, v32
	v_cndmask_b32_e32 v63, v63, v26, vcc
	v_cmp_eq_u32_e32 vcc, 9, v62
	v_cndmask_b32_e32 v63, v63, v27, vcc
	v_cmp_eq_u32_e32 vcc, 10, v62
	;; [unrolled: 2-line block ×4, first 2 shown]
	v_add_co_u32_e64 v62, s[0:1], 1, v62
	v_cndmask_b32_e32 v63, v63, v30, vcc
	v_add_u32_e32 v32, 4, v32
	v_addc_co_u32_e64 v33, s[0:1], 0, v33, s[0:1]
	s_waitcnt lgkmcnt(0)
	v_fmac_f32_e32 v61, v63, v64
	s_andn2_b64 exec, exec, s[10:11]
	s_cbranch_execnz .LBB76_61
; %bb.62:
	s_or_b64 exec, exec, s[10:11]
.LBB76_63:
	s_or_b64 exec, exec, s[8:9]
.LBB76_64:
	s_or_b64 exec, exec, s[6:7]
	v_mov_b32_e32 v25, 0
	ds_read_b32 v25, v25 offset:28
	s_waitcnt lgkmcnt(0)
	v_mul_f32_e32 v25, v61, v25
.LBB76_65:
	s_or_b64 exec, exec, s[4:5]
	v_cmp_lt_u32_e64 s[0:1], 6, v0
	ds_write_b32 v60, v24
	s_waitcnt lgkmcnt(0)
	; wave barrier
	s_and_saveexec_b64 s[4:5], s[0:1]
	s_cbranch_execz .LBB76_81
; %bb.66:
	s_andn2_b64 vcc, exec, s[26:27]
	s_cbranch_vccnz .LBB76_68
; %bb.67:
	v_cmp_eq_u32_e32 vcc, 1, v0
	v_cndmask_b32_e32 v61, v18, v19, vcc
	v_cmp_eq_u32_e32 vcc, 2, v0
	v_cndmask_b32_e32 v61, v61, v20, vcc
	;; [unrolled: 2-line block ×8, first 2 shown]
	v_cmp_eq_u32_e32 vcc, 9, v0
	ds_read_b32 v62, v60
	v_cndmask_b32_e32 v61, v61, v27, vcc
	v_cmp_eq_u32_e32 vcc, 10, v0
	v_cndmask_b32_e32 v61, v61, v28, vcc
	v_cmp_eq_u32_e32 vcc, 11, v0
	;; [unrolled: 2-line block ×3, first 2 shown]
	v_cndmask_b32_e32 v61, v61, v30, vcc
	s_waitcnt lgkmcnt(0)
	v_mul_f32_e32 v61, v61, v62
	s_cbranch_execz .LBB76_69
	s_branch .LBB76_70
.LBB76_68:
                                        ; implicit-def: $vgpr61
.LBB76_69:
	ds_read_b32 v61, v60
.LBB76_70:
	s_and_saveexec_b64 s[6:7], s[2:3]
	s_cbranch_execz .LBB76_80
; %bb.71:
	v_add_u32_e32 v62, -8, v0
	v_add_u32_e32 v63, -7, v0
	v_cmp_lt_u32_e32 vcc, 6, v62
	v_mov_b32_e32 v62, 7
	s_and_saveexec_b64 s[2:3], vcc
	s_cbranch_execz .LBB76_75
; %bb.72:
	v_and_b32_e32 v62, -8, v63
	v_sub_u32_e32 v64, 0, v62
	s_mov_b64 s[8:9], 14
	s_movk_i32 s12, 0x5c
	s_mov_b64 s[10:11], 0
.LBB76_73:                              ; =>This Inner Loop Header: Depth=1
	s_add_i32 s13, s8, -7
	v_mov_b32_e32 v62, s12
	s_add_i32 s14, s8, -6
	s_set_gpr_idx_on s13, gpr_idx(SRC0)
	v_mov_b32_e32 v71, v18
	s_set_gpr_idx_off
	ds_read2_b32 v[65:66], v62 offset1:1
	s_add_i32 s15, s8, -5
	s_set_gpr_idx_on s14, gpr_idx(SRC0)
	v_mov_b32_e32 v72, v18
	s_set_gpr_idx_off
	s_add_i32 s16, s8, -4
	s_set_gpr_idx_on s15, gpr_idx(SRC0)
	v_mov_b32_e32 v73, v18
	s_set_gpr_idx_off
	ds_read2_b32 v[67:68], v62 offset0:2 offset1:3
	s_add_i32 s17, s8, -3
	s_set_gpr_idx_on s16, gpr_idx(SRC0)
	v_mov_b32_e32 v74, v18
	s_set_gpr_idx_off
	s_add_i32 s18, s8, -2
	s_set_gpr_idx_on s17, gpr_idx(SRC0)
	v_mov_b32_e32 v75, v18
	s_set_gpr_idx_off
	ds_read2_b32 v[69:70], v62 offset0:4 offset1:5
	s_add_i32 s19, s8, -1
	s_waitcnt lgkmcnt(2)
	v_fmac_f32_e32 v61, v71, v65
	s_set_gpr_idx_on s18, gpr_idx(SRC0)
	v_mov_b32_e32 v71, v18
	s_set_gpr_idx_off
	v_fmac_f32_e32 v61, v72, v66
	s_set_gpr_idx_on s19, gpr_idx(SRC0)
	v_mov_b32_e32 v72, v18
	s_set_gpr_idx_off
	ds_read2_b32 v[65:66], v62 offset0:6 offset1:7
	s_waitcnt lgkmcnt(2)
	v_fmac_f32_e32 v61, v73, v67
	s_set_gpr_idx_on s8, gpr_idx(SRC0)
	v_mov_b32_e32 v67, v18
	s_set_gpr_idx_off
	v_fmac_f32_e32 v61, v74, v68
	s_add_u32 s8, s8, 8
	s_waitcnt lgkmcnt(1)
	v_fmac_f32_e32 v61, v75, v69
	v_add_u32_e32 v62, s8, v64
	v_fmac_f32_e32 v61, v71, v70
	s_addc_u32 s9, s9, 0
	s_add_i32 s12, s12, 32
	s_add_i32 s13, s8, -7
	v_cmp_eq_u32_e32 vcc, 14, v62
	s_waitcnt lgkmcnt(0)
	v_fmac_f32_e32 v61, v72, v65
	v_mov_b32_e32 v62, s13
	s_or_b64 s[10:11], vcc, s[10:11]
	v_fmac_f32_e32 v61, v67, v66
	s_andn2_b64 exec, exec, s[10:11]
	s_cbranch_execnz .LBB76_73
; %bb.74:
	s_or_b64 exec, exec, s[10:11]
.LBB76_75:
	s_or_b64 exec, exec, s[2:3]
	v_and_b32_e32 v31, 7, v63
	v_cmp_ne_u32_e32 vcc, 0, v31
	s_and_saveexec_b64 s[8:9], vcc
	s_cbranch_execz .LBB76_79
; %bb.76:
	v_lshl_add_u32 v32, v62, 2, 64
	v_mov_b32_e32 v33, 0
	s_mov_b64 s[10:11], 0
.LBB76_77:                              ; =>This Inner Loop Header: Depth=1
	v_cmp_eq_u32_e32 vcc, 1, v62
	v_cndmask_b32_e32 v63, v18, v19, vcc
	v_add_u32_e32 v31, -1, v31
	v_cmp_eq_u32_e32 vcc, 2, v62
	v_cndmask_b32_e32 v63, v63, v20, vcc
	v_cmp_eq_u32_e32 vcc, 0, v31
	v_cmp_eq_u32_e64 s[2:3], 3, v62
	v_cndmask_b32_e64 v63, v63, v21, s[2:3]
	s_or_b64 s[10:11], vcc, s[10:11]
	v_cmp_eq_u32_e32 vcc, 4, v62
	v_cndmask_b32_e32 v63, v63, v22, vcc
	v_cmp_eq_u32_e32 vcc, 5, v62
	v_cndmask_b32_e32 v63, v63, v23, vcc
	;; [unrolled: 2-line block ×4, first 2 shown]
	v_cmp_eq_u32_e32 vcc, 8, v62
	ds_read_b32 v64, v32
	v_cndmask_b32_e32 v63, v63, v26, vcc
	v_cmp_eq_u32_e32 vcc, 9, v62
	v_cndmask_b32_e32 v63, v63, v27, vcc
	v_cmp_eq_u32_e32 vcc, 10, v62
	;; [unrolled: 2-line block ×4, first 2 shown]
	v_add_co_u32_e64 v62, s[2:3], 1, v62
	v_cndmask_b32_e32 v63, v63, v30, vcc
	v_add_u32_e32 v32, 4, v32
	v_addc_co_u32_e64 v33, s[2:3], 0, v33, s[2:3]
	s_waitcnt lgkmcnt(0)
	v_fmac_f32_e32 v61, v63, v64
	s_andn2_b64 exec, exec, s[10:11]
	s_cbranch_execnz .LBB76_77
; %bb.78:
	s_or_b64 exec, exec, s[10:11]
.LBB76_79:
	s_or_b64 exec, exec, s[8:9]
.LBB76_80:
	s_or_b64 exec, exec, s[6:7]
	v_mov_b32_e32 v24, 0
	ds_read_b32 v24, v24 offset:24
	s_waitcnt lgkmcnt(0)
	v_mul_f32_e32 v24, v61, v24
.LBB76_81:
	s_or_b64 exec, exec, s[4:5]
	v_cmp_lt_u32_e64 s[2:3], 5, v0
	ds_write_b32 v60, v23
	s_waitcnt lgkmcnt(0)
	; wave barrier
	s_and_saveexec_b64 s[4:5], s[2:3]
	s_cbranch_execz .LBB76_97
; %bb.82:
	s_andn2_b64 vcc, exec, s[26:27]
	s_cbranch_vccnz .LBB76_84
; %bb.83:
	v_cmp_eq_u32_e32 vcc, 1, v0
	v_cndmask_b32_e32 v61, v18, v19, vcc
	v_cmp_eq_u32_e32 vcc, 2, v0
	v_cndmask_b32_e32 v61, v61, v20, vcc
	;; [unrolled: 2-line block ×8, first 2 shown]
	v_cmp_eq_u32_e32 vcc, 9, v0
	ds_read_b32 v62, v60
	v_cndmask_b32_e32 v61, v61, v27, vcc
	v_cmp_eq_u32_e32 vcc, 10, v0
	v_cndmask_b32_e32 v61, v61, v28, vcc
	v_cmp_eq_u32_e32 vcc, 11, v0
	;; [unrolled: 2-line block ×3, first 2 shown]
	v_cndmask_b32_e32 v61, v61, v30, vcc
	s_waitcnt lgkmcnt(0)
	v_mul_f32_e32 v61, v61, v62
	s_cbranch_execz .LBB76_85
	s_branch .LBB76_86
.LBB76_84:
                                        ; implicit-def: $vgpr61
.LBB76_85:
	ds_read_b32 v61, v60
.LBB76_86:
	s_and_saveexec_b64 s[6:7], s[0:1]
	s_cbranch_execz .LBB76_96
; %bb.87:
	v_add_u32_e32 v64, -7, v0
	v_add_u32_e32 v63, -6, v0
	v_mov_b32_e32 v62, 6
	v_cmp_lt_u32_e32 vcc, 6, v64
	s_and_saveexec_b64 s[0:1], vcc
	s_cbranch_execz .LBB76_91
; %bb.88:
	v_and_b32_e32 v62, -8, v63
	v_sub_u32_e32 v64, 0, v62
	s_mov_b64 s[8:9], 13
	s_movk_i32 s12, 0x58
	s_mov_b64 s[10:11], 0
.LBB76_89:                              ; =>This Inner Loop Header: Depth=1
	s_add_i32 s13, s8, -7
	v_mov_b32_e32 v62, s12
	s_add_i32 s14, s8, -6
	s_set_gpr_idx_on s13, gpr_idx(SRC0)
	v_mov_b32_e32 v73, v18
	s_set_gpr_idx_off
	ds_read2_b64 v[65:68], v62 offset1:1
	s_add_i32 s15, s8, -5
	s_set_gpr_idx_on s14, gpr_idx(SRC0)
	v_mov_b32_e32 v74, v18
	s_set_gpr_idx_off
	s_add_i32 s16, s8, -4
	s_set_gpr_idx_on s15, gpr_idx(SRC0)
	v_mov_b32_e32 v75, v18
	s_set_gpr_idx_off
	s_add_i32 s17, s8, -3
	s_set_gpr_idx_on s16, gpr_idx(SRC0)
	v_mov_b32_e32 v76, v18
	s_set_gpr_idx_off
	s_add_i32 s18, s8, -2
	s_set_gpr_idx_on s17, gpr_idx(SRC0)
	v_mov_b32_e32 v77, v18
	s_set_gpr_idx_off
	ds_read2_b64 v[69:72], v62 offset0:2 offset1:3
	s_add_i32 s19, s8, -1
	s_waitcnt lgkmcnt(1)
	v_fmac_f32_e32 v61, v73, v65
	s_set_gpr_idx_on s18, gpr_idx(SRC0)
	v_mov_b32_e32 v65, v18
	s_set_gpr_idx_off
	v_fmac_f32_e32 v61, v74, v66
	s_set_gpr_idx_on s19, gpr_idx(SRC0)
	v_mov_b32_e32 v66, v18
	s_set_gpr_idx_off
	;; [unrolled: 4-line block ×3, first 2 shown]
	v_fmac_f32_e32 v61, v76, v68
	s_add_u32 s8, s8, 8
	s_waitcnt lgkmcnt(0)
	v_fmac_f32_e32 v61, v77, v69
	v_add_u32_e32 v62, s8, v64
	v_fmac_f32_e32 v61, v65, v70
	s_addc_u32 s9, s9, 0
	s_add_i32 s12, s12, 32
	s_add_i32 s13, s8, -7
	v_cmp_eq_u32_e32 vcc, 13, v62
	v_fmac_f32_e32 v61, v66, v71
	v_mov_b32_e32 v62, s13
	s_or_b64 s[10:11], vcc, s[10:11]
	v_fmac_f32_e32 v61, v67, v72
	s_andn2_b64 exec, exec, s[10:11]
	s_cbranch_execnz .LBB76_89
; %bb.90:
	s_or_b64 exec, exec, s[10:11]
.LBB76_91:
	s_or_b64 exec, exec, s[0:1]
	v_and_b32_e32 v31, 7, v63
	v_cmp_ne_u32_e32 vcc, 0, v31
	s_and_saveexec_b64 s[8:9], vcc
	s_cbranch_execz .LBB76_95
; %bb.92:
	v_lshl_add_u32 v32, v62, 2, 64
	v_mov_b32_e32 v33, 0
	s_mov_b64 s[10:11], 0
.LBB76_93:                              ; =>This Inner Loop Header: Depth=1
	v_cmp_eq_u32_e32 vcc, 1, v62
	v_cndmask_b32_e32 v63, v18, v19, vcc
	v_add_u32_e32 v31, -1, v31
	v_cmp_eq_u32_e32 vcc, 2, v62
	v_cndmask_b32_e32 v63, v63, v20, vcc
	v_cmp_eq_u32_e32 vcc, 0, v31
	v_cmp_eq_u32_e64 s[0:1], 3, v62
	v_cndmask_b32_e64 v63, v63, v21, s[0:1]
	s_or_b64 s[10:11], vcc, s[10:11]
	v_cmp_eq_u32_e32 vcc, 4, v62
	v_cndmask_b32_e32 v63, v63, v22, vcc
	v_cmp_eq_u32_e32 vcc, 5, v62
	v_cndmask_b32_e32 v63, v63, v23, vcc
	v_cmp_eq_u32_e32 vcc, 6, v62
	v_cndmask_b32_e32 v63, v63, v24, vcc
	v_cmp_eq_u32_e32 vcc, 7, v62
	v_cndmask_b32_e32 v63, v63, v25, vcc
	v_cmp_eq_u32_e32 vcc, 8, v62
	ds_read_b32 v64, v32
	v_cndmask_b32_e32 v63, v63, v26, vcc
	v_cmp_eq_u32_e32 vcc, 9, v62
	v_cndmask_b32_e32 v63, v63, v27, vcc
	v_cmp_eq_u32_e32 vcc, 10, v62
	;; [unrolled: 2-line block ×4, first 2 shown]
	v_add_co_u32_e64 v62, s[0:1], 1, v62
	v_cndmask_b32_e32 v63, v63, v30, vcc
	v_add_u32_e32 v32, 4, v32
	v_addc_co_u32_e64 v33, s[0:1], 0, v33, s[0:1]
	s_waitcnt lgkmcnt(0)
	v_fmac_f32_e32 v61, v63, v64
	s_andn2_b64 exec, exec, s[10:11]
	s_cbranch_execnz .LBB76_93
; %bb.94:
	s_or_b64 exec, exec, s[10:11]
.LBB76_95:
	s_or_b64 exec, exec, s[8:9]
.LBB76_96:
	s_or_b64 exec, exec, s[6:7]
	v_mov_b32_e32 v23, 0
	ds_read_b32 v23, v23 offset:20
	s_waitcnt lgkmcnt(0)
	v_mul_f32_e32 v23, v61, v23
.LBB76_97:
	s_or_b64 exec, exec, s[4:5]
	v_cmp_lt_u32_e64 s[0:1], 4, v0
	ds_write_b32 v60, v22
	s_waitcnt lgkmcnt(0)
	; wave barrier
	s_and_saveexec_b64 s[4:5], s[0:1]
	s_cbranch_execz .LBB76_113
; %bb.98:
	s_andn2_b64 vcc, exec, s[26:27]
	s_cbranch_vccnz .LBB76_100
; %bb.99:
	v_cmp_eq_u32_e32 vcc, 1, v0
	v_cndmask_b32_e32 v61, v18, v19, vcc
	v_cmp_eq_u32_e32 vcc, 2, v0
	v_cndmask_b32_e32 v61, v61, v20, vcc
	;; [unrolled: 2-line block ×8, first 2 shown]
	v_cmp_eq_u32_e32 vcc, 9, v0
	ds_read_b32 v62, v60
	v_cndmask_b32_e32 v61, v61, v27, vcc
	v_cmp_eq_u32_e32 vcc, 10, v0
	v_cndmask_b32_e32 v61, v61, v28, vcc
	v_cmp_eq_u32_e32 vcc, 11, v0
	;; [unrolled: 2-line block ×3, first 2 shown]
	v_cndmask_b32_e32 v61, v61, v30, vcc
	s_waitcnt lgkmcnt(0)
	v_mul_f32_e32 v61, v61, v62
	s_cbranch_execz .LBB76_101
	s_branch .LBB76_102
.LBB76_100:
                                        ; implicit-def: $vgpr61
.LBB76_101:
	ds_read_b32 v61, v60
.LBB76_102:
	s_and_saveexec_b64 s[6:7], s[2:3]
	s_cbranch_execz .LBB76_112
; %bb.103:
	v_add_u32_e32 v62, -6, v0
	v_add_u32_e32 v63, -5, v0
	v_cmp_lt_u32_e32 vcc, 6, v62
	v_mov_b32_e32 v62, 5
	s_and_saveexec_b64 s[2:3], vcc
	s_cbranch_execz .LBB76_107
; %bb.104:
	v_and_b32_e32 v62, -8, v63
	v_sub_u32_e32 v64, 0, v62
	s_mov_b64 s[8:9], 12
	s_movk_i32 s12, 0x54
	s_mov_b64 s[10:11], 0
.LBB76_105:                             ; =>This Inner Loop Header: Depth=1
	s_add_i32 s13, s8, -7
	v_mov_b32_e32 v62, s12
	s_add_i32 s14, s8, -6
	s_set_gpr_idx_on s13, gpr_idx(SRC0)
	v_mov_b32_e32 v71, v18
	s_set_gpr_idx_off
	ds_read2_b32 v[65:66], v62 offset1:1
	s_add_i32 s15, s8, -5
	s_set_gpr_idx_on s14, gpr_idx(SRC0)
	v_mov_b32_e32 v72, v18
	s_set_gpr_idx_off
	s_add_i32 s16, s8, -4
	s_set_gpr_idx_on s15, gpr_idx(SRC0)
	v_mov_b32_e32 v73, v18
	s_set_gpr_idx_off
	ds_read2_b32 v[67:68], v62 offset0:2 offset1:3
	s_add_i32 s17, s8, -3
	s_set_gpr_idx_on s16, gpr_idx(SRC0)
	v_mov_b32_e32 v74, v18
	s_set_gpr_idx_off
	s_add_i32 s18, s8, -2
	s_set_gpr_idx_on s17, gpr_idx(SRC0)
	v_mov_b32_e32 v75, v18
	s_set_gpr_idx_off
	ds_read2_b32 v[69:70], v62 offset0:4 offset1:5
	s_add_i32 s19, s8, -1
	s_waitcnt lgkmcnt(2)
	v_fmac_f32_e32 v61, v71, v65
	s_set_gpr_idx_on s18, gpr_idx(SRC0)
	v_mov_b32_e32 v71, v18
	s_set_gpr_idx_off
	v_fmac_f32_e32 v61, v72, v66
	s_set_gpr_idx_on s19, gpr_idx(SRC0)
	v_mov_b32_e32 v72, v18
	s_set_gpr_idx_off
	ds_read2_b32 v[65:66], v62 offset0:6 offset1:7
	s_waitcnt lgkmcnt(2)
	v_fmac_f32_e32 v61, v73, v67
	s_set_gpr_idx_on s8, gpr_idx(SRC0)
	v_mov_b32_e32 v67, v18
	s_set_gpr_idx_off
	v_fmac_f32_e32 v61, v74, v68
	s_add_u32 s8, s8, 8
	s_waitcnt lgkmcnt(1)
	v_fmac_f32_e32 v61, v75, v69
	v_add_u32_e32 v62, s8, v64
	v_fmac_f32_e32 v61, v71, v70
	s_addc_u32 s9, s9, 0
	s_add_i32 s12, s12, 32
	s_add_i32 s13, s8, -7
	v_cmp_eq_u32_e32 vcc, 12, v62
	s_waitcnt lgkmcnt(0)
	v_fmac_f32_e32 v61, v72, v65
	v_mov_b32_e32 v62, s13
	s_or_b64 s[10:11], vcc, s[10:11]
	v_fmac_f32_e32 v61, v67, v66
	s_andn2_b64 exec, exec, s[10:11]
	s_cbranch_execnz .LBB76_105
; %bb.106:
	s_or_b64 exec, exec, s[10:11]
.LBB76_107:
	s_or_b64 exec, exec, s[2:3]
	v_and_b32_e32 v31, 7, v63
	v_cmp_ne_u32_e32 vcc, 0, v31
	s_and_saveexec_b64 s[8:9], vcc
	s_cbranch_execz .LBB76_111
; %bb.108:
	v_lshl_add_u32 v32, v62, 2, 64
	v_mov_b32_e32 v33, 0
	s_mov_b64 s[10:11], 0
.LBB76_109:                             ; =>This Inner Loop Header: Depth=1
	v_cmp_eq_u32_e32 vcc, 1, v62
	v_cndmask_b32_e32 v63, v18, v19, vcc
	v_add_u32_e32 v31, -1, v31
	v_cmp_eq_u32_e32 vcc, 2, v62
	v_cndmask_b32_e32 v63, v63, v20, vcc
	v_cmp_eq_u32_e32 vcc, 0, v31
	v_cmp_eq_u32_e64 s[2:3], 3, v62
	v_cndmask_b32_e64 v63, v63, v21, s[2:3]
	s_or_b64 s[10:11], vcc, s[10:11]
	v_cmp_eq_u32_e32 vcc, 4, v62
	v_cndmask_b32_e32 v63, v63, v22, vcc
	v_cmp_eq_u32_e32 vcc, 5, v62
	v_cndmask_b32_e32 v63, v63, v23, vcc
	;; [unrolled: 2-line block ×4, first 2 shown]
	v_cmp_eq_u32_e32 vcc, 8, v62
	ds_read_b32 v64, v32
	v_cndmask_b32_e32 v63, v63, v26, vcc
	v_cmp_eq_u32_e32 vcc, 9, v62
	v_cndmask_b32_e32 v63, v63, v27, vcc
	v_cmp_eq_u32_e32 vcc, 10, v62
	;; [unrolled: 2-line block ×4, first 2 shown]
	v_add_co_u32_e64 v62, s[2:3], 1, v62
	v_cndmask_b32_e32 v63, v63, v30, vcc
	v_add_u32_e32 v32, 4, v32
	v_addc_co_u32_e64 v33, s[2:3], 0, v33, s[2:3]
	s_waitcnt lgkmcnt(0)
	v_fmac_f32_e32 v61, v63, v64
	s_andn2_b64 exec, exec, s[10:11]
	s_cbranch_execnz .LBB76_109
; %bb.110:
	s_or_b64 exec, exec, s[10:11]
.LBB76_111:
	s_or_b64 exec, exec, s[8:9]
.LBB76_112:
	s_or_b64 exec, exec, s[6:7]
	v_mov_b32_e32 v22, 0
	ds_read_b32 v22, v22 offset:16
	s_waitcnt lgkmcnt(0)
	v_mul_f32_e32 v22, v61, v22
.LBB76_113:
	s_or_b64 exec, exec, s[4:5]
	v_cmp_lt_u32_e64 s[2:3], 3, v0
	ds_write_b32 v60, v21
	s_waitcnt lgkmcnt(0)
	; wave barrier
	s_and_saveexec_b64 s[4:5], s[2:3]
	s_cbranch_execz .LBB76_129
; %bb.114:
	s_andn2_b64 vcc, exec, s[26:27]
	s_cbranch_vccnz .LBB76_116
; %bb.115:
	v_cmp_eq_u32_e32 vcc, 1, v0
	v_cndmask_b32_e32 v61, v18, v19, vcc
	v_cmp_eq_u32_e32 vcc, 2, v0
	v_cndmask_b32_e32 v61, v61, v20, vcc
	;; [unrolled: 2-line block ×8, first 2 shown]
	v_cmp_eq_u32_e32 vcc, 9, v0
	ds_read_b32 v62, v60
	v_cndmask_b32_e32 v61, v61, v27, vcc
	v_cmp_eq_u32_e32 vcc, 10, v0
	v_cndmask_b32_e32 v61, v61, v28, vcc
	v_cmp_eq_u32_e32 vcc, 11, v0
	;; [unrolled: 2-line block ×3, first 2 shown]
	v_cndmask_b32_e32 v61, v61, v30, vcc
	s_waitcnt lgkmcnt(0)
	v_mul_f32_e32 v61, v61, v62
	s_cbranch_execz .LBB76_117
	s_branch .LBB76_118
.LBB76_116:
                                        ; implicit-def: $vgpr61
.LBB76_117:
	ds_read_b32 v61, v60
.LBB76_118:
	s_and_saveexec_b64 s[6:7], s[0:1]
	s_cbranch_execz .LBB76_128
; %bb.119:
	v_add_u32_e32 v62, -5, v0
	v_add_u32_e32 v63, -4, v0
	v_cmp_lt_u32_e32 vcc, 6, v62
	v_mov_b32_e32 v62, 4
	s_and_saveexec_b64 s[0:1], vcc
	s_cbranch_execz .LBB76_123
; %bb.120:
	v_and_b32_e32 v62, -8, v63
	v_sub_u32_e32 v64, 0, v62
	s_mov_b64 s[8:9], 5
	s_movk_i32 s12, 0x50
	s_mov_b64 s[10:11], 0
.LBB76_121:                             ; =>This Inner Loop Header: Depth=1
	s_add_i32 s13, s8, -1
	v_mov_b32_e32 v62, s12
	s_set_gpr_idx_on s13, gpr_idx(SRC0)
	v_mov_b32_e32 v73, v18
	s_set_gpr_idx_off
	s_add_i32 s14, s8, 1
	ds_read_b128 v[65:68], v62
	ds_read_b128 v[69:72], v62 offset:16
	s_set_gpr_idx_on s8, gpr_idx(SRC0)
	v_mov_b32_e32 v74, v18
	s_set_gpr_idx_off
	s_add_i32 s15, s8, 2
	s_set_gpr_idx_on s14, gpr_idx(SRC0)
	v_mov_b32_e32 v75, v18
	s_set_gpr_idx_off
	s_add_i32 s16, s8, 3
	;; [unrolled: 4-line block ×4, first 2 shown]
	s_waitcnt lgkmcnt(1)
	v_fmac_f32_e32 v61, v73, v65
	s_set_gpr_idx_on s17, gpr_idx(SRC0)
	v_mov_b32_e32 v65, v18
	s_set_gpr_idx_off
	s_add_i32 s19, s8, 6
	v_fmac_f32_e32 v61, v74, v66
	s_set_gpr_idx_on s18, gpr_idx(SRC0)
	v_mov_b32_e32 v66, v18
	s_set_gpr_idx_off
	v_fmac_f32_e32 v61, v75, v67
	s_set_gpr_idx_on s19, gpr_idx(SRC0)
	v_mov_b32_e32 v67, v18
	s_set_gpr_idx_off
	v_fmac_f32_e32 v61, v76, v68
	s_add_u32 s8, s8, 8
	s_waitcnt lgkmcnt(0)
	v_fmac_f32_e32 v61, v77, v69
	v_add_u32_e32 v62, s8, v64
	v_fmac_f32_e32 v61, v65, v70
	s_addc_u32 s9, s9, 0
	s_add_i32 s12, s12, 32
	s_add_i32 s13, s8, -1
	v_cmp_eq_u32_e32 vcc, 5, v62
	v_fmac_f32_e32 v61, v66, v71
	v_mov_b32_e32 v62, s13
	s_or_b64 s[10:11], vcc, s[10:11]
	v_fmac_f32_e32 v61, v67, v72
	s_andn2_b64 exec, exec, s[10:11]
	s_cbranch_execnz .LBB76_121
; %bb.122:
	s_or_b64 exec, exec, s[10:11]
.LBB76_123:
	s_or_b64 exec, exec, s[0:1]
	v_and_b32_e32 v31, 7, v63
	v_cmp_ne_u32_e32 vcc, 0, v31
	s_and_saveexec_b64 s[8:9], vcc
	s_cbranch_execz .LBB76_127
; %bb.124:
	v_lshl_add_u32 v32, v62, 2, 64
	v_mov_b32_e32 v33, 0
	s_mov_b64 s[10:11], 0
.LBB76_125:                             ; =>This Inner Loop Header: Depth=1
	v_cmp_eq_u32_e32 vcc, 1, v62
	v_cndmask_b32_e32 v63, v18, v19, vcc
	v_add_u32_e32 v31, -1, v31
	v_cmp_eq_u32_e32 vcc, 2, v62
	v_cndmask_b32_e32 v63, v63, v20, vcc
	v_cmp_eq_u32_e32 vcc, 0, v31
	v_cmp_eq_u32_e64 s[0:1], 3, v62
	v_cndmask_b32_e64 v63, v63, v21, s[0:1]
	s_or_b64 s[10:11], vcc, s[10:11]
	v_cmp_eq_u32_e32 vcc, 4, v62
	v_cndmask_b32_e32 v63, v63, v22, vcc
	v_cmp_eq_u32_e32 vcc, 5, v62
	v_cndmask_b32_e32 v63, v63, v23, vcc
	v_cmp_eq_u32_e32 vcc, 6, v62
	v_cndmask_b32_e32 v63, v63, v24, vcc
	v_cmp_eq_u32_e32 vcc, 7, v62
	v_cndmask_b32_e32 v63, v63, v25, vcc
	v_cmp_eq_u32_e32 vcc, 8, v62
	ds_read_b32 v64, v32
	v_cndmask_b32_e32 v63, v63, v26, vcc
	v_cmp_eq_u32_e32 vcc, 9, v62
	v_cndmask_b32_e32 v63, v63, v27, vcc
	v_cmp_eq_u32_e32 vcc, 10, v62
	;; [unrolled: 2-line block ×4, first 2 shown]
	v_add_co_u32_e64 v62, s[0:1], 1, v62
	v_cndmask_b32_e32 v63, v63, v30, vcc
	v_add_u32_e32 v32, 4, v32
	v_addc_co_u32_e64 v33, s[0:1], 0, v33, s[0:1]
	s_waitcnt lgkmcnt(0)
	v_fmac_f32_e32 v61, v63, v64
	s_andn2_b64 exec, exec, s[10:11]
	s_cbranch_execnz .LBB76_125
; %bb.126:
	s_or_b64 exec, exec, s[10:11]
.LBB76_127:
	s_or_b64 exec, exec, s[8:9]
.LBB76_128:
	s_or_b64 exec, exec, s[6:7]
	v_mov_b32_e32 v21, 0
	ds_read_b32 v21, v21 offset:12
	s_waitcnt lgkmcnt(0)
	v_mul_f32_e32 v21, v61, v21
.LBB76_129:
	s_or_b64 exec, exec, s[4:5]
	v_cmp_lt_u32_e64 s[0:1], 2, v0
	ds_write_b32 v60, v20
	s_waitcnt lgkmcnt(0)
	; wave barrier
	s_and_saveexec_b64 s[4:5], s[0:1]
	s_cbranch_execz .LBB76_145
; %bb.130:
	s_andn2_b64 vcc, exec, s[26:27]
	s_cbranch_vccnz .LBB76_132
; %bb.131:
	v_cmp_eq_u32_e32 vcc, 1, v0
	v_cndmask_b32_e32 v61, v18, v19, vcc
	v_cmp_eq_u32_e32 vcc, 2, v0
	v_cndmask_b32_e32 v61, v61, v20, vcc
	;; [unrolled: 2-line block ×8, first 2 shown]
	v_cmp_eq_u32_e32 vcc, 9, v0
	ds_read_b32 v62, v60
	v_cndmask_b32_e32 v61, v61, v27, vcc
	v_cmp_eq_u32_e32 vcc, 10, v0
	v_cndmask_b32_e32 v61, v61, v28, vcc
	v_cmp_eq_u32_e32 vcc, 11, v0
	;; [unrolled: 2-line block ×3, first 2 shown]
	v_cndmask_b32_e32 v61, v61, v30, vcc
	s_waitcnt lgkmcnt(0)
	v_mul_f32_e32 v61, v61, v62
	s_cbranch_execz .LBB76_133
	s_branch .LBB76_134
.LBB76_132:
                                        ; implicit-def: $vgpr61
.LBB76_133:
	ds_read_b32 v61, v60
.LBB76_134:
	s_and_saveexec_b64 s[6:7], s[2:3]
	s_cbranch_execz .LBB76_144
; %bb.135:
	v_add_u32_e32 v62, -4, v0
	v_add_u32_e32 v63, -3, v0
	v_cmp_lt_u32_e32 vcc, 6, v62
	v_mov_b32_e32 v62, 3
	s_and_saveexec_b64 s[2:3], vcc
	s_cbranch_execz .LBB76_139
; %bb.136:
	v_and_b32_e32 v62, -8, v63
	v_sub_u32_e32 v64, 0, v62
	s_mov_b64 s[8:9], 10
	s_movk_i32 s12, 0x4c
	s_mov_b64 s[10:11], 0
.LBB76_137:                             ; =>This Inner Loop Header: Depth=1
	s_add_i32 s13, s8, -7
	v_mov_b32_e32 v62, s12
	s_add_i32 s14, s8, -6
	s_set_gpr_idx_on s13, gpr_idx(SRC0)
	v_mov_b32_e32 v71, v18
	s_set_gpr_idx_off
	ds_read2_b32 v[65:66], v62 offset1:1
	s_add_i32 s15, s8, -5
	s_set_gpr_idx_on s14, gpr_idx(SRC0)
	v_mov_b32_e32 v72, v18
	s_set_gpr_idx_off
	s_add_i32 s16, s8, -4
	s_set_gpr_idx_on s15, gpr_idx(SRC0)
	v_mov_b32_e32 v73, v18
	s_set_gpr_idx_off
	ds_read2_b32 v[67:68], v62 offset0:2 offset1:3
	s_add_i32 s17, s8, -3
	s_set_gpr_idx_on s16, gpr_idx(SRC0)
	v_mov_b32_e32 v74, v18
	s_set_gpr_idx_off
	s_add_i32 s18, s8, -2
	s_set_gpr_idx_on s17, gpr_idx(SRC0)
	v_mov_b32_e32 v75, v18
	s_set_gpr_idx_off
	ds_read2_b32 v[69:70], v62 offset0:4 offset1:5
	s_add_i32 s19, s8, -1
	s_waitcnt lgkmcnt(2)
	v_fmac_f32_e32 v61, v71, v65
	s_set_gpr_idx_on s18, gpr_idx(SRC0)
	v_mov_b32_e32 v71, v18
	s_set_gpr_idx_off
	v_fmac_f32_e32 v61, v72, v66
	s_set_gpr_idx_on s19, gpr_idx(SRC0)
	v_mov_b32_e32 v72, v18
	s_set_gpr_idx_off
	ds_read2_b32 v[65:66], v62 offset0:6 offset1:7
	s_waitcnt lgkmcnt(2)
	v_fmac_f32_e32 v61, v73, v67
	s_set_gpr_idx_on s8, gpr_idx(SRC0)
	v_mov_b32_e32 v67, v18
	s_set_gpr_idx_off
	v_fmac_f32_e32 v61, v74, v68
	s_add_u32 s8, s8, 8
	s_waitcnt lgkmcnt(1)
	v_fmac_f32_e32 v61, v75, v69
	v_add_u32_e32 v62, s8, v64
	v_fmac_f32_e32 v61, v71, v70
	s_addc_u32 s9, s9, 0
	s_add_i32 s12, s12, 32
	s_add_i32 s13, s8, -7
	v_cmp_eq_u32_e32 vcc, 10, v62
	s_waitcnt lgkmcnt(0)
	v_fmac_f32_e32 v61, v72, v65
	v_mov_b32_e32 v62, s13
	s_or_b64 s[10:11], vcc, s[10:11]
	v_fmac_f32_e32 v61, v67, v66
	s_andn2_b64 exec, exec, s[10:11]
	s_cbranch_execnz .LBB76_137
; %bb.138:
	s_or_b64 exec, exec, s[10:11]
.LBB76_139:
	s_or_b64 exec, exec, s[2:3]
	v_and_b32_e32 v31, 7, v63
	v_cmp_ne_u32_e32 vcc, 0, v31
	s_and_saveexec_b64 s[8:9], vcc
	s_cbranch_execz .LBB76_143
; %bb.140:
	v_lshl_add_u32 v32, v62, 2, 64
	v_mov_b32_e32 v33, 0
	s_mov_b64 s[10:11], 0
.LBB76_141:                             ; =>This Inner Loop Header: Depth=1
	v_cmp_eq_u32_e32 vcc, 1, v62
	v_cndmask_b32_e32 v63, v18, v19, vcc
	v_add_u32_e32 v31, -1, v31
	v_cmp_eq_u32_e32 vcc, 2, v62
	v_cndmask_b32_e32 v63, v63, v20, vcc
	v_cmp_eq_u32_e32 vcc, 0, v31
	v_cmp_eq_u32_e64 s[2:3], 3, v62
	v_cndmask_b32_e64 v63, v63, v21, s[2:3]
	s_or_b64 s[10:11], vcc, s[10:11]
	v_cmp_eq_u32_e32 vcc, 4, v62
	v_cndmask_b32_e32 v63, v63, v22, vcc
	v_cmp_eq_u32_e32 vcc, 5, v62
	v_cndmask_b32_e32 v63, v63, v23, vcc
	;; [unrolled: 2-line block ×4, first 2 shown]
	v_cmp_eq_u32_e32 vcc, 8, v62
	ds_read_b32 v64, v32
	v_cndmask_b32_e32 v63, v63, v26, vcc
	v_cmp_eq_u32_e32 vcc, 9, v62
	v_cndmask_b32_e32 v63, v63, v27, vcc
	v_cmp_eq_u32_e32 vcc, 10, v62
	;; [unrolled: 2-line block ×4, first 2 shown]
	v_add_co_u32_e64 v62, s[2:3], 1, v62
	v_cndmask_b32_e32 v63, v63, v30, vcc
	v_add_u32_e32 v32, 4, v32
	v_addc_co_u32_e64 v33, s[2:3], 0, v33, s[2:3]
	s_waitcnt lgkmcnt(0)
	v_fmac_f32_e32 v61, v63, v64
	s_andn2_b64 exec, exec, s[10:11]
	s_cbranch_execnz .LBB76_141
; %bb.142:
	s_or_b64 exec, exec, s[10:11]
.LBB76_143:
	s_or_b64 exec, exec, s[8:9]
.LBB76_144:
	s_or_b64 exec, exec, s[6:7]
	v_mov_b32_e32 v20, 0
	ds_read_b32 v20, v20 offset:8
	s_waitcnt lgkmcnt(0)
	v_mul_f32_e32 v20, v61, v20
.LBB76_145:
	s_or_b64 exec, exec, s[4:5]
	v_cmp_lt_u32_e64 s[2:3], 1, v0
	ds_write_b32 v60, v19
	s_waitcnt lgkmcnt(0)
	; wave barrier
	s_and_saveexec_b64 s[4:5], s[2:3]
	s_cbranch_execz .LBB76_161
; %bb.146:
	s_andn2_b64 vcc, exec, s[26:27]
	s_cbranch_vccnz .LBB76_148
; %bb.147:
	v_cmp_eq_u32_e32 vcc, 1, v0
	v_cndmask_b32_e32 v61, v18, v19, vcc
	v_cmp_eq_u32_e32 vcc, 2, v0
	v_cndmask_b32_e32 v61, v61, v20, vcc
	;; [unrolled: 2-line block ×8, first 2 shown]
	v_cmp_eq_u32_e32 vcc, 9, v0
	ds_read_b32 v62, v60
	v_cndmask_b32_e32 v61, v61, v27, vcc
	v_cmp_eq_u32_e32 vcc, 10, v0
	v_cndmask_b32_e32 v61, v61, v28, vcc
	v_cmp_eq_u32_e32 vcc, 11, v0
	;; [unrolled: 2-line block ×3, first 2 shown]
	v_cndmask_b32_e32 v61, v61, v30, vcc
	s_waitcnt lgkmcnt(0)
	v_mul_f32_e32 v61, v61, v62
	s_cbranch_execz .LBB76_149
	s_branch .LBB76_150
.LBB76_148:
                                        ; implicit-def: $vgpr61
.LBB76_149:
	ds_read_b32 v61, v60
.LBB76_150:
	s_and_saveexec_b64 s[6:7], s[0:1]
	s_cbranch_execz .LBB76_160
; %bb.151:
	v_add_u32_e32 v62, -3, v0
	v_add_u32_e32 v63, -2, v0
	v_cmp_lt_u32_e32 vcc, 6, v62
	v_mov_b32_e32 v62, 2
	s_and_saveexec_b64 s[0:1], vcc
	s_cbranch_execz .LBB76_155
; %bb.152:
	v_and_b32_e32 v62, -8, v63
	v_sub_u32_e32 v64, 0, v62
	s_mov_b64 s[8:9], 9
	s_movk_i32 s12, 0x48
	s_mov_b64 s[10:11], 0
.LBB76_153:                             ; =>This Inner Loop Header: Depth=1
	s_add_i32 s13, s8, -7
	v_mov_b32_e32 v62, s12
	s_add_i32 s14, s8, -6
	s_set_gpr_idx_on s13, gpr_idx(SRC0)
	v_mov_b32_e32 v73, v18
	s_set_gpr_idx_off
	ds_read2_b64 v[65:68], v62 offset1:1
	s_add_i32 s15, s8, -5
	s_set_gpr_idx_on s14, gpr_idx(SRC0)
	v_mov_b32_e32 v74, v18
	s_set_gpr_idx_off
	s_add_i32 s16, s8, -4
	s_set_gpr_idx_on s15, gpr_idx(SRC0)
	v_mov_b32_e32 v75, v18
	s_set_gpr_idx_off
	;; [unrolled: 4-line block ×4, first 2 shown]
	ds_read2_b64 v[69:72], v62 offset0:2 offset1:3
	s_add_i32 s19, s8, -1
	s_waitcnt lgkmcnt(1)
	v_fmac_f32_e32 v61, v73, v65
	s_set_gpr_idx_on s18, gpr_idx(SRC0)
	v_mov_b32_e32 v65, v18
	s_set_gpr_idx_off
	v_fmac_f32_e32 v61, v74, v66
	s_set_gpr_idx_on s19, gpr_idx(SRC0)
	v_mov_b32_e32 v66, v18
	s_set_gpr_idx_off
	v_fmac_f32_e32 v61, v75, v67
	s_set_gpr_idx_on s8, gpr_idx(SRC0)
	v_mov_b32_e32 v67, v18
	s_set_gpr_idx_off
	v_fmac_f32_e32 v61, v76, v68
	s_add_u32 s8, s8, 8
	s_waitcnt lgkmcnt(0)
	v_fmac_f32_e32 v61, v77, v69
	v_add_u32_e32 v62, s8, v64
	v_fmac_f32_e32 v61, v65, v70
	s_addc_u32 s9, s9, 0
	s_add_i32 s12, s12, 32
	s_add_i32 s13, s8, -7
	v_cmp_eq_u32_e32 vcc, 9, v62
	v_fmac_f32_e32 v61, v66, v71
	v_mov_b32_e32 v62, s13
	s_or_b64 s[10:11], vcc, s[10:11]
	v_fmac_f32_e32 v61, v67, v72
	s_andn2_b64 exec, exec, s[10:11]
	s_cbranch_execnz .LBB76_153
; %bb.154:
	s_or_b64 exec, exec, s[10:11]
.LBB76_155:
	s_or_b64 exec, exec, s[0:1]
	v_and_b32_e32 v31, 7, v63
	v_cmp_ne_u32_e32 vcc, 0, v31
	s_and_saveexec_b64 s[8:9], vcc
	s_cbranch_execz .LBB76_159
; %bb.156:
	v_lshl_add_u32 v32, v62, 2, 64
	v_mov_b32_e32 v33, 0
	s_mov_b64 s[10:11], 0
.LBB76_157:                             ; =>This Inner Loop Header: Depth=1
	v_cmp_eq_u32_e32 vcc, 1, v62
	v_cndmask_b32_e32 v63, v18, v19, vcc
	v_add_u32_e32 v31, -1, v31
	v_cmp_eq_u32_e32 vcc, 2, v62
	v_cndmask_b32_e32 v63, v63, v20, vcc
	v_cmp_eq_u32_e32 vcc, 0, v31
	v_cmp_eq_u32_e64 s[0:1], 3, v62
	v_cndmask_b32_e64 v63, v63, v21, s[0:1]
	s_or_b64 s[10:11], vcc, s[10:11]
	v_cmp_eq_u32_e32 vcc, 4, v62
	v_cndmask_b32_e32 v63, v63, v22, vcc
	v_cmp_eq_u32_e32 vcc, 5, v62
	v_cndmask_b32_e32 v63, v63, v23, vcc
	;; [unrolled: 2-line block ×4, first 2 shown]
	v_cmp_eq_u32_e32 vcc, 8, v62
	ds_read_b32 v64, v32
	v_cndmask_b32_e32 v63, v63, v26, vcc
	v_cmp_eq_u32_e32 vcc, 9, v62
	v_cndmask_b32_e32 v63, v63, v27, vcc
	v_cmp_eq_u32_e32 vcc, 10, v62
	;; [unrolled: 2-line block ×4, first 2 shown]
	v_add_co_u32_e64 v62, s[0:1], 1, v62
	v_cndmask_b32_e32 v63, v63, v30, vcc
	v_add_u32_e32 v32, 4, v32
	v_addc_co_u32_e64 v33, s[0:1], 0, v33, s[0:1]
	s_waitcnt lgkmcnt(0)
	v_fmac_f32_e32 v61, v63, v64
	s_andn2_b64 exec, exec, s[10:11]
	s_cbranch_execnz .LBB76_157
; %bb.158:
	s_or_b64 exec, exec, s[10:11]
.LBB76_159:
	s_or_b64 exec, exec, s[8:9]
.LBB76_160:
	s_or_b64 exec, exec, s[6:7]
	v_mov_b32_e32 v19, 0
	ds_read_b32 v19, v19 offset:4
	s_waitcnt lgkmcnt(0)
	v_mul_f32_e32 v19, v61, v19
.LBB76_161:
	s_or_b64 exec, exec, s[4:5]
	v_cmp_ne_u32_e32 vcc, 0, v0
	ds_write_b32 v60, v18
	s_waitcnt lgkmcnt(0)
	; wave barrier
	s_and_saveexec_b64 s[4:5], vcc
	s_cbranch_execz .LBB76_177
; %bb.162:
	s_andn2_b64 vcc, exec, s[26:27]
	s_cbranch_vccnz .LBB76_164
; %bb.163:
	v_cmp_eq_u32_e32 vcc, 1, v0
	v_cndmask_b32_e32 v61, v18, v19, vcc
	v_cmp_eq_u32_e32 vcc, 2, v0
	v_cndmask_b32_e32 v61, v61, v20, vcc
	;; [unrolled: 2-line block ×8, first 2 shown]
	v_cmp_eq_u32_e32 vcc, 9, v0
	ds_read_b32 v62, v60
	v_cndmask_b32_e32 v61, v61, v27, vcc
	v_cmp_eq_u32_e32 vcc, 10, v0
	v_cndmask_b32_e32 v61, v61, v28, vcc
	v_cmp_eq_u32_e32 vcc, 11, v0
	;; [unrolled: 2-line block ×3, first 2 shown]
	v_cndmask_b32_e32 v61, v61, v30, vcc
	s_waitcnt lgkmcnt(0)
	v_mul_f32_e32 v61, v61, v62
	s_cbranch_execz .LBB76_165
	s_branch .LBB76_166
.LBB76_164:
                                        ; implicit-def: $vgpr61
.LBB76_165:
	ds_read_b32 v61, v60
.LBB76_166:
	s_and_saveexec_b64 s[6:7], s[2:3]
	s_cbranch_execz .LBB76_176
; %bb.167:
	v_add_u32_e32 v62, -2, v0
	v_add_u32_e32 v63, -1, v0
	v_cmp_lt_u32_e32 vcc, 6, v62
	v_mov_b32_e32 v62, 1
	s_and_saveexec_b64 s[0:1], vcc
	s_cbranch_execz .LBB76_171
; %bb.168:
	v_and_b32_e32 v62, -8, v63
	v_sub_u32_e32 v64, 0, v62
	s_mov_b64 s[2:3], 8
	s_movk_i32 s10, 0x44
	s_mov_b64 s[8:9], 0
.LBB76_169:                             ; =>This Inner Loop Header: Depth=1
	s_add_i32 s11, s2, -7
	v_mov_b32_e32 v62, s10
	s_add_i32 s12, s2, -6
	s_set_gpr_idx_on s11, gpr_idx(SRC0)
	v_mov_b32_e32 v71, v18
	s_set_gpr_idx_off
	ds_read2_b32 v[65:66], v62 offset1:1
	s_add_i32 s13, s2, -5
	s_set_gpr_idx_on s12, gpr_idx(SRC0)
	v_mov_b32_e32 v72, v18
	s_set_gpr_idx_off
	s_add_i32 s14, s2, -4
	s_set_gpr_idx_on s13, gpr_idx(SRC0)
	v_mov_b32_e32 v73, v18
	s_set_gpr_idx_off
	ds_read2_b32 v[67:68], v62 offset0:2 offset1:3
	s_add_i32 s15, s2, -3
	s_set_gpr_idx_on s14, gpr_idx(SRC0)
	v_mov_b32_e32 v74, v18
	s_set_gpr_idx_off
	s_add_i32 s16, s2, -2
	s_set_gpr_idx_on s15, gpr_idx(SRC0)
	v_mov_b32_e32 v75, v18
	s_set_gpr_idx_off
	ds_read2_b32 v[69:70], v62 offset0:4 offset1:5
	s_add_i32 s17, s2, -1
	s_waitcnt lgkmcnt(2)
	v_fmac_f32_e32 v61, v71, v65
	s_set_gpr_idx_on s16, gpr_idx(SRC0)
	v_mov_b32_e32 v71, v18
	s_set_gpr_idx_off
	v_fmac_f32_e32 v61, v72, v66
	s_set_gpr_idx_on s17, gpr_idx(SRC0)
	v_mov_b32_e32 v72, v18
	s_set_gpr_idx_off
	ds_read2_b32 v[65:66], v62 offset0:6 offset1:7
	s_waitcnt lgkmcnt(2)
	v_fmac_f32_e32 v61, v73, v67
	s_set_gpr_idx_on s2, gpr_idx(SRC0)
	v_mov_b32_e32 v67, v18
	s_set_gpr_idx_off
	v_fmac_f32_e32 v61, v74, v68
	s_add_u32 s2, s2, 8
	s_waitcnt lgkmcnt(1)
	v_fmac_f32_e32 v61, v75, v69
	v_add_u32_e32 v62, s2, v64
	v_fmac_f32_e32 v61, v71, v70
	s_addc_u32 s3, s3, 0
	s_add_i32 s10, s10, 32
	s_add_i32 s11, s2, -7
	v_cmp_eq_u32_e32 vcc, 8, v62
	s_waitcnt lgkmcnt(0)
	v_fmac_f32_e32 v61, v72, v65
	v_mov_b32_e32 v62, s11
	s_or_b64 s[8:9], vcc, s[8:9]
	v_fmac_f32_e32 v61, v67, v66
	s_andn2_b64 exec, exec, s[8:9]
	s_cbranch_execnz .LBB76_169
; %bb.170:
	s_or_b64 exec, exec, s[8:9]
.LBB76_171:
	s_or_b64 exec, exec, s[0:1]
	v_and_b32_e32 v31, 7, v63
	v_cmp_ne_u32_e32 vcc, 0, v31
	s_and_saveexec_b64 s[2:3], vcc
	s_cbranch_execz .LBB76_175
; %bb.172:
	v_lshl_add_u32 v32, v62, 2, 64
	v_mov_b32_e32 v33, 0
	s_mov_b64 s[8:9], 0
.LBB76_173:                             ; =>This Inner Loop Header: Depth=1
	v_cmp_eq_u32_e32 vcc, 1, v62
	v_cndmask_b32_e32 v63, v18, v19, vcc
	v_add_u32_e32 v31, -1, v31
	v_cmp_eq_u32_e32 vcc, 2, v62
	v_cndmask_b32_e32 v63, v63, v20, vcc
	v_cmp_eq_u32_e32 vcc, 0, v31
	v_cmp_eq_u32_e64 s[0:1], 3, v62
	v_cndmask_b32_e64 v63, v63, v21, s[0:1]
	s_or_b64 s[8:9], vcc, s[8:9]
	v_cmp_eq_u32_e32 vcc, 4, v62
	v_cndmask_b32_e32 v63, v63, v22, vcc
	v_cmp_eq_u32_e32 vcc, 5, v62
	v_cndmask_b32_e32 v63, v63, v23, vcc
	;; [unrolled: 2-line block ×4, first 2 shown]
	v_cmp_eq_u32_e32 vcc, 8, v62
	ds_read_b32 v64, v32
	v_cndmask_b32_e32 v63, v63, v26, vcc
	v_cmp_eq_u32_e32 vcc, 9, v62
	v_cndmask_b32_e32 v63, v63, v27, vcc
	v_cmp_eq_u32_e32 vcc, 10, v62
	;; [unrolled: 2-line block ×4, first 2 shown]
	v_add_co_u32_e64 v62, s[0:1], 1, v62
	v_cndmask_b32_e32 v63, v63, v30, vcc
	v_add_u32_e32 v32, 4, v32
	v_addc_co_u32_e64 v33, s[0:1], 0, v33, s[0:1]
	s_waitcnt lgkmcnt(0)
	v_fmac_f32_e32 v61, v63, v64
	s_andn2_b64 exec, exec, s[8:9]
	s_cbranch_execnz .LBB76_173
; %bb.174:
	s_or_b64 exec, exec, s[8:9]
.LBB76_175:
	s_or_b64 exec, exec, s[2:3]
.LBB76_176:
	s_or_b64 exec, exec, s[6:7]
	v_mov_b32_e32 v18, 0
	ds_read_b32 v18, v18
	s_waitcnt lgkmcnt(0)
	v_mul_f32_e32 v18, v61, v18
.LBB76_177:
	s_or_b64 exec, exec, s[4:5]
	s_branch .LBB76_301
.LBB76_178:
	v_cmp_eq_u32_e64 s[2:3], 0, v0
	s_waitcnt vmcnt(0) lgkmcnt(0)
	ds_write_b32 v60, v3
	s_waitcnt lgkmcnt(0)
	; wave barrier
	s_and_saveexec_b64 s[0:1], s[2:3]
	s_cbranch_execz .LBB76_184
; %bb.179:
	s_and_b64 vcc, exec, s[26:27]
	s_cbranch_vccz .LBB76_181
; %bb.180:
	v_cmp_eq_u32_e32 vcc, 1, v0
	v_cndmask_b32_e32 v3, v2, v3, vcc
	v_cmp_eq_u32_e32 vcc, 2, v0
	v_cndmask_b32_e32 v3, v3, v4, vcc
	;; [unrolled: 2-line block ×8, first 2 shown]
	v_cmp_eq_u32_e32 vcc, 9, v0
	ds_read_b32 v15, v60
	v_cndmask_b32_e32 v3, v3, v11, vcc
	v_cmp_eq_u32_e32 vcc, 10, v0
	v_cndmask_b32_e32 v3, v3, v12, vcc
	v_cmp_eq_u32_e32 vcc, 11, v0
	v_cndmask_b32_e32 v3, v3, v13, vcc
	v_cmp_eq_u32_e32 vcc, 12, v0
	v_cndmask_b32_e32 v3, v3, v14, vcc
	s_waitcnt lgkmcnt(0)
	v_mul_f32_e32 v3, v3, v15
	s_cbranch_execz .LBB76_182
	s_branch .LBB76_183
.LBB76_181:
                                        ; implicit-def: $vgpr3
.LBB76_182:
	ds_read_b32 v3, v60
.LBB76_183:
	v_mov_b32_e32 v15, 0
	ds_read_b32 v15, v15 offset:4
	s_waitcnt lgkmcnt(0)
	v_mul_f32_e32 v3, v3, v15
.LBB76_184:
	s_or_b64 exec, exec, s[0:1]
	v_cndmask_b32_e64 v18, 0, 1, s[26:27]
	v_cmp_gt_u32_e32 vcc, 2, v0
	v_cmp_ne_u32_e64 s[0:1], 1, v18
	ds_write_b32 v60, v4
	s_waitcnt lgkmcnt(0)
	; wave barrier
	s_and_saveexec_b64 s[4:5], vcc
	s_cbranch_execz .LBB76_190
; %bb.185:
	s_and_b64 vcc, exec, s[0:1]
	s_cbranch_vccnz .LBB76_187
; %bb.186:
	v_cmp_eq_u32_e32 vcc, 1, v0
	v_cndmask_b32_e32 v15, v2, v3, vcc
	v_cmp_eq_u32_e32 vcc, 2, v0
	v_cndmask_b32_e32 v4, v15, v4, vcc
	;; [unrolled: 2-line block ×8, first 2 shown]
	v_cmp_eq_u32_e32 vcc, 9, v0
	ds_read_b32 v15, v60
	v_cndmask_b32_e32 v4, v4, v11, vcc
	v_cmp_eq_u32_e32 vcc, 10, v0
	v_cndmask_b32_e32 v4, v4, v12, vcc
	v_cmp_eq_u32_e32 vcc, 11, v0
	;; [unrolled: 2-line block ×3, first 2 shown]
	v_cndmask_b32_e32 v4, v4, v14, vcc
	s_waitcnt lgkmcnt(0)
	v_mul_f32_e32 v4, v4, v15
	s_cbranch_execz .LBB76_188
	s_branch .LBB76_189
.LBB76_187:
                                        ; implicit-def: $vgpr4
.LBB76_188:
	ds_read_b32 v4, v60
.LBB76_189:
	v_mov_b32_e32 v15, 0
	ds_read2_b32 v[15:16], v15 offset0:2 offset1:17
	s_waitcnt lgkmcnt(0)
	v_fma_f32 v16, v3, v16, v4
	v_cndmask_b32_e64 v4, v4, v16, s[2:3]
	v_mul_f32_e32 v4, v4, v15
.LBB76_190:
	s_or_b64 exec, exec, s[4:5]
	v_add_u32_e32 v18, 1, v0
	v_cmp_gt_u32_e64 s[4:5], 3, v0
	ds_write_b32 v60, v5
	s_waitcnt lgkmcnt(0)
	; wave barrier
	s_and_saveexec_b64 s[6:7], s[4:5]
	s_cbranch_execz .LBB76_198
; %bb.191:
	s_and_b64 vcc, exec, s[0:1]
	s_cbranch_vccnz .LBB76_193
; %bb.192:
	v_cmp_eq_u32_e32 vcc, 1, v0
	v_cndmask_b32_e32 v15, v2, v3, vcc
	v_cmp_eq_u32_e32 vcc, 2, v0
	v_cndmask_b32_e32 v15, v15, v4, vcc
	;; [unrolled: 2-line block ×8, first 2 shown]
	v_cmp_eq_u32_e32 vcc, 9, v0
	ds_read_b32 v16, v60
	v_cndmask_b32_e32 v15, v15, v11, vcc
	v_cmp_eq_u32_e32 vcc, 10, v0
	v_cndmask_b32_e32 v15, v15, v12, vcc
	v_cmp_eq_u32_e32 vcc, 11, v0
	;; [unrolled: 2-line block ×3, first 2 shown]
	v_cndmask_b32_e32 v15, v15, v14, vcc
	s_waitcnt lgkmcnt(0)
	v_mul_f32_e32 v15, v15, v16
	s_cbranch_execz .LBB76_194
	s_branch .LBB76_195
.LBB76_193:
                                        ; implicit-def: $vgpr15
.LBB76_194:
	ds_read_b32 v15, v60
.LBB76_195:
	v_cmp_ne_u32_e32 vcc, 2, v0
	s_and_saveexec_b64 s[8:9], vcc
	s_cbranch_execz .LBB76_197
; %bb.196:
	v_cmp_eq_u32_e32 vcc, 1, v18
	v_cndmask_b32_e32 v16, v2, v3, vcc
	v_cmp_eq_u32_e32 vcc, 2, v18
	v_cndmask_b32_e32 v16, v16, v4, vcc
	;; [unrolled: 2-line block ×8, first 2 shown]
	v_cmp_eq_u32_e32 vcc, 9, v18
	v_mov_b32_e32 v16, 0
	v_cndmask_b32_e32 v5, v5, v11, vcc
	v_cmp_eq_u32_e32 vcc, 10, v18
	ds_read_b32 v17, v60 offset:4
	ds_read_b32 v16, v16 offset:72
	v_cndmask_b32_e32 v5, v5, v12, vcc
	v_cmp_eq_u32_e32 vcc, 11, v18
	v_cndmask_b32_e32 v5, v5, v13, vcc
	v_cmp_eq_u32_e32 vcc, 12, v18
	v_cndmask_b32_e32 v5, v5, v14, vcc
	s_waitcnt lgkmcnt(1)
	v_fmac_f32_e32 v15, v5, v17
	s_waitcnt lgkmcnt(0)
	v_fma_f32 v5, v4, v16, v15
	v_cndmask_b32_e64 v15, v15, v5, s[2:3]
.LBB76_197:
	s_or_b64 exec, exec, s[8:9]
	v_mov_b32_e32 v5, 0
	ds_read_b32 v5, v5 offset:12
	s_waitcnt lgkmcnt(0)
	v_mul_f32_e32 v5, v15, v5
.LBB76_198:
	s_or_b64 exec, exec, s[6:7]
	v_cmp_gt_u32_e32 vcc, 4, v0
	ds_write_b32 v60, v6
	s_waitcnt lgkmcnt(0)
	; wave barrier
	s_and_saveexec_b64 s[8:9], vcc
	s_cbranch_execz .LBB76_208
; %bb.199:
	s_and_b64 vcc, exec, s[0:1]
	s_cbranch_vccnz .LBB76_201
; %bb.200:
	v_cmp_eq_u32_e32 vcc, 1, v0
	v_cndmask_b32_e32 v15, v2, v3, vcc
	v_cmp_eq_u32_e32 vcc, 2, v0
	v_cndmask_b32_e32 v15, v15, v4, vcc
	;; [unrolled: 2-line block ×8, first 2 shown]
	v_cmp_eq_u32_e32 vcc, 9, v0
	ds_read_b32 v16, v60
	v_cndmask_b32_e32 v15, v15, v11, vcc
	v_cmp_eq_u32_e32 vcc, 10, v0
	v_cndmask_b32_e32 v15, v15, v12, vcc
	v_cmp_eq_u32_e32 vcc, 11, v0
	;; [unrolled: 2-line block ×3, first 2 shown]
	v_cndmask_b32_e32 v15, v15, v14, vcc
	s_waitcnt lgkmcnt(0)
	v_mul_f32_e32 v17, v15, v16
	s_cbranch_execz .LBB76_202
	s_branch .LBB76_203
.LBB76_201:
                                        ; implicit-def: $vgpr17
.LBB76_202:
	ds_read_b32 v17, v60
.LBB76_203:
	v_cmp_ne_u32_e32 vcc, 3, v0
	s_and_saveexec_b64 s[10:11], vcc
	s_cbranch_execz .LBB76_207
; %bb.204:
	v_mov_b32_e32 v15, 0x44
	v_lshl_add_u32 v19, v0, 2, v15
	v_mov_b32_e32 v16, v1
	s_mov_b64 s[12:13], 0
	v_mov_b32_e32 v15, v0
.LBB76_205:                             ; =>This Inner Loop Header: Depth=1
	v_add_co_u32_e32 v15, vcc, 1, v15
	v_addc_co_u32_e32 v16, vcc, 0, v16, vcc
	v_cmp_eq_u32_e32 vcc, 1, v15
	v_cndmask_b32_e32 v21, v2, v3, vcc
	v_cmp_lt_u32_e32 vcc, 2, v15
	v_cmp_eq_u32_e64 s[6:7], 2, v15
	v_cndmask_b32_e64 v21, v21, v4, s[6:7]
	s_or_b64 s[12:13], vcc, s[12:13]
	v_cmp_eq_u32_e32 vcc, 3, v15
	v_cndmask_b32_e32 v21, v21, v5, vcc
	v_cmp_eq_u32_e32 vcc, 4, v15
	v_cndmask_b32_e32 v21, v21, v6, vcc
	;; [unrolled: 2-line block ×5, first 2 shown]
	v_cmp_eq_u32_e32 vcc, 8, v15
	ds_read_b32 v20, v19
	v_cndmask_b32_e32 v21, v21, v10, vcc
	v_cmp_eq_u32_e32 vcc, 9, v15
	v_cndmask_b32_e32 v21, v21, v11, vcc
	v_cmp_eq_u32_e32 vcc, 10, v15
	;; [unrolled: 2-line block ×4, first 2 shown]
	v_cndmask_b32_e32 v21, v21, v14, vcc
	v_add_u32_e32 v19, 4, v19
	s_waitcnt lgkmcnt(0)
	v_fmac_f32_e32 v17, v21, v20
	s_andn2_b64 exec, exec, s[12:13]
	s_cbranch_execnz .LBB76_205
; %bb.206:
	s_or_b64 exec, exec, s[12:13]
.LBB76_207:
	s_or_b64 exec, exec, s[10:11]
	v_mov_b32_e32 v6, 0
	ds_read_b32 v6, v6 offset:16
	s_waitcnt lgkmcnt(0)
	v_mul_f32_e32 v6, v17, v6
.LBB76_208:
	s_or_b64 exec, exec, s[8:9]
	v_cmp_gt_u32_e64 s[6:7], 5, v0
	ds_write_b32 v60, v7
	s_waitcnt lgkmcnt(0)
	; wave barrier
	s_and_saveexec_b64 s[10:11], s[6:7]
	s_cbranch_execz .LBB76_218
; %bb.209:
	s_and_b64 vcc, exec, s[0:1]
	s_cbranch_vccnz .LBB76_211
; %bb.210:
	v_cmp_eq_u32_e32 vcc, 1, v0
	v_cndmask_b32_e32 v15, v2, v3, vcc
	v_cmp_eq_u32_e32 vcc, 2, v0
	v_cndmask_b32_e32 v15, v15, v4, vcc
	;; [unrolled: 2-line block ×8, first 2 shown]
	v_cmp_eq_u32_e32 vcc, 9, v0
	ds_read_b32 v16, v60
	v_cndmask_b32_e32 v15, v15, v11, vcc
	v_cmp_eq_u32_e32 vcc, 10, v0
	v_cndmask_b32_e32 v15, v15, v12, vcc
	v_cmp_eq_u32_e32 vcc, 11, v0
	;; [unrolled: 2-line block ×3, first 2 shown]
	v_cndmask_b32_e32 v15, v15, v14, vcc
	s_waitcnt lgkmcnt(0)
	v_mul_f32_e32 v17, v15, v16
	s_cbranch_execz .LBB76_212
	s_branch .LBB76_213
.LBB76_211:
                                        ; implicit-def: $vgpr17
.LBB76_212:
	ds_read_b32 v17, v60
.LBB76_213:
	v_cmp_ne_u32_e32 vcc, 4, v0
	s_and_saveexec_b64 s[12:13], vcc
	s_cbranch_execz .LBB76_217
; %bb.214:
	v_mov_b32_e32 v15, 0x44
	v_lshl_add_u32 v19, v0, 2, v15
	v_mov_b32_e32 v16, v1
	s_mov_b64 s[14:15], 0
	v_mov_b32_e32 v15, v0
.LBB76_215:                             ; =>This Inner Loop Header: Depth=1
	v_add_co_u32_e32 v15, vcc, 1, v15
	v_addc_co_u32_e32 v16, vcc, 0, v16, vcc
	v_cmp_eq_u32_e32 vcc, 1, v15
	v_cndmask_b32_e32 v21, v2, v3, vcc
	v_cmp_lt_u32_e32 vcc, 3, v15
	v_cmp_eq_u32_e64 s[8:9], 2, v15
	v_cndmask_b32_e64 v21, v21, v4, s[8:9]
	s_or_b64 s[14:15], vcc, s[14:15]
	v_cmp_eq_u32_e32 vcc, 3, v15
	v_cndmask_b32_e32 v21, v21, v5, vcc
	v_cmp_eq_u32_e32 vcc, 4, v15
	v_cndmask_b32_e32 v21, v21, v6, vcc
	;; [unrolled: 2-line block ×5, first 2 shown]
	v_cmp_eq_u32_e32 vcc, 8, v15
	ds_read_b32 v20, v19
	v_cndmask_b32_e32 v21, v21, v10, vcc
	v_cmp_eq_u32_e32 vcc, 9, v15
	v_cndmask_b32_e32 v21, v21, v11, vcc
	v_cmp_eq_u32_e32 vcc, 10, v15
	;; [unrolled: 2-line block ×4, first 2 shown]
	v_cndmask_b32_e32 v21, v21, v14, vcc
	v_add_u32_e32 v19, 4, v19
	s_waitcnt lgkmcnt(0)
	v_fmac_f32_e32 v17, v21, v20
	s_andn2_b64 exec, exec, s[14:15]
	s_cbranch_execnz .LBB76_215
; %bb.216:
	s_or_b64 exec, exec, s[14:15]
.LBB76_217:
	s_or_b64 exec, exec, s[12:13]
	v_mov_b32_e32 v7, 0
	ds_read_b32 v7, v7 offset:20
	s_waitcnt lgkmcnt(0)
	v_mul_f32_e32 v7, v17, v7
.LBB76_218:
	s_or_b64 exec, exec, s[10:11]
	v_cmp_gt_u32_e32 vcc, 6, v0
	ds_write_b32 v60, v8
	s_waitcnt lgkmcnt(0)
	; wave barrier
	s_and_saveexec_b64 s[10:11], vcc
	s_cbranch_execz .LBB76_228
; %bb.219:
	s_and_b64 vcc, exec, s[0:1]
	s_cbranch_vccnz .LBB76_221
; %bb.220:
	v_cmp_eq_u32_e32 vcc, 1, v0
	v_cndmask_b32_e32 v15, v2, v3, vcc
	v_cmp_eq_u32_e32 vcc, 2, v0
	v_cndmask_b32_e32 v15, v15, v4, vcc
	;; [unrolled: 2-line block ×8, first 2 shown]
	v_cmp_eq_u32_e32 vcc, 9, v0
	ds_read_b32 v16, v60
	v_cndmask_b32_e32 v15, v15, v11, vcc
	v_cmp_eq_u32_e32 vcc, 10, v0
	v_cndmask_b32_e32 v15, v15, v12, vcc
	v_cmp_eq_u32_e32 vcc, 11, v0
	;; [unrolled: 2-line block ×3, first 2 shown]
	v_cndmask_b32_e32 v15, v15, v14, vcc
	s_waitcnt lgkmcnt(0)
	v_mul_f32_e32 v17, v15, v16
	s_cbranch_execz .LBB76_222
	s_branch .LBB76_223
.LBB76_221:
                                        ; implicit-def: $vgpr17
.LBB76_222:
	ds_read_b32 v17, v60
.LBB76_223:
	v_cmp_ne_u32_e32 vcc, 5, v0
	s_and_saveexec_b64 s[12:13], vcc
	s_cbranch_execz .LBB76_227
; %bb.224:
	v_mov_b32_e32 v15, 0x44
	v_lshl_add_u32 v19, v0, 2, v15
	v_mov_b32_e32 v16, v1
	s_mov_b64 s[14:15], 0
	v_mov_b32_e32 v15, v0
.LBB76_225:                             ; =>This Inner Loop Header: Depth=1
	v_add_co_u32_e32 v15, vcc, 1, v15
	v_addc_co_u32_e32 v16, vcc, 0, v16, vcc
	v_cmp_eq_u32_e32 vcc, 1, v15
	v_cndmask_b32_e32 v21, v2, v3, vcc
	v_cmp_lt_u32_e32 vcc, 4, v15
	v_cmp_eq_u32_e64 s[8:9], 2, v15
	v_cndmask_b32_e64 v21, v21, v4, s[8:9]
	s_or_b64 s[14:15], vcc, s[14:15]
	v_cmp_eq_u32_e32 vcc, 3, v15
	v_cndmask_b32_e32 v21, v21, v5, vcc
	v_cmp_eq_u32_e32 vcc, 4, v15
	v_cndmask_b32_e32 v21, v21, v6, vcc
	;; [unrolled: 2-line block ×5, first 2 shown]
	v_cmp_eq_u32_e32 vcc, 8, v15
	ds_read_b32 v20, v19
	v_cndmask_b32_e32 v21, v21, v10, vcc
	v_cmp_eq_u32_e32 vcc, 9, v15
	v_cndmask_b32_e32 v21, v21, v11, vcc
	v_cmp_eq_u32_e32 vcc, 10, v15
	;; [unrolled: 2-line block ×4, first 2 shown]
	v_cndmask_b32_e32 v21, v21, v14, vcc
	v_add_u32_e32 v19, 4, v19
	s_waitcnt lgkmcnt(0)
	v_fmac_f32_e32 v17, v21, v20
	s_andn2_b64 exec, exec, s[14:15]
	s_cbranch_execnz .LBB76_225
; %bb.226:
	s_or_b64 exec, exec, s[14:15]
.LBB76_227:
	s_or_b64 exec, exec, s[12:13]
	v_mov_b32_e32 v8, 0
	ds_read_b32 v8, v8 offset:24
	s_waitcnt lgkmcnt(0)
	v_mul_f32_e32 v8, v17, v8
.LBB76_228:
	s_or_b64 exec, exec, s[10:11]
	v_cmp_gt_u32_e64 s[8:9], 7, v0
	ds_write_b32 v60, v9
	s_waitcnt lgkmcnt(0)
	; wave barrier
	s_and_saveexec_b64 s[12:13], s[8:9]
	s_cbranch_execz .LBB76_238
; %bb.229:
	s_and_b64 vcc, exec, s[0:1]
	s_cbranch_vccnz .LBB76_231
; %bb.230:
	v_cmp_eq_u32_e32 vcc, 1, v0
	v_cndmask_b32_e32 v15, v2, v3, vcc
	v_cmp_eq_u32_e32 vcc, 2, v0
	v_cndmask_b32_e32 v15, v15, v4, vcc
	;; [unrolled: 2-line block ×8, first 2 shown]
	v_cmp_eq_u32_e32 vcc, 9, v0
	ds_read_b32 v16, v60
	v_cndmask_b32_e32 v15, v15, v11, vcc
	v_cmp_eq_u32_e32 vcc, 10, v0
	v_cndmask_b32_e32 v15, v15, v12, vcc
	v_cmp_eq_u32_e32 vcc, 11, v0
	v_cndmask_b32_e32 v15, v15, v13, vcc
	v_cmp_eq_u32_e32 vcc, 12, v0
	v_cndmask_b32_e32 v15, v15, v14, vcc
	s_waitcnt lgkmcnt(0)
	v_mul_f32_e32 v17, v15, v16
	s_cbranch_execz .LBB76_232
	s_branch .LBB76_233
.LBB76_231:
                                        ; implicit-def: $vgpr17
.LBB76_232:
	ds_read_b32 v17, v60
.LBB76_233:
	v_cmp_ne_u32_e32 vcc, 6, v0
	s_and_saveexec_b64 s[14:15], vcc
	s_cbranch_execz .LBB76_237
; %bb.234:
	v_mov_b32_e32 v15, 0x44
	v_lshl_add_u32 v19, v0, 2, v15
	v_mov_b32_e32 v16, v1
	s_mov_b64 s[16:17], 0
	v_mov_b32_e32 v15, v0
.LBB76_235:                             ; =>This Inner Loop Header: Depth=1
	v_add_co_u32_e32 v15, vcc, 1, v15
	v_addc_co_u32_e32 v16, vcc, 0, v16, vcc
	v_cmp_eq_u32_e32 vcc, 1, v15
	v_cndmask_b32_e32 v21, v2, v3, vcc
	v_cmp_lt_u32_e32 vcc, 5, v15
	v_cmp_eq_u32_e64 s[10:11], 2, v15
	v_cndmask_b32_e64 v21, v21, v4, s[10:11]
	s_or_b64 s[16:17], vcc, s[16:17]
	v_cmp_eq_u32_e32 vcc, 3, v15
	v_cndmask_b32_e32 v21, v21, v5, vcc
	v_cmp_eq_u32_e32 vcc, 4, v15
	v_cndmask_b32_e32 v21, v21, v6, vcc
	;; [unrolled: 2-line block ×5, first 2 shown]
	v_cmp_eq_u32_e32 vcc, 8, v15
	ds_read_b32 v20, v19
	v_cndmask_b32_e32 v21, v21, v10, vcc
	v_cmp_eq_u32_e32 vcc, 9, v15
	v_cndmask_b32_e32 v21, v21, v11, vcc
	v_cmp_eq_u32_e32 vcc, 10, v15
	;; [unrolled: 2-line block ×4, first 2 shown]
	v_cndmask_b32_e32 v21, v21, v14, vcc
	v_add_u32_e32 v19, 4, v19
	s_waitcnt lgkmcnt(0)
	v_fmac_f32_e32 v17, v21, v20
	s_andn2_b64 exec, exec, s[16:17]
	s_cbranch_execnz .LBB76_235
; %bb.236:
	s_or_b64 exec, exec, s[16:17]
.LBB76_237:
	s_or_b64 exec, exec, s[14:15]
	v_mov_b32_e32 v9, 0
	ds_read_b32 v9, v9 offset:28
	s_waitcnt lgkmcnt(0)
	v_mul_f32_e32 v9, v17, v9
.LBB76_238:
	s_or_b64 exec, exec, s[12:13]
	v_cmp_gt_u32_e32 vcc, 8, v0
	ds_write_b32 v60, v10
	s_waitcnt lgkmcnt(0)
	; wave barrier
	s_and_saveexec_b64 s[12:13], vcc
	s_cbranch_execz .LBB76_248
; %bb.239:
	s_and_b64 vcc, exec, s[0:1]
	s_cbranch_vccnz .LBB76_241
; %bb.240:
	v_cmp_eq_u32_e32 vcc, 1, v0
	v_cndmask_b32_e32 v15, v2, v3, vcc
	v_cmp_eq_u32_e32 vcc, 2, v0
	v_cndmask_b32_e32 v15, v15, v4, vcc
	;; [unrolled: 2-line block ×8, first 2 shown]
	v_cmp_eq_u32_e32 vcc, 9, v0
	ds_read_b32 v16, v60
	v_cndmask_b32_e32 v15, v15, v11, vcc
	v_cmp_eq_u32_e32 vcc, 10, v0
	v_cndmask_b32_e32 v15, v15, v12, vcc
	v_cmp_eq_u32_e32 vcc, 11, v0
	;; [unrolled: 2-line block ×3, first 2 shown]
	v_cndmask_b32_e32 v15, v15, v14, vcc
	s_waitcnt lgkmcnt(0)
	v_mul_f32_e32 v17, v15, v16
	s_cbranch_execz .LBB76_242
	s_branch .LBB76_243
.LBB76_241:
                                        ; implicit-def: $vgpr17
.LBB76_242:
	ds_read_b32 v17, v60
.LBB76_243:
	v_cmp_ne_u32_e32 vcc, 7, v0
	s_and_saveexec_b64 s[14:15], vcc
	s_cbranch_execz .LBB76_247
; %bb.244:
	v_mov_b32_e32 v15, 0x44
	v_lshl_add_u32 v19, v0, 2, v15
	v_mov_b32_e32 v16, v1
	s_mov_b64 s[16:17], 0
	v_mov_b32_e32 v15, v0
.LBB76_245:                             ; =>This Inner Loop Header: Depth=1
	v_add_co_u32_e32 v15, vcc, 1, v15
	v_addc_co_u32_e32 v16, vcc, 0, v16, vcc
	v_cmp_eq_u32_e32 vcc, 1, v15
	v_cndmask_b32_e32 v21, v2, v3, vcc
	v_cmp_lt_u32_e32 vcc, 6, v15
	v_cmp_eq_u32_e64 s[10:11], 2, v15
	v_cndmask_b32_e64 v21, v21, v4, s[10:11]
	s_or_b64 s[16:17], vcc, s[16:17]
	v_cmp_eq_u32_e32 vcc, 3, v15
	v_cndmask_b32_e32 v21, v21, v5, vcc
	v_cmp_eq_u32_e32 vcc, 4, v15
	v_cndmask_b32_e32 v21, v21, v6, vcc
	;; [unrolled: 2-line block ×5, first 2 shown]
	v_cmp_eq_u32_e32 vcc, 8, v15
	ds_read_b32 v20, v19
	v_cndmask_b32_e32 v21, v21, v10, vcc
	v_cmp_eq_u32_e32 vcc, 9, v15
	v_cndmask_b32_e32 v21, v21, v11, vcc
	v_cmp_eq_u32_e32 vcc, 10, v15
	;; [unrolled: 2-line block ×4, first 2 shown]
	v_cndmask_b32_e32 v21, v21, v14, vcc
	v_add_u32_e32 v19, 4, v19
	s_waitcnt lgkmcnt(0)
	v_fmac_f32_e32 v17, v21, v20
	s_andn2_b64 exec, exec, s[16:17]
	s_cbranch_execnz .LBB76_245
; %bb.246:
	s_or_b64 exec, exec, s[16:17]
.LBB76_247:
	s_or_b64 exec, exec, s[14:15]
	v_mov_b32_e32 v10, 0
	ds_read_b32 v10, v10 offset:32
	s_waitcnt lgkmcnt(0)
	v_mul_f32_e32 v10, v17, v10
.LBB76_248:
	s_or_b64 exec, exec, s[12:13]
	v_cmp_gt_u32_e32 vcc, 9, v0
	ds_write_b32 v60, v11
	s_waitcnt lgkmcnt(0)
	; wave barrier
	s_and_saveexec_b64 s[10:11], vcc
	s_cbranch_execz .LBB76_270
; %bb.249:
	s_and_b64 vcc, exec, s[0:1]
	s_cbranch_vccnz .LBB76_251
; %bb.250:
	v_cmp_eq_u32_e32 vcc, 1, v0
	v_cndmask_b32_e32 v15, v2, v3, vcc
	v_cmp_eq_u32_e32 vcc, 2, v0
	v_cndmask_b32_e32 v15, v15, v4, vcc
	;; [unrolled: 2-line block ×8, first 2 shown]
	v_cmp_eq_u32_e32 vcc, 9, v0
	ds_read_b32 v16, v60
	v_cndmask_b32_e32 v15, v15, v11, vcc
	v_cmp_eq_u32_e32 vcc, 10, v0
	v_cndmask_b32_e32 v15, v15, v12, vcc
	v_cmp_eq_u32_e32 vcc, 11, v0
	;; [unrolled: 2-line block ×3, first 2 shown]
	v_cndmask_b32_e32 v15, v15, v14, vcc
	s_waitcnt lgkmcnt(0)
	v_mul_f32_e32 v15, v15, v16
	s_cbranch_execz .LBB76_252
	s_branch .LBB76_253
.LBB76_251:
                                        ; implicit-def: $vgpr15
.LBB76_252:
	ds_read_b32 v15, v60
.LBB76_253:
	v_cmp_ne_u32_e32 vcc, 8, v0
	s_and_saveexec_b64 s[12:13], vcc
	s_cbranch_execz .LBB76_269
; %bb.254:
	v_cmp_eq_u32_e32 vcc, 1, v18
	v_cndmask_b32_e32 v16, v2, v3, vcc
	v_cmp_eq_u32_e32 vcc, 2, v18
	v_cndmask_b32_e32 v16, v16, v4, vcc
	v_cmp_eq_u32_e32 vcc, 3, v18
	v_cndmask_b32_e32 v16, v16, v5, vcc
	v_cmp_eq_u32_e32 vcc, 4, v18
	v_cndmask_b32_e32 v16, v16, v6, vcc
	v_cmp_eq_u32_e32 vcc, 5, v18
	v_cndmask_b32_e32 v16, v16, v7, vcc
	v_cmp_eq_u32_e32 vcc, 6, v18
	v_cndmask_b32_e32 v16, v16, v8, vcc
	v_cmp_eq_u32_e32 vcc, 7, v18
	v_cndmask_b32_e32 v16, v16, v9, vcc
	v_cmp_eq_u32_e32 vcc, 8, v18
	v_cndmask_b32_e32 v16, v16, v10, vcc
	v_cmp_eq_u32_e32 vcc, 9, v18
	ds_read_b32 v17, v60 offset:4
	v_cndmask_b32_e32 v16, v16, v11, vcc
	v_cmp_eq_u32_e32 vcc, 10, v18
	v_cndmask_b32_e32 v16, v16, v12, vcc
	v_cmp_eq_u32_e32 vcc, 11, v18
	v_cndmask_b32_e32 v16, v16, v13, vcc
	v_cmp_eq_u32_e32 vcc, 12, v18
	v_cndmask_b32_e32 v16, v16, v14, vcc
	s_waitcnt lgkmcnt(0)
	v_fmac_f32_e32 v15, v16, v17
	s_and_saveexec_b64 s[14:15], s[8:9]
	s_cbranch_execz .LBB76_268
; %bb.255:
	v_add_u32_e32 v16, 2, v0
	v_cmp_eq_u32_e32 vcc, 1, v16
	v_cndmask_b32_e32 v17, v2, v3, vcc
	v_cmp_eq_u32_e32 vcc, 2, v16
	v_cndmask_b32_e32 v17, v17, v4, vcc
	v_cmp_eq_u32_e32 vcc, 3, v16
	v_cndmask_b32_e32 v17, v17, v5, vcc
	v_cmp_eq_u32_e32 vcc, 4, v16
	v_cndmask_b32_e32 v17, v17, v6, vcc
	v_cmp_eq_u32_e32 vcc, 5, v16
	v_cndmask_b32_e32 v17, v17, v7, vcc
	v_cmp_eq_u32_e32 vcc, 6, v16
	v_cndmask_b32_e32 v17, v17, v8, vcc
	v_cmp_eq_u32_e32 vcc, 7, v16
	v_cndmask_b32_e32 v17, v17, v9, vcc
	v_cmp_eq_u32_e32 vcc, 8, v16
	v_cndmask_b32_e32 v17, v17, v10, vcc
	v_cmp_eq_u32_e32 vcc, 9, v16
	ds_read_b32 v18, v60 offset:8
	v_cndmask_b32_e32 v17, v17, v11, vcc
	v_cmp_eq_u32_e32 vcc, 10, v16
	v_cndmask_b32_e32 v17, v17, v12, vcc
	v_cmp_eq_u32_e32 vcc, 11, v16
	v_cndmask_b32_e32 v17, v17, v13, vcc
	v_cmp_eq_u32_e32 vcc, 12, v16
	v_cndmask_b32_e32 v16, v17, v14, vcc
	s_waitcnt lgkmcnt(0)
	v_fmac_f32_e32 v15, v16, v18
	v_cmp_ne_u32_e32 vcc, 6, v0
	s_and_saveexec_b64 s[8:9], vcc
	s_cbranch_execz .LBB76_267
; %bb.256:
	v_add_u32_e32 v16, 3, v0
	v_cmp_eq_u32_e32 vcc, 1, v16
	v_cndmask_b32_e32 v17, v2, v3, vcc
	v_cmp_eq_u32_e32 vcc, 2, v16
	v_cndmask_b32_e32 v17, v17, v4, vcc
	v_cmp_eq_u32_e32 vcc, 3, v16
	v_cndmask_b32_e32 v17, v17, v5, vcc
	v_cmp_eq_u32_e32 vcc, 4, v16
	v_cndmask_b32_e32 v17, v17, v6, vcc
	v_cmp_eq_u32_e32 vcc, 5, v16
	v_cndmask_b32_e32 v17, v17, v7, vcc
	v_cmp_eq_u32_e32 vcc, 6, v16
	v_cndmask_b32_e32 v17, v17, v8, vcc
	v_cmp_eq_u32_e32 vcc, 7, v16
	v_cndmask_b32_e32 v17, v17, v9, vcc
	v_cmp_eq_u32_e32 vcc, 8, v16
	v_cndmask_b32_e32 v17, v17, v10, vcc
	v_cmp_eq_u32_e32 vcc, 9, v16
	ds_read_b32 v18, v60 offset:12
	v_cndmask_b32_e32 v17, v17, v11, vcc
	v_cmp_eq_u32_e32 vcc, 10, v16
	v_cndmask_b32_e32 v17, v17, v12, vcc
	v_cmp_eq_u32_e32 vcc, 11, v16
	v_cndmask_b32_e32 v17, v17, v13, vcc
	v_cmp_eq_u32_e32 vcc, 12, v16
	v_cndmask_b32_e32 v16, v17, v14, vcc
	s_waitcnt lgkmcnt(0)
	v_fmac_f32_e32 v15, v16, v18
	s_and_saveexec_b64 s[16:17], s[6:7]
	s_cbranch_execz .LBB76_266
; %bb.257:
	v_add_u32_e32 v16, 4, v0
	v_cmp_eq_u32_e32 vcc, 1, v16
	v_cndmask_b32_e32 v17, v2, v3, vcc
	v_cmp_eq_u32_e32 vcc, 2, v16
	v_cndmask_b32_e32 v17, v17, v4, vcc
	v_cmp_eq_u32_e32 vcc, 3, v16
	v_cndmask_b32_e32 v17, v17, v5, vcc
	v_cmp_eq_u32_e32 vcc, 4, v16
	v_cndmask_b32_e32 v17, v17, v6, vcc
	v_cmp_eq_u32_e32 vcc, 5, v16
	v_cndmask_b32_e32 v17, v17, v7, vcc
	v_cmp_eq_u32_e32 vcc, 6, v16
	v_cndmask_b32_e32 v17, v17, v8, vcc
	v_cmp_eq_u32_e32 vcc, 7, v16
	v_cndmask_b32_e32 v17, v17, v9, vcc
	v_cmp_eq_u32_e32 vcc, 8, v16
	v_cndmask_b32_e32 v17, v17, v10, vcc
	v_cmp_eq_u32_e32 vcc, 9, v16
	ds_read_b32 v18, v60 offset:16
	v_cndmask_b32_e32 v17, v17, v11, vcc
	v_cmp_eq_u32_e32 vcc, 10, v16
	v_cndmask_b32_e32 v17, v17, v12, vcc
	v_cmp_eq_u32_e32 vcc, 11, v16
	v_cndmask_b32_e32 v17, v17, v13, vcc
	v_cmp_eq_u32_e32 vcc, 12, v16
	v_cndmask_b32_e32 v16, v17, v14, vcc
	s_waitcnt lgkmcnt(0)
	v_fmac_f32_e32 v15, v16, v18
	v_cmp_ne_u32_e32 vcc, 4, v0
	s_and_saveexec_b64 s[6:7], vcc
	s_cbranch_execz .LBB76_265
; %bb.258:
	v_add_u32_e32 v16, 5, v0
	;; [unrolled: 63-line block ×3, first 2 shown]
	v_cmp_eq_u32_e32 vcc, 1, v16
	v_cndmask_b32_e32 v17, v2, v3, vcc
	v_cmp_eq_u32_e32 vcc, 2, v16
	v_cndmask_b32_e32 v17, v17, v4, vcc
	;; [unrolled: 2-line block ×9, first 2 shown]
	ds_read_b32 v17, v60 offset:28
	v_cmp_eq_u32_e32 vcc, 10, v16
	v_cndmask_b32_e32 v11, v11, v12, vcc
	v_cmp_eq_u32_e32 vcc, 11, v16
	v_cndmask_b32_e32 v11, v11, v13, vcc
	v_cmp_eq_u32_e32 vcc, 12, v16
	v_cndmask_b32_e32 v11, v11, v14, vcc
	s_waitcnt lgkmcnt(0)
	v_fmac_f32_e32 v15, v11, v17
	s_and_saveexec_b64 s[20:21], s[2:3]
	s_cbranch_execz .LBB76_262
; %bb.261:
	ds_read_b32 v11, v60 offset:32
	s_waitcnt lgkmcnt(0)
	v_fmac_f32_e32 v15, v10, v11
.LBB76_262:
	s_or_b64 exec, exec, s[20:21]
.LBB76_263:
	s_or_b64 exec, exec, s[4:5]
.LBB76_264:
	s_or_b64 exec, exec, s[18:19]
.LBB76_265:
	s_or_b64 exec, exec, s[6:7]
.LBB76_266:
	s_or_b64 exec, exec, s[16:17]
.LBB76_267:
	s_or_b64 exec, exec, s[8:9]
.LBB76_268:
	s_or_b64 exec, exec, s[14:15]
.LBB76_269:
	s_or_b64 exec, exec, s[12:13]
	v_mov_b32_e32 v11, 0
	ds_read_b32 v11, v11 offset:36
	s_waitcnt lgkmcnt(0)
	v_mul_f32_e32 v11, v15, v11
.LBB76_270:
	s_or_b64 exec, exec, s[10:11]
	v_cmp_gt_u32_e32 vcc, 10, v0
	ds_write_b32 v60, v12
	s_waitcnt lgkmcnt(0)
	; wave barrier
	s_and_saveexec_b64 s[4:5], vcc
	s_cbranch_execz .LBB76_280
; %bb.271:
	s_and_b64 vcc, exec, s[0:1]
	s_cbranch_vccnz .LBB76_273
; %bb.272:
	v_cmp_eq_u32_e32 vcc, 1, v0
	v_cndmask_b32_e32 v15, v2, v3, vcc
	v_cmp_eq_u32_e32 vcc, 2, v0
	v_cndmask_b32_e32 v15, v15, v4, vcc
	;; [unrolled: 2-line block ×8, first 2 shown]
	v_cmp_eq_u32_e32 vcc, 9, v0
	ds_read_b32 v16, v60
	v_cndmask_b32_e32 v15, v15, v11, vcc
	v_cmp_eq_u32_e32 vcc, 10, v0
	v_cndmask_b32_e32 v15, v15, v12, vcc
	v_cmp_eq_u32_e32 vcc, 11, v0
	;; [unrolled: 2-line block ×3, first 2 shown]
	v_cndmask_b32_e32 v15, v15, v14, vcc
	s_waitcnt lgkmcnt(0)
	v_mul_f32_e32 v17, v15, v16
	s_cbranch_execz .LBB76_274
	s_branch .LBB76_275
.LBB76_273:
                                        ; implicit-def: $vgpr17
.LBB76_274:
	ds_read_b32 v17, v60
.LBB76_275:
	v_cmp_ne_u32_e32 vcc, 9, v0
	s_and_saveexec_b64 s[6:7], vcc
	s_cbranch_execz .LBB76_279
; %bb.276:
	v_mov_b32_e32 v15, 0x44
	v_lshl_add_u32 v18, v0, 2, v15
	v_mov_b32_e32 v16, v1
	s_mov_b64 s[8:9], 0
	v_mov_b32_e32 v15, v0
.LBB76_277:                             ; =>This Inner Loop Header: Depth=1
	v_add_co_u32_e32 v15, vcc, 1, v15
	v_addc_co_u32_e32 v16, vcc, 0, v16, vcc
	v_cmp_eq_u32_e32 vcc, 1, v15
	v_cndmask_b32_e32 v20, v2, v3, vcc
	v_cmp_lt_u32_e32 vcc, 8, v15
	v_cmp_eq_u32_e64 s[2:3], 2, v15
	v_cndmask_b32_e64 v20, v20, v4, s[2:3]
	s_or_b64 s[8:9], vcc, s[8:9]
	v_cmp_eq_u32_e32 vcc, 3, v15
	v_cndmask_b32_e32 v20, v20, v5, vcc
	v_cmp_eq_u32_e32 vcc, 4, v15
	v_cndmask_b32_e32 v20, v20, v6, vcc
	;; [unrolled: 2-line block ×5, first 2 shown]
	v_cmp_eq_u32_e32 vcc, 8, v15
	ds_read_b32 v19, v18
	v_cndmask_b32_e32 v20, v20, v10, vcc
	v_cmp_eq_u32_e32 vcc, 9, v15
	v_cndmask_b32_e32 v20, v20, v11, vcc
	v_cmp_eq_u32_e32 vcc, 10, v15
	;; [unrolled: 2-line block ×4, first 2 shown]
	v_cndmask_b32_e32 v20, v20, v14, vcc
	v_add_u32_e32 v18, 4, v18
	s_waitcnt lgkmcnt(0)
	v_fmac_f32_e32 v17, v20, v19
	s_andn2_b64 exec, exec, s[8:9]
	s_cbranch_execnz .LBB76_277
; %bb.278:
	s_or_b64 exec, exec, s[8:9]
.LBB76_279:
	s_or_b64 exec, exec, s[6:7]
	v_mov_b32_e32 v12, 0
	ds_read_b32 v12, v12 offset:40
	s_waitcnt lgkmcnt(0)
	v_mul_f32_e32 v12, v17, v12
.LBB76_280:
	s_or_b64 exec, exec, s[4:5]
	v_cmp_gt_u32_e64 s[2:3], 11, v0
	ds_write_b32 v60, v13
	s_waitcnt lgkmcnt(0)
	; wave barrier
	s_and_saveexec_b64 s[6:7], s[2:3]
	s_cbranch_execz .LBB76_290
; %bb.281:
	s_and_b64 vcc, exec, s[0:1]
	s_cbranch_vccnz .LBB76_283
; %bb.282:
	v_cmp_eq_u32_e32 vcc, 1, v0
	v_cndmask_b32_e32 v15, v2, v3, vcc
	v_cmp_eq_u32_e32 vcc, 2, v0
	v_cndmask_b32_e32 v15, v15, v4, vcc
	;; [unrolled: 2-line block ×8, first 2 shown]
	v_cmp_eq_u32_e32 vcc, 9, v0
	ds_read_b32 v16, v60
	v_cndmask_b32_e32 v15, v15, v11, vcc
	v_cmp_eq_u32_e32 vcc, 10, v0
	v_cndmask_b32_e32 v15, v15, v12, vcc
	v_cmp_eq_u32_e32 vcc, 11, v0
	;; [unrolled: 2-line block ×3, first 2 shown]
	v_cndmask_b32_e32 v15, v15, v14, vcc
	s_waitcnt lgkmcnt(0)
	v_mul_f32_e32 v17, v15, v16
	s_cbranch_execz .LBB76_284
	s_branch .LBB76_285
.LBB76_283:
                                        ; implicit-def: $vgpr17
.LBB76_284:
	ds_read_b32 v17, v60
.LBB76_285:
	v_cmp_ne_u32_e32 vcc, 10, v0
	s_and_saveexec_b64 s[8:9], vcc
	s_cbranch_execz .LBB76_289
; %bb.286:
	v_mov_b32_e32 v15, 0x44
	v_lshl_add_u32 v18, v0, 2, v15
	v_mov_b32_e32 v16, v1
	s_mov_b64 s[10:11], 0
	v_mov_b32_e32 v15, v0
.LBB76_287:                             ; =>This Inner Loop Header: Depth=1
	v_add_co_u32_e32 v15, vcc, 1, v15
	v_addc_co_u32_e32 v16, vcc, 0, v16, vcc
	v_cmp_eq_u32_e32 vcc, 1, v15
	v_cndmask_b32_e32 v20, v2, v3, vcc
	v_cmp_lt_u32_e32 vcc, 9, v15
	v_cmp_eq_u32_e64 s[4:5], 2, v15
	v_cndmask_b32_e64 v20, v20, v4, s[4:5]
	s_or_b64 s[10:11], vcc, s[10:11]
	v_cmp_eq_u32_e32 vcc, 3, v15
	v_cndmask_b32_e32 v20, v20, v5, vcc
	v_cmp_eq_u32_e32 vcc, 4, v15
	v_cndmask_b32_e32 v20, v20, v6, vcc
	;; [unrolled: 2-line block ×5, first 2 shown]
	v_cmp_eq_u32_e32 vcc, 8, v15
	ds_read_b32 v19, v18
	v_cndmask_b32_e32 v20, v20, v10, vcc
	v_cmp_eq_u32_e32 vcc, 9, v15
	v_cndmask_b32_e32 v20, v20, v11, vcc
	v_cmp_eq_u32_e32 vcc, 10, v15
	;; [unrolled: 2-line block ×4, first 2 shown]
	v_cndmask_b32_e32 v20, v20, v14, vcc
	v_add_u32_e32 v18, 4, v18
	s_waitcnt lgkmcnt(0)
	v_fmac_f32_e32 v17, v20, v19
	s_andn2_b64 exec, exec, s[10:11]
	s_cbranch_execnz .LBB76_287
; %bb.288:
	s_or_b64 exec, exec, s[10:11]
.LBB76_289:
	s_or_b64 exec, exec, s[8:9]
	v_mov_b32_e32 v13, 0
	ds_read_b32 v13, v13 offset:44
	s_waitcnt lgkmcnt(0)
	v_mul_f32_e32 v13, v17, v13
.LBB76_290:
	s_or_b64 exec, exec, s[6:7]
	v_cmp_ne_u32_e32 vcc, 12, v0
	ds_write_b32 v60, v14
	s_waitcnt lgkmcnt(0)
	; wave barrier
	s_and_saveexec_b64 s[4:5], vcc
	s_cbranch_execz .LBB76_300
; %bb.291:
	s_and_b64 vcc, exec, s[0:1]
	s_cbranch_vccnz .LBB76_293
; %bb.292:
	v_cmp_eq_u32_e32 vcc, 1, v0
	v_cndmask_b32_e32 v15, v2, v3, vcc
	v_cmp_eq_u32_e32 vcc, 2, v0
	v_cndmask_b32_e32 v15, v15, v4, vcc
	;; [unrolled: 2-line block ×8, first 2 shown]
	v_cmp_eq_u32_e32 vcc, 9, v0
	ds_read_b32 v16, v60
	v_cndmask_b32_e32 v15, v15, v11, vcc
	v_cmp_eq_u32_e32 vcc, 10, v0
	v_cndmask_b32_e32 v15, v15, v12, vcc
	v_cmp_eq_u32_e32 vcc, 11, v0
	v_cndmask_b32_e32 v15, v15, v13, vcc
	v_cmp_eq_u32_e32 vcc, 12, v0
	v_cndmask_b32_e32 v15, v15, v14, vcc
	s_waitcnt lgkmcnt(0)
	v_mul_f32_e32 v15, v15, v16
	s_cbranch_execz .LBB76_294
	s_branch .LBB76_295
.LBB76_293:
                                        ; implicit-def: $vgpr15
.LBB76_294:
	ds_read_b32 v15, v60
.LBB76_295:
	s_and_saveexec_b64 s[6:7], s[2:3]
	s_cbranch_execz .LBB76_299
; %bb.296:
	v_mov_b32_e32 v16, 0x44
	v_lshl_add_u32 v16, v0, 2, v16
	s_mov_b64 s[2:3], 0
.LBB76_297:                             ; =>This Inner Loop Header: Depth=1
	v_add_co_u32_e32 v0, vcc, 1, v0
	v_addc_co_u32_e32 v1, vcc, 0, v1, vcc
	v_cmp_eq_u32_e32 vcc, 1, v0
	v_cndmask_b32_e32 v18, v2, v3, vcc
	v_cmp_lt_u32_e32 vcc, 10, v0
	v_cmp_eq_u32_e64 s[0:1], 2, v0
	v_cndmask_b32_e64 v18, v18, v4, s[0:1]
	s_or_b64 s[2:3], vcc, s[2:3]
	v_cmp_eq_u32_e32 vcc, 3, v0
	v_cndmask_b32_e32 v18, v18, v5, vcc
	v_cmp_eq_u32_e32 vcc, 4, v0
	v_cndmask_b32_e32 v18, v18, v6, vcc
	;; [unrolled: 2-line block ×5, first 2 shown]
	v_cmp_eq_u32_e32 vcc, 8, v0
	ds_read_b32 v17, v16
	v_cndmask_b32_e32 v18, v18, v10, vcc
	v_cmp_eq_u32_e32 vcc, 9, v0
	v_cndmask_b32_e32 v18, v18, v11, vcc
	v_cmp_eq_u32_e32 vcc, 10, v0
	;; [unrolled: 2-line block ×4, first 2 shown]
	v_cndmask_b32_e32 v18, v18, v14, vcc
	v_add_u32_e32 v16, 4, v16
	s_waitcnt lgkmcnt(0)
	v_fmac_f32_e32 v15, v18, v17
	s_andn2_b64 exec, exec, s[2:3]
	s_cbranch_execnz .LBB76_297
; %bb.298:
	s_or_b64 exec, exec, s[2:3]
.LBB76_299:
	s_or_b64 exec, exec, s[6:7]
	v_mov_b32_e32 v0, 0
	ds_read_b32 v0, v0 offset:48
	s_waitcnt lgkmcnt(0)
	v_mul_f32_e32 v14, v15, v0
.LBB76_300:
	s_or_b64 exec, exec, s[4:5]
	v_mov_b32_e32 v33, v17
	v_mov_b32_e32 v32, v16
	;; [unrolled: 1-line block ×16, first 2 shown]
.LBB76_301:
	flat_store_dword v[56:57], v18
	flat_store_dword v[58:59], v19
	;; [unrolled: 1-line block ×13, first 2 shown]
.LBB76_302:
	s_endpgm
	.section	.rodata,"a",@progbits
	.p2align	6, 0x0
	.amdhsa_kernel _ZN9rocsolver6v33100L18trti2_kernel_smallILi13EfPKPfEEv13rocblas_fill_17rocblas_diagonal_T1_iil
		.amdhsa_group_segment_fixed_size 116
		.amdhsa_private_segment_fixed_size 0
		.amdhsa_kernarg_size 32
		.amdhsa_user_sgpr_count 6
		.amdhsa_user_sgpr_private_segment_buffer 1
		.amdhsa_user_sgpr_dispatch_ptr 0
		.amdhsa_user_sgpr_queue_ptr 0
		.amdhsa_user_sgpr_kernarg_segment_ptr 1
		.amdhsa_user_sgpr_dispatch_id 0
		.amdhsa_user_sgpr_flat_scratch_init 0
		.amdhsa_user_sgpr_private_segment_size 0
		.amdhsa_uses_dynamic_stack 0
		.amdhsa_system_sgpr_private_segment_wavefront_offset 0
		.amdhsa_system_sgpr_workgroup_id_x 1
		.amdhsa_system_sgpr_workgroup_id_y 0
		.amdhsa_system_sgpr_workgroup_id_z 0
		.amdhsa_system_sgpr_workgroup_info 0
		.amdhsa_system_vgpr_workitem_id 0
		.amdhsa_next_free_vgpr 78
		.amdhsa_next_free_sgpr 32
		.amdhsa_reserve_vcc 1
		.amdhsa_reserve_flat_scratch 0
		.amdhsa_float_round_mode_32 0
		.amdhsa_float_round_mode_16_64 0
		.amdhsa_float_denorm_mode_32 3
		.amdhsa_float_denorm_mode_16_64 3
		.amdhsa_dx10_clamp 1
		.amdhsa_ieee_mode 1
		.amdhsa_fp16_overflow 0
		.amdhsa_exception_fp_ieee_invalid_op 0
		.amdhsa_exception_fp_denorm_src 0
		.amdhsa_exception_fp_ieee_div_zero 0
		.amdhsa_exception_fp_ieee_overflow 0
		.amdhsa_exception_fp_ieee_underflow 0
		.amdhsa_exception_fp_ieee_inexact 0
		.amdhsa_exception_int_div_zero 0
	.end_amdhsa_kernel
	.section	.text._ZN9rocsolver6v33100L18trti2_kernel_smallILi13EfPKPfEEv13rocblas_fill_17rocblas_diagonal_T1_iil,"axG",@progbits,_ZN9rocsolver6v33100L18trti2_kernel_smallILi13EfPKPfEEv13rocblas_fill_17rocblas_diagonal_T1_iil,comdat
.Lfunc_end76:
	.size	_ZN9rocsolver6v33100L18trti2_kernel_smallILi13EfPKPfEEv13rocblas_fill_17rocblas_diagonal_T1_iil, .Lfunc_end76-_ZN9rocsolver6v33100L18trti2_kernel_smallILi13EfPKPfEEv13rocblas_fill_17rocblas_diagonal_T1_iil
                                        ; -- End function
	.set _ZN9rocsolver6v33100L18trti2_kernel_smallILi13EfPKPfEEv13rocblas_fill_17rocblas_diagonal_T1_iil.num_vgpr, 78
	.set _ZN9rocsolver6v33100L18trti2_kernel_smallILi13EfPKPfEEv13rocblas_fill_17rocblas_diagonal_T1_iil.num_agpr, 0
	.set _ZN9rocsolver6v33100L18trti2_kernel_smallILi13EfPKPfEEv13rocblas_fill_17rocblas_diagonal_T1_iil.numbered_sgpr, 32
	.set _ZN9rocsolver6v33100L18trti2_kernel_smallILi13EfPKPfEEv13rocblas_fill_17rocblas_diagonal_T1_iil.num_named_barrier, 0
	.set _ZN9rocsolver6v33100L18trti2_kernel_smallILi13EfPKPfEEv13rocblas_fill_17rocblas_diagonal_T1_iil.private_seg_size, 0
	.set _ZN9rocsolver6v33100L18trti2_kernel_smallILi13EfPKPfEEv13rocblas_fill_17rocblas_diagonal_T1_iil.uses_vcc, 1
	.set _ZN9rocsolver6v33100L18trti2_kernel_smallILi13EfPKPfEEv13rocblas_fill_17rocblas_diagonal_T1_iil.uses_flat_scratch, 0
	.set _ZN9rocsolver6v33100L18trti2_kernel_smallILi13EfPKPfEEv13rocblas_fill_17rocblas_diagonal_T1_iil.has_dyn_sized_stack, 0
	.set _ZN9rocsolver6v33100L18trti2_kernel_smallILi13EfPKPfEEv13rocblas_fill_17rocblas_diagonal_T1_iil.has_recursion, 0
	.set _ZN9rocsolver6v33100L18trti2_kernel_smallILi13EfPKPfEEv13rocblas_fill_17rocblas_diagonal_T1_iil.has_indirect_call, 0
	.section	.AMDGPU.csdata,"",@progbits
; Kernel info:
; codeLenInByte = 13416
; TotalNumSgprs: 36
; NumVgprs: 78
; ScratchSize: 0
; MemoryBound: 0
; FloatMode: 240
; IeeeMode: 1
; LDSByteSize: 116 bytes/workgroup (compile time only)
; SGPRBlocks: 4
; VGPRBlocks: 19
; NumSGPRsForWavesPerEU: 36
; NumVGPRsForWavesPerEU: 78
; Occupancy: 3
; WaveLimiterHint : 1
; COMPUTE_PGM_RSRC2:SCRATCH_EN: 0
; COMPUTE_PGM_RSRC2:USER_SGPR: 6
; COMPUTE_PGM_RSRC2:TRAP_HANDLER: 0
; COMPUTE_PGM_RSRC2:TGID_X_EN: 1
; COMPUTE_PGM_RSRC2:TGID_Y_EN: 0
; COMPUTE_PGM_RSRC2:TGID_Z_EN: 0
; COMPUTE_PGM_RSRC2:TIDIG_COMP_CNT: 0
	.section	.text._ZN9rocsolver6v33100L18trti2_kernel_smallILi14EfPKPfEEv13rocblas_fill_17rocblas_diagonal_T1_iil,"axG",@progbits,_ZN9rocsolver6v33100L18trti2_kernel_smallILi14EfPKPfEEv13rocblas_fill_17rocblas_diagonal_T1_iil,comdat
	.globl	_ZN9rocsolver6v33100L18trti2_kernel_smallILi14EfPKPfEEv13rocblas_fill_17rocblas_diagonal_T1_iil ; -- Begin function _ZN9rocsolver6v33100L18trti2_kernel_smallILi14EfPKPfEEv13rocblas_fill_17rocblas_diagonal_T1_iil
	.p2align	8
	.type	_ZN9rocsolver6v33100L18trti2_kernel_smallILi14EfPKPfEEv13rocblas_fill_17rocblas_diagonal_T1_iil,@function
_ZN9rocsolver6v33100L18trti2_kernel_smallILi14EfPKPfEEv13rocblas_fill_17rocblas_diagonal_T1_iil: ; @_ZN9rocsolver6v33100L18trti2_kernel_smallILi14EfPKPfEEv13rocblas_fill_17rocblas_diagonal_T1_iil
; %bb.0:
	v_cmp_gt_u32_e32 vcc, 14, v0
	s_and_saveexec_b64 s[0:1], vcc
	s_cbranch_execz .LBB77_328
; %bb.1:
	s_load_dwordx2 s[0:1], s[4:5], 0x10
	s_load_dwordx4 s[28:31], s[4:5], 0x0
	s_ashr_i32 s7, s6, 31
	s_lshl_b64 s[2:3], s[6:7], 3
	v_lshlrev_b32_e32 v18, 2, v0
	s_waitcnt lgkmcnt(0)
	s_ashr_i32 s5, s0, 31
	s_add_u32 s2, s30, s2
	s_addc_u32 s3, s31, s3
	s_load_dwordx2 s[2:3], s[2:3], 0x0
	s_mov_b32 s4, s0
	s_lshl_b64 s[4:5], s[4:5], 2
	v_mov_b32_e32 v19, -1.0
	s_waitcnt lgkmcnt(0)
	s_add_u32 s0, s2, s4
	s_addc_u32 s2, s3, s5
	s_add_i32 s3, s1, s1
	v_add_u32_e32 v1, s3, v0
	v_ashrrev_i32_e32 v2, 31, v1
	v_lshlrev_b64 v[2:3], 2, v[1:2]
	v_add_u32_e32 v1, s1, v1
	v_mov_b32_e32 v4, s2
	v_add_co_u32_e32 v34, vcc, s0, v2
	v_ashrrev_i32_e32 v2, 31, v1
	v_addc_co_u32_e32 v35, vcc, v4, v3, vcc
	v_lshlrev_b64 v[2:3], 2, v[1:2]
	v_add_u32_e32 v1, s1, v1
	v_add_co_u32_e32 v36, vcc, s0, v2
	v_ashrrev_i32_e32 v2, 31, v1
	v_addc_co_u32_e32 v37, vcc, v4, v3, vcc
	v_lshlrev_b64 v[2:3], 2, v[1:2]
	v_add_u32_e32 v1, s1, v1
	v_add_co_u32_e32 v38, vcc, s0, v2
	v_ashrrev_i32_e32 v2, 31, v1
	v_addc_co_u32_e32 v39, vcc, v4, v3, vcc
	v_lshlrev_b64 v[2:3], 2, v[1:2]
	v_add_u32_e32 v1, s1, v1
	v_add_co_u32_e32 v40, vcc, s0, v2
	v_ashrrev_i32_e32 v2, 31, v1
	v_addc_co_u32_e32 v41, vcc, v4, v3, vcc
	v_lshlrev_b64 v[2:3], 2, v[1:2]
	v_add_u32_e32 v1, s1, v1
	v_add_co_u32_e32 v42, vcc, s0, v2
	v_ashrrev_i32_e32 v2, 31, v1
	v_addc_co_u32_e32 v43, vcc, v4, v3, vcc
	v_lshlrev_b64 v[2:3], 2, v[1:2]
	v_add_u32_e32 v1, s1, v1
	v_add_co_u32_e32 v44, vcc, s0, v2
	v_ashrrev_i32_e32 v2, 31, v1
	v_addc_co_u32_e32 v45, vcc, v4, v3, vcc
	v_lshlrev_b64 v[2:3], 2, v[1:2]
	v_add_u32_e32 v1, s1, v1
	v_add_co_u32_e32 v46, vcc, s0, v2
	v_ashrrev_i32_e32 v2, 31, v1
	v_addc_co_u32_e32 v47, vcc, v4, v3, vcc
	v_lshlrev_b64 v[2:3], 2, v[1:2]
	v_add_u32_e32 v1, s1, v1
	v_add_co_u32_e32 v48, vcc, s0, v2
	v_ashrrev_i32_e32 v2, 31, v1
	v_addc_co_u32_e32 v49, vcc, v4, v3, vcc
	v_lshlrev_b64 v[2:3], 2, v[1:2]
	v_add_u32_e32 v1, s1, v1
	v_add_co_u32_e32 v50, vcc, s0, v2
	v_ashrrev_i32_e32 v2, 31, v1
	v_addc_co_u32_e32 v51, vcc, v4, v3, vcc
	v_lshlrev_b64 v[2:3], 2, v[1:2]
	v_add_u32_e32 v1, s1, v1
	v_add_co_u32_e32 v52, vcc, s0, v2
	v_ashrrev_i32_e32 v2, 31, v1
	v_addc_co_u32_e32 v53, vcc, v4, v3, vcc
	v_lshlrev_b64 v[2:3], 2, v[1:2]
	v_add_u32_e32 v1, s1, v1
	v_add_co_u32_e32 v54, vcc, s0, v2
	v_ashrrev_i32_e32 v2, 31, v1
	v_lshlrev_b64 v[1:2], 2, v[1:2]
	v_addc_co_u32_e32 v55, vcc, v4, v3, vcc
	v_mov_b32_e32 v3, s2
	v_add_co_u32_e32 v56, vcc, s0, v1
	v_addc_co_u32_e32 v57, vcc, v3, v2, vcc
	v_mov_b32_e32 v1, s2
	v_add_co_u32_e32 v58, vcc, s0, v18
	s_ashr_i32 s3, s1, 31
	s_mov_b32 s2, s1
	v_addc_co_u32_e32 v59, vcc, 0, v1, vcc
	s_lshl_b64 s[0:1], s[2:3], 2
	v_mov_b32_e32 v1, s1
	v_add_co_u32_e32 v60, vcc, s0, v58
	v_addc_co_u32_e32 v61, vcc, v59, v1, vcc
	flat_load_dword v2, v[58:59]
	flat_load_dword v3, v[60:61]
	;; [unrolled: 1-line block ×14, first 2 shown]
	s_cmpk_lg_i32 s29, 0x84
	v_mov_b32_e32 v1, 0
	s_cselect_b64 s[30:31], -1, 0
	s_cmpk_eq_i32 s29, 0x84
	v_cmp_eq_u32_e64 s[0:1], 0, v0
	s_cbranch_scc1 .LBB77_3
; %bb.2:
	v_cmp_eq_u32_e64 s[2:3], 1, v0
	s_waitcnt vmcnt(0) lgkmcnt(0)
	v_cndmask_b32_e64 v16, v2, v3, s[2:3]
	v_cmp_eq_u32_e64 s[4:5], 2, v0
	v_cndmask_b32_e64 v16, v16, v4, s[4:5]
	v_cmp_eq_u32_e64 s[6:7], 3, v0
	;; [unrolled: 2-line block ×12, first 2 shown]
	v_cndmask_b32_e64 v16, v16, v15, s[26:27]
	v_div_scale_f32 v17, s[34:35], v16, v16, 1.0
	v_div_scale_f32 v19, vcc, 1.0, v16, 1.0
	v_rcp_f32_e32 v20, v17
	v_fma_f32 v21, -v17, v20, 1.0
	v_fmac_f32_e32 v20, v21, v20
	v_mul_f32_e32 v21, v19, v20
	v_fma_f32 v22, -v17, v21, v19
	v_fmac_f32_e32 v21, v22, v20
	v_fma_f32 v17, -v17, v21, v19
	v_div_fmas_f32 v17, v17, v20, v21
	v_div_fixup_f32 v16, v17, v16, 1.0
	v_cndmask_b32_e64 v15, v15, v16, s[26:27]
	v_cndmask_b32_e64 v14, v14, v16, s[24:25]
	;; [unrolled: 1-line block ×14, first 2 shown]
	v_xor_b32_e32 v19, 0x80000000, v16
.LBB77_3:
	s_cmpk_eq_i32 s28, 0x79
	v_add_u32_e32 v62, 64, v18
	ds_write_b32 v18, v19
	s_cbranch_scc1 .LBB77_7
; %bb.4:
	s_waitcnt vmcnt(0) lgkmcnt(0)
	v_mov_b32_e32 v33, v17
	v_mov_b32_e32 v32, v16
	;; [unrolled: 1-line block ×16, first 2 shown]
	v_cmp_eq_u32_e64 s[0:1], 13, v0
	ds_write_b32 v62, v14
	s_waitcnt lgkmcnt(0)
	; wave barrier
	s_and_saveexec_b64 s[2:3], s[0:1]
	s_cbranch_execz .LBB77_11
; %bb.5:
	s_and_b64 vcc, exec, s[30:31]
	s_cbranch_vccz .LBB77_8
; %bb.6:
	v_cmp_eq_u32_e32 vcc, 1, v0
	v_cndmask_b32_e32 v18, v2, v3, vcc
	v_cmp_eq_u32_e32 vcc, 2, v0
	v_cndmask_b32_e32 v18, v18, v4, vcc
	;; [unrolled: 2-line block ×9, first 2 shown]
	v_cmp_eq_u32_e32 vcc, 10, v0
	ds_read_b32 v19, v62
	v_cndmask_b32_e32 v18, v18, v12, vcc
	v_cmp_eq_u32_e32 vcc, 11, v0
	v_cndmask_b32_e32 v18, v18, v13, vcc
	v_cmp_eq_u32_e32 vcc, 12, v0
	;; [unrolled: 2-line block ×3, first 2 shown]
	v_cndmask_b32_e32 v18, v18, v15, vcc
	s_waitcnt lgkmcnt(0)
	v_mul_f32_e32 v22, v18, v19
	s_cbranch_execz .LBB77_9
	s_branch .LBB77_10
.LBB77_7:
                                        ; implicit-def: $vgpr18_vgpr19_vgpr20_vgpr21_vgpr22_vgpr23_vgpr24_vgpr25_vgpr26_vgpr27_vgpr28_vgpr29_vgpr30_vgpr31_vgpr32_vgpr33
	s_cbranch_execnz .LBB77_194
	s_branch .LBB77_327
.LBB77_8:
                                        ; implicit-def: $vgpr22
.LBB77_9:
	ds_read_b32 v22, v62
.LBB77_10:
	v_mov_b32_e32 v18, 0
	ds_read_b32 v23, v18 offset:48
	v_mov_b32_e32 v18, v2
	v_mov_b32_e32 v19, v3
	;; [unrolled: 1-line block ×4, first 2 shown]
	s_waitcnt lgkmcnt(0)
	v_mul_f32_e32 v30, v22, v23
	v_mov_b32_e32 v22, v6
	v_mov_b32_e32 v23, v7
	;; [unrolled: 1-line block ×9, first 2 shown]
.LBB77_11:
	s_or_b64 exec, exec, s[2:3]
	v_cmp_lt_u32_e64 s[2:3], 11, v0
	ds_write_b32 v62, v29
	s_waitcnt lgkmcnt(0)
	; wave barrier
	s_and_saveexec_b64 s[4:5], s[2:3]
	s_cbranch_execz .LBB77_17
; %bb.12:
	s_andn2_b64 vcc, exec, s[30:31]
	s_cbranch_vccnz .LBB77_14
; %bb.13:
	v_cmp_eq_u32_e32 vcc, 1, v0
	v_cndmask_b32_e32 v32, v18, v19, vcc
	v_cmp_eq_u32_e32 vcc, 2, v0
	v_cndmask_b32_e32 v32, v32, v20, vcc
	;; [unrolled: 2-line block ×11, first 2 shown]
	ds_read_b32 v32, v62
	v_cmp_eq_u32_e32 vcc, 12, v0
	v_cndmask_b32_e32 v29, v29, v30, vcc
	v_cmp_eq_u32_e32 vcc, 13, v0
	v_cndmask_b32_e32 v29, v29, v31, vcc
	s_waitcnt lgkmcnt(0)
	v_mul_f32_e32 v29, v29, v32
	s_cbranch_execz .LBB77_15
	s_branch .LBB77_16
.LBB77_14:
                                        ; implicit-def: $vgpr29
.LBB77_15:
	ds_read_b32 v29, v62
.LBB77_16:
	v_mov_b32_e32 v32, 0
	ds_read2_b32 v[32:33], v32 offset0:11 offset1:28
	s_waitcnt lgkmcnt(0)
	v_fma_f32 v33, v30, v33, v29
	v_cndmask_b32_e64 v29, v29, v33, s[0:1]
	v_mul_f32_e32 v29, v29, v32
.LBB77_17:
	s_or_b64 exec, exec, s[4:5]
	v_cmp_lt_u32_e64 s[0:1], 10, v0
	ds_write_b32 v62, v28
	s_waitcnt lgkmcnt(0)
	; wave barrier
	s_and_saveexec_b64 s[4:5], s[0:1]
	s_cbranch_execz .LBB77_33
; %bb.18:
	s_andn2_b64 vcc, exec, s[30:31]
	s_cbranch_vccnz .LBB77_20
; %bb.19:
	v_cmp_eq_u32_e32 vcc, 1, v0
	v_cndmask_b32_e32 v63, v18, v19, vcc
	v_cmp_eq_u32_e32 vcc, 2, v0
	v_cndmask_b32_e32 v63, v63, v20, vcc
	;; [unrolled: 2-line block ×9, first 2 shown]
	v_cmp_eq_u32_e32 vcc, 10, v0
	ds_read_b32 v64, v62
	v_cndmask_b32_e32 v63, v63, v28, vcc
	v_cmp_eq_u32_e32 vcc, 11, v0
	v_cndmask_b32_e32 v63, v63, v29, vcc
	v_cmp_eq_u32_e32 vcc, 12, v0
	;; [unrolled: 2-line block ×3, first 2 shown]
	v_cndmask_b32_e32 v63, v63, v31, vcc
	s_waitcnt lgkmcnt(0)
	v_mul_f32_e32 v63, v63, v64
	s_cbranch_execz .LBB77_21
	s_branch .LBB77_22
.LBB77_20:
                                        ; implicit-def: $vgpr63
.LBB77_21:
	ds_read_b32 v63, v62
.LBB77_22:
	s_and_saveexec_b64 s[6:7], s[2:3]
	s_cbranch_execz .LBB77_32
; %bb.23:
	v_add_u32_e32 v64, -12, v0
	v_add_u32_e32 v65, -11, v0
	v_cmp_lt_u32_e32 vcc, 6, v64
	v_mov_b32_e32 v64, 11
	s_and_saveexec_b64 s[2:3], vcc
	s_cbranch_execz .LBB77_27
; %bb.24:
	v_and_b32_e32 v64, -8, v65
	v_sub_u32_e32 v66, 0, v64
	s_mov_b64 s[8:9], 18
	s_movk_i32 s12, 0x6c
	s_mov_b64 s[10:11], 0
.LBB77_25:                              ; =>This Inner Loop Header: Depth=1
	s_add_i32 s13, s8, -7
	v_mov_b32_e32 v64, s12
	s_add_i32 s14, s8, -6
	s_set_gpr_idx_on s13, gpr_idx(SRC0)
	v_mov_b32_e32 v73, v18
	s_set_gpr_idx_off
	ds_read2_b32 v[67:68], v64 offset1:1
	s_add_i32 s15, s8, -5
	s_set_gpr_idx_on s14, gpr_idx(SRC0)
	v_mov_b32_e32 v74, v18
	s_set_gpr_idx_off
	s_add_i32 s16, s8, -4
	s_set_gpr_idx_on s15, gpr_idx(SRC0)
	v_mov_b32_e32 v75, v18
	s_set_gpr_idx_off
	ds_read2_b32 v[69:70], v64 offset0:2 offset1:3
	s_add_i32 s17, s8, -3
	s_set_gpr_idx_on s16, gpr_idx(SRC0)
	v_mov_b32_e32 v76, v18
	s_set_gpr_idx_off
	s_add_i32 s18, s8, -2
	s_set_gpr_idx_on s17, gpr_idx(SRC0)
	v_mov_b32_e32 v77, v18
	s_set_gpr_idx_off
	ds_read2_b32 v[71:72], v64 offset0:4 offset1:5
	s_add_i32 s19, s8, -1
	s_waitcnt lgkmcnt(2)
	v_fmac_f32_e32 v63, v73, v67
	s_set_gpr_idx_on s18, gpr_idx(SRC0)
	v_mov_b32_e32 v73, v18
	s_set_gpr_idx_off
	v_fmac_f32_e32 v63, v74, v68
	s_set_gpr_idx_on s19, gpr_idx(SRC0)
	v_mov_b32_e32 v74, v18
	s_set_gpr_idx_off
	ds_read2_b32 v[67:68], v64 offset0:6 offset1:7
	s_waitcnt lgkmcnt(2)
	v_fmac_f32_e32 v63, v75, v69
	s_set_gpr_idx_on s8, gpr_idx(SRC0)
	v_mov_b32_e32 v69, v18
	s_set_gpr_idx_off
	v_fmac_f32_e32 v63, v76, v70
	s_add_u32 s8, s8, 8
	s_waitcnt lgkmcnt(1)
	v_fmac_f32_e32 v63, v77, v71
	v_add_u32_e32 v64, s8, v66
	v_fmac_f32_e32 v63, v73, v72
	s_addc_u32 s9, s9, 0
	s_add_i32 s12, s12, 32
	s_add_i32 s13, s8, -7
	v_cmp_eq_u32_e32 vcc, 18, v64
	s_waitcnt lgkmcnt(0)
	v_fmac_f32_e32 v63, v74, v67
	v_mov_b32_e32 v64, s13
	s_or_b64 s[10:11], vcc, s[10:11]
	v_fmac_f32_e32 v63, v69, v68
	s_andn2_b64 exec, exec, s[10:11]
	s_cbranch_execnz .LBB77_25
; %bb.26:
	s_or_b64 exec, exec, s[10:11]
.LBB77_27:
	s_or_b64 exec, exec, s[2:3]
	v_and_b32_e32 v32, 7, v65
	v_cmp_ne_u32_e32 vcc, 0, v32
	s_and_saveexec_b64 s[8:9], vcc
	s_cbranch_execz .LBB77_31
; %bb.28:
	v_lshl_add_u32 v33, v64, 2, 64
	v_mov_b32_e32 v65, 0
	s_mov_b64 s[10:11], 0
.LBB77_29:                              ; =>This Inner Loop Header: Depth=1
	v_cmp_eq_u32_e32 vcc, 1, v64
	v_cndmask_b32_e32 v66, v18, v19, vcc
	v_add_u32_e32 v32, -1, v32
	v_cmp_eq_u32_e32 vcc, 2, v64
	v_cndmask_b32_e32 v66, v66, v20, vcc
	v_cmp_eq_u32_e32 vcc, 0, v32
	v_cmp_eq_u32_e64 s[2:3], 3, v64
	v_cndmask_b32_e64 v66, v66, v21, s[2:3]
	s_or_b64 s[10:11], vcc, s[10:11]
	v_cmp_eq_u32_e32 vcc, 4, v64
	v_cndmask_b32_e32 v66, v66, v22, vcc
	v_cmp_eq_u32_e32 vcc, 5, v64
	v_cndmask_b32_e32 v66, v66, v23, vcc
	;; [unrolled: 2-line block ×5, first 2 shown]
	v_cmp_eq_u32_e32 vcc, 9, v64
	ds_read_b32 v67, v33
	v_cndmask_b32_e32 v66, v66, v27, vcc
	v_cmp_eq_u32_e32 vcc, 10, v64
	v_cndmask_b32_e32 v66, v66, v28, vcc
	v_cmp_eq_u32_e32 vcc, 11, v64
	;; [unrolled: 2-line block ×4, first 2 shown]
	v_add_co_u32_e64 v64, s[2:3], 1, v64
	v_cndmask_b32_e32 v66, v66, v31, vcc
	v_add_u32_e32 v33, 4, v33
	v_addc_co_u32_e64 v65, s[2:3], 0, v65, s[2:3]
	s_waitcnt lgkmcnt(0)
	v_fmac_f32_e32 v63, v66, v67
	s_andn2_b64 exec, exec, s[10:11]
	s_cbranch_execnz .LBB77_29
; %bb.30:
	s_or_b64 exec, exec, s[10:11]
.LBB77_31:
	s_or_b64 exec, exec, s[8:9]
.LBB77_32:
	s_or_b64 exec, exec, s[6:7]
	v_mov_b32_e32 v28, 0
	ds_read_b32 v28, v28 offset:40
	s_waitcnt lgkmcnt(0)
	v_mul_f32_e32 v28, v63, v28
.LBB77_33:
	s_or_b64 exec, exec, s[4:5]
	v_cmp_lt_u32_e64 s[2:3], 9, v0
	ds_write_b32 v62, v27
	s_waitcnt lgkmcnt(0)
	; wave barrier
	s_and_saveexec_b64 s[4:5], s[2:3]
	s_cbranch_execz .LBB77_49
; %bb.34:
	s_andn2_b64 vcc, exec, s[30:31]
	s_cbranch_vccnz .LBB77_36
; %bb.35:
	v_cmp_eq_u32_e32 vcc, 1, v0
	v_cndmask_b32_e32 v63, v18, v19, vcc
	v_cmp_eq_u32_e32 vcc, 2, v0
	v_cndmask_b32_e32 v63, v63, v20, vcc
	;; [unrolled: 2-line block ×9, first 2 shown]
	v_cmp_eq_u32_e32 vcc, 10, v0
	ds_read_b32 v64, v62
	v_cndmask_b32_e32 v63, v63, v28, vcc
	v_cmp_eq_u32_e32 vcc, 11, v0
	v_cndmask_b32_e32 v63, v63, v29, vcc
	v_cmp_eq_u32_e32 vcc, 12, v0
	;; [unrolled: 2-line block ×3, first 2 shown]
	v_cndmask_b32_e32 v63, v63, v31, vcc
	s_waitcnt lgkmcnt(0)
	v_mul_f32_e32 v63, v63, v64
	s_cbranch_execz .LBB77_37
	s_branch .LBB77_38
.LBB77_36:
                                        ; implicit-def: $vgpr63
.LBB77_37:
	ds_read_b32 v63, v62
.LBB77_38:
	s_and_saveexec_b64 s[6:7], s[0:1]
	s_cbranch_execz .LBB77_48
; %bb.39:
	v_add_u32_e32 v64, -11, v0
	v_add_u32_e32 v65, -10, v0
	v_cmp_lt_u32_e32 vcc, 6, v64
	v_mov_b32_e32 v64, 10
	s_and_saveexec_b64 s[0:1], vcc
	s_cbranch_execz .LBB77_43
; %bb.40:
	v_and_b32_e32 v64, -8, v65
	v_sub_u32_e32 v66, 0, v64
	s_mov_b64 s[8:9], 17
	s_movk_i32 s12, 0x68
	s_mov_b64 s[10:11], 0
.LBB77_41:                              ; =>This Inner Loop Header: Depth=1
	s_add_i32 s13, s8, -7
	v_mov_b32_e32 v64, s12
	s_add_i32 s14, s8, -6
	s_set_gpr_idx_on s13, gpr_idx(SRC0)
	v_mov_b32_e32 v75, v18
	s_set_gpr_idx_off
	ds_read2_b64 v[67:70], v64 offset1:1
	s_add_i32 s15, s8, -5
	s_set_gpr_idx_on s14, gpr_idx(SRC0)
	v_mov_b32_e32 v76, v18
	s_set_gpr_idx_off
	s_add_i32 s16, s8, -4
	s_set_gpr_idx_on s15, gpr_idx(SRC0)
	v_mov_b32_e32 v77, v18
	s_set_gpr_idx_off
	;; [unrolled: 4-line block ×4, first 2 shown]
	ds_read2_b64 v[71:74], v64 offset0:2 offset1:3
	s_add_i32 s19, s8, -1
	s_waitcnt lgkmcnt(1)
	v_fmac_f32_e32 v63, v75, v67
	s_set_gpr_idx_on s18, gpr_idx(SRC0)
	v_mov_b32_e32 v67, v18
	s_set_gpr_idx_off
	v_fmac_f32_e32 v63, v76, v68
	s_set_gpr_idx_on s19, gpr_idx(SRC0)
	v_mov_b32_e32 v68, v18
	s_set_gpr_idx_off
	;; [unrolled: 4-line block ×3, first 2 shown]
	v_fmac_f32_e32 v63, v78, v70
	s_add_u32 s8, s8, 8
	s_waitcnt lgkmcnt(0)
	v_fmac_f32_e32 v63, v79, v71
	v_add_u32_e32 v64, s8, v66
	v_fmac_f32_e32 v63, v67, v72
	s_addc_u32 s9, s9, 0
	s_add_i32 s12, s12, 32
	s_add_i32 s13, s8, -7
	v_cmp_eq_u32_e32 vcc, 17, v64
	v_fmac_f32_e32 v63, v68, v73
	v_mov_b32_e32 v64, s13
	s_or_b64 s[10:11], vcc, s[10:11]
	v_fmac_f32_e32 v63, v69, v74
	s_andn2_b64 exec, exec, s[10:11]
	s_cbranch_execnz .LBB77_41
; %bb.42:
	s_or_b64 exec, exec, s[10:11]
.LBB77_43:
	s_or_b64 exec, exec, s[0:1]
	v_and_b32_e32 v32, 7, v65
	v_cmp_ne_u32_e32 vcc, 0, v32
	s_and_saveexec_b64 s[8:9], vcc
	s_cbranch_execz .LBB77_47
; %bb.44:
	v_lshl_add_u32 v33, v64, 2, 64
	v_mov_b32_e32 v65, 0
	s_mov_b64 s[10:11], 0
.LBB77_45:                              ; =>This Inner Loop Header: Depth=1
	v_cmp_eq_u32_e32 vcc, 1, v64
	v_cndmask_b32_e32 v66, v18, v19, vcc
	v_add_u32_e32 v32, -1, v32
	v_cmp_eq_u32_e32 vcc, 2, v64
	v_cndmask_b32_e32 v66, v66, v20, vcc
	v_cmp_eq_u32_e32 vcc, 0, v32
	v_cmp_eq_u32_e64 s[0:1], 3, v64
	v_cndmask_b32_e64 v66, v66, v21, s[0:1]
	s_or_b64 s[10:11], vcc, s[10:11]
	v_cmp_eq_u32_e32 vcc, 4, v64
	v_cndmask_b32_e32 v66, v66, v22, vcc
	v_cmp_eq_u32_e32 vcc, 5, v64
	v_cndmask_b32_e32 v66, v66, v23, vcc
	;; [unrolled: 2-line block ×5, first 2 shown]
	v_cmp_eq_u32_e32 vcc, 9, v64
	ds_read_b32 v67, v33
	v_cndmask_b32_e32 v66, v66, v27, vcc
	v_cmp_eq_u32_e32 vcc, 10, v64
	v_cndmask_b32_e32 v66, v66, v28, vcc
	v_cmp_eq_u32_e32 vcc, 11, v64
	;; [unrolled: 2-line block ×4, first 2 shown]
	v_add_co_u32_e64 v64, s[0:1], 1, v64
	v_cndmask_b32_e32 v66, v66, v31, vcc
	v_add_u32_e32 v33, 4, v33
	v_addc_co_u32_e64 v65, s[0:1], 0, v65, s[0:1]
	s_waitcnt lgkmcnt(0)
	v_fmac_f32_e32 v63, v66, v67
	s_andn2_b64 exec, exec, s[10:11]
	s_cbranch_execnz .LBB77_45
; %bb.46:
	s_or_b64 exec, exec, s[10:11]
.LBB77_47:
	s_or_b64 exec, exec, s[8:9]
.LBB77_48:
	s_or_b64 exec, exec, s[6:7]
	v_mov_b32_e32 v27, 0
	ds_read_b32 v27, v27 offset:36
	s_waitcnt lgkmcnt(0)
	v_mul_f32_e32 v27, v63, v27
.LBB77_49:
	s_or_b64 exec, exec, s[4:5]
	v_cmp_lt_u32_e64 s[0:1], 8, v0
	ds_write_b32 v62, v26
	s_waitcnt lgkmcnt(0)
	; wave barrier
	s_and_saveexec_b64 s[4:5], s[0:1]
	s_cbranch_execz .LBB77_65
; %bb.50:
	s_andn2_b64 vcc, exec, s[30:31]
	s_cbranch_vccnz .LBB77_52
; %bb.51:
	v_cmp_eq_u32_e32 vcc, 1, v0
	v_cndmask_b32_e32 v63, v18, v19, vcc
	v_cmp_eq_u32_e32 vcc, 2, v0
	v_cndmask_b32_e32 v63, v63, v20, vcc
	;; [unrolled: 2-line block ×9, first 2 shown]
	v_cmp_eq_u32_e32 vcc, 10, v0
	ds_read_b32 v64, v62
	v_cndmask_b32_e32 v63, v63, v28, vcc
	v_cmp_eq_u32_e32 vcc, 11, v0
	v_cndmask_b32_e32 v63, v63, v29, vcc
	v_cmp_eq_u32_e32 vcc, 12, v0
	;; [unrolled: 2-line block ×3, first 2 shown]
	v_cndmask_b32_e32 v63, v63, v31, vcc
	s_waitcnt lgkmcnt(0)
	v_mul_f32_e32 v63, v63, v64
	s_cbranch_execz .LBB77_53
	s_branch .LBB77_54
.LBB77_52:
                                        ; implicit-def: $vgpr63
.LBB77_53:
	ds_read_b32 v63, v62
.LBB77_54:
	s_and_saveexec_b64 s[6:7], s[2:3]
	s_cbranch_execz .LBB77_64
; %bb.55:
	v_add_u32_e32 v64, -10, v0
	v_add_u32_e32 v65, -9, v0
	v_cmp_lt_u32_e32 vcc, 6, v64
	v_mov_b32_e32 v64, 9
	s_and_saveexec_b64 s[2:3], vcc
	s_cbranch_execz .LBB77_59
; %bb.56:
	v_and_b32_e32 v64, -8, v65
	v_sub_u32_e32 v66, 0, v64
	s_mov_b64 s[8:9], 16
	s_movk_i32 s12, 0x64
	s_mov_b64 s[10:11], 0
.LBB77_57:                              ; =>This Inner Loop Header: Depth=1
	s_add_i32 s13, s8, -7
	v_mov_b32_e32 v64, s12
	s_add_i32 s14, s8, -6
	s_set_gpr_idx_on s13, gpr_idx(SRC0)
	v_mov_b32_e32 v73, v18
	s_set_gpr_idx_off
	ds_read2_b32 v[67:68], v64 offset1:1
	s_add_i32 s15, s8, -5
	s_set_gpr_idx_on s14, gpr_idx(SRC0)
	v_mov_b32_e32 v74, v18
	s_set_gpr_idx_off
	s_add_i32 s16, s8, -4
	s_set_gpr_idx_on s15, gpr_idx(SRC0)
	v_mov_b32_e32 v75, v18
	s_set_gpr_idx_off
	ds_read2_b32 v[69:70], v64 offset0:2 offset1:3
	s_add_i32 s17, s8, -3
	s_set_gpr_idx_on s16, gpr_idx(SRC0)
	v_mov_b32_e32 v76, v18
	s_set_gpr_idx_off
	s_add_i32 s18, s8, -2
	s_set_gpr_idx_on s17, gpr_idx(SRC0)
	v_mov_b32_e32 v77, v18
	s_set_gpr_idx_off
	ds_read2_b32 v[71:72], v64 offset0:4 offset1:5
	s_add_i32 s19, s8, -1
	s_waitcnt lgkmcnt(2)
	v_fmac_f32_e32 v63, v73, v67
	s_set_gpr_idx_on s18, gpr_idx(SRC0)
	v_mov_b32_e32 v73, v18
	s_set_gpr_idx_off
	v_fmac_f32_e32 v63, v74, v68
	s_set_gpr_idx_on s19, gpr_idx(SRC0)
	v_mov_b32_e32 v74, v18
	s_set_gpr_idx_off
	ds_read2_b32 v[67:68], v64 offset0:6 offset1:7
	s_waitcnt lgkmcnt(2)
	v_fmac_f32_e32 v63, v75, v69
	s_set_gpr_idx_on s8, gpr_idx(SRC0)
	v_mov_b32_e32 v69, v18
	s_set_gpr_idx_off
	v_fmac_f32_e32 v63, v76, v70
	s_add_u32 s8, s8, 8
	s_waitcnt lgkmcnt(1)
	v_fmac_f32_e32 v63, v77, v71
	v_add_u32_e32 v64, s8, v66
	v_fmac_f32_e32 v63, v73, v72
	s_addc_u32 s9, s9, 0
	s_add_i32 s12, s12, 32
	s_add_i32 s13, s8, -7
	v_cmp_eq_u32_e32 vcc, 16, v64
	s_waitcnt lgkmcnt(0)
	v_fmac_f32_e32 v63, v74, v67
	v_mov_b32_e32 v64, s13
	s_or_b64 s[10:11], vcc, s[10:11]
	v_fmac_f32_e32 v63, v69, v68
	s_andn2_b64 exec, exec, s[10:11]
	s_cbranch_execnz .LBB77_57
; %bb.58:
	s_or_b64 exec, exec, s[10:11]
.LBB77_59:
	s_or_b64 exec, exec, s[2:3]
	v_and_b32_e32 v32, 7, v65
	v_cmp_ne_u32_e32 vcc, 0, v32
	s_and_saveexec_b64 s[8:9], vcc
	s_cbranch_execz .LBB77_63
; %bb.60:
	v_lshl_add_u32 v33, v64, 2, 64
	v_mov_b32_e32 v65, 0
	s_mov_b64 s[10:11], 0
.LBB77_61:                              ; =>This Inner Loop Header: Depth=1
	v_cmp_eq_u32_e32 vcc, 1, v64
	v_cndmask_b32_e32 v66, v18, v19, vcc
	v_add_u32_e32 v32, -1, v32
	v_cmp_eq_u32_e32 vcc, 2, v64
	v_cndmask_b32_e32 v66, v66, v20, vcc
	v_cmp_eq_u32_e32 vcc, 0, v32
	v_cmp_eq_u32_e64 s[2:3], 3, v64
	v_cndmask_b32_e64 v66, v66, v21, s[2:3]
	s_or_b64 s[10:11], vcc, s[10:11]
	v_cmp_eq_u32_e32 vcc, 4, v64
	v_cndmask_b32_e32 v66, v66, v22, vcc
	v_cmp_eq_u32_e32 vcc, 5, v64
	v_cndmask_b32_e32 v66, v66, v23, vcc
	v_cmp_eq_u32_e32 vcc, 6, v64
	v_cndmask_b32_e32 v66, v66, v24, vcc
	v_cmp_eq_u32_e32 vcc, 7, v64
	v_cndmask_b32_e32 v66, v66, v25, vcc
	v_cmp_eq_u32_e32 vcc, 8, v64
	v_cndmask_b32_e32 v66, v66, v26, vcc
	v_cmp_eq_u32_e32 vcc, 9, v64
	ds_read_b32 v67, v33
	v_cndmask_b32_e32 v66, v66, v27, vcc
	v_cmp_eq_u32_e32 vcc, 10, v64
	v_cndmask_b32_e32 v66, v66, v28, vcc
	v_cmp_eq_u32_e32 vcc, 11, v64
	;; [unrolled: 2-line block ×4, first 2 shown]
	v_add_co_u32_e64 v64, s[2:3], 1, v64
	v_cndmask_b32_e32 v66, v66, v31, vcc
	v_add_u32_e32 v33, 4, v33
	v_addc_co_u32_e64 v65, s[2:3], 0, v65, s[2:3]
	s_waitcnt lgkmcnt(0)
	v_fmac_f32_e32 v63, v66, v67
	s_andn2_b64 exec, exec, s[10:11]
	s_cbranch_execnz .LBB77_61
; %bb.62:
	s_or_b64 exec, exec, s[10:11]
.LBB77_63:
	s_or_b64 exec, exec, s[8:9]
.LBB77_64:
	s_or_b64 exec, exec, s[6:7]
	v_mov_b32_e32 v26, 0
	ds_read_b32 v26, v26 offset:32
	s_waitcnt lgkmcnt(0)
	v_mul_f32_e32 v26, v63, v26
.LBB77_65:
	s_or_b64 exec, exec, s[4:5]
	v_cmp_lt_u32_e64 s[2:3], 7, v0
	ds_write_b32 v62, v25
	s_waitcnt lgkmcnt(0)
	; wave barrier
	s_and_saveexec_b64 s[4:5], s[2:3]
	s_cbranch_execz .LBB77_81
; %bb.66:
	s_andn2_b64 vcc, exec, s[30:31]
	s_cbranch_vccnz .LBB77_68
; %bb.67:
	v_cmp_eq_u32_e32 vcc, 1, v0
	v_cndmask_b32_e32 v63, v18, v19, vcc
	v_cmp_eq_u32_e32 vcc, 2, v0
	v_cndmask_b32_e32 v63, v63, v20, vcc
	;; [unrolled: 2-line block ×9, first 2 shown]
	v_cmp_eq_u32_e32 vcc, 10, v0
	ds_read_b32 v64, v62
	v_cndmask_b32_e32 v63, v63, v28, vcc
	v_cmp_eq_u32_e32 vcc, 11, v0
	v_cndmask_b32_e32 v63, v63, v29, vcc
	v_cmp_eq_u32_e32 vcc, 12, v0
	;; [unrolled: 2-line block ×3, first 2 shown]
	v_cndmask_b32_e32 v63, v63, v31, vcc
	s_waitcnt lgkmcnt(0)
	v_mul_f32_e32 v63, v63, v64
	s_cbranch_execz .LBB77_69
	s_branch .LBB77_70
.LBB77_68:
                                        ; implicit-def: $vgpr63
.LBB77_69:
	ds_read_b32 v63, v62
.LBB77_70:
	s_and_saveexec_b64 s[6:7], s[0:1]
	s_cbranch_execz .LBB77_80
; %bb.71:
	v_add_u32_e32 v64, -9, v0
	v_cmp_lt_u32_e32 vcc, 6, v64
	v_mov_b32_e32 v64, 8
	s_and_saveexec_b64 s[0:1], vcc
	s_cbranch_execz .LBB77_75
; %bb.72:
	v_and_b32_e32 v64, 8, v0
	v_sub_u32_e32 v65, 0, v64
	s_mov_b64 s[8:9], 15
	s_movk_i32 s12, 0x60
	s_mov_b64 s[10:11], 0
.LBB77_73:                              ; =>This Inner Loop Header: Depth=1
	s_add_i32 s13, s8, -7
	v_mov_b32_e32 v64, s12
	s_add_i32 s14, s8, -6
	s_set_gpr_idx_on s13, gpr_idx(SRC0)
	v_mov_b32_e32 v74, v18
	s_set_gpr_idx_off
	s_add_i32 s15, s8, -5
	ds_read_b128 v[66:69], v64
	ds_read_b128 v[70:73], v64 offset:16
	s_set_gpr_idx_on s14, gpr_idx(SRC0)
	v_mov_b32_e32 v64, v18
	s_set_gpr_idx_off
	s_add_i32 s16, s8, -4
	s_set_gpr_idx_on s15, gpr_idx(SRC0)
	v_mov_b32_e32 v75, v18
	s_set_gpr_idx_off
	s_add_i32 s17, s8, -3
	;; [unrolled: 4-line block ×4, first 2 shown]
	s_waitcnt lgkmcnt(1)
	v_fmac_f32_e32 v63, v74, v66
	s_set_gpr_idx_on s18, gpr_idx(SRC0)
	v_mov_b32_e32 v66, v18
	s_set_gpr_idx_off
	v_fmac_f32_e32 v63, v64, v67
	s_set_gpr_idx_on s19, gpr_idx(SRC0)
	v_mov_b32_e32 v67, v18
	s_set_gpr_idx_off
	;; [unrolled: 4-line block ×3, first 2 shown]
	v_fmac_f32_e32 v63, v76, v69
	s_add_u32 s8, s8, 8
	s_waitcnt lgkmcnt(0)
	v_fmac_f32_e32 v63, v77, v70
	v_add_u32_e32 v64, s8, v65
	v_fmac_f32_e32 v63, v66, v71
	s_addc_u32 s9, s9, 0
	s_add_i32 s12, s12, 32
	s_add_i32 s13, s8, -7
	v_cmp_eq_u32_e32 vcc, 7, v64
	v_fmac_f32_e32 v63, v67, v72
	v_mov_b32_e32 v64, s13
	s_or_b64 s[10:11], vcc, s[10:11]
	v_fmac_f32_e32 v63, v68, v73
	s_andn2_b64 exec, exec, s[10:11]
	s_cbranch_execnz .LBB77_73
; %bb.74:
	s_or_b64 exec, exec, s[10:11]
.LBB77_75:
	s_or_b64 exec, exec, s[0:1]
	v_and_b32_e32 v32, 7, v0
	v_cmp_ne_u32_e32 vcc, 0, v32
	s_and_saveexec_b64 s[8:9], vcc
	s_cbranch_execz .LBB77_79
; %bb.76:
	v_lshl_add_u32 v33, v64, 2, 64
	v_mov_b32_e32 v65, 0
	s_mov_b64 s[10:11], 0
.LBB77_77:                              ; =>This Inner Loop Header: Depth=1
	v_cmp_eq_u32_e32 vcc, 1, v64
	v_cndmask_b32_e32 v66, v18, v19, vcc
	v_add_u32_e32 v32, -1, v32
	v_cmp_eq_u32_e32 vcc, 2, v64
	v_cndmask_b32_e32 v66, v66, v20, vcc
	v_cmp_eq_u32_e32 vcc, 0, v32
	v_cmp_eq_u32_e64 s[0:1], 3, v64
	v_cndmask_b32_e64 v66, v66, v21, s[0:1]
	s_or_b64 s[10:11], vcc, s[10:11]
	v_cmp_eq_u32_e32 vcc, 4, v64
	v_cndmask_b32_e32 v66, v66, v22, vcc
	v_cmp_eq_u32_e32 vcc, 5, v64
	v_cndmask_b32_e32 v66, v66, v23, vcc
	;; [unrolled: 2-line block ×5, first 2 shown]
	v_cmp_eq_u32_e32 vcc, 9, v64
	ds_read_b32 v67, v33
	v_cndmask_b32_e32 v66, v66, v27, vcc
	v_cmp_eq_u32_e32 vcc, 10, v64
	v_cndmask_b32_e32 v66, v66, v28, vcc
	v_cmp_eq_u32_e32 vcc, 11, v64
	v_cndmask_b32_e32 v66, v66, v29, vcc
	v_cmp_eq_u32_e32 vcc, 12, v64
	v_cndmask_b32_e32 v66, v66, v30, vcc
	v_cmp_eq_u32_e32 vcc, 13, v64
	v_add_co_u32_e64 v64, s[0:1], 1, v64
	v_cndmask_b32_e32 v66, v66, v31, vcc
	v_add_u32_e32 v33, 4, v33
	v_addc_co_u32_e64 v65, s[0:1], 0, v65, s[0:1]
	s_waitcnt lgkmcnt(0)
	v_fmac_f32_e32 v63, v66, v67
	s_andn2_b64 exec, exec, s[10:11]
	s_cbranch_execnz .LBB77_77
; %bb.78:
	s_or_b64 exec, exec, s[10:11]
.LBB77_79:
	s_or_b64 exec, exec, s[8:9]
.LBB77_80:
	s_or_b64 exec, exec, s[6:7]
	v_mov_b32_e32 v25, 0
	ds_read_b32 v25, v25 offset:28
	s_waitcnt lgkmcnt(0)
	v_mul_f32_e32 v25, v63, v25
.LBB77_81:
	s_or_b64 exec, exec, s[4:5]
	v_cmp_lt_u32_e64 s[0:1], 6, v0
	ds_write_b32 v62, v24
	s_waitcnt lgkmcnt(0)
	; wave barrier
	s_and_saveexec_b64 s[4:5], s[0:1]
	s_cbranch_execz .LBB77_97
; %bb.82:
	s_andn2_b64 vcc, exec, s[30:31]
	s_cbranch_vccnz .LBB77_84
; %bb.83:
	v_cmp_eq_u32_e32 vcc, 1, v0
	v_cndmask_b32_e32 v63, v18, v19, vcc
	v_cmp_eq_u32_e32 vcc, 2, v0
	v_cndmask_b32_e32 v63, v63, v20, vcc
	;; [unrolled: 2-line block ×9, first 2 shown]
	v_cmp_eq_u32_e32 vcc, 10, v0
	ds_read_b32 v64, v62
	v_cndmask_b32_e32 v63, v63, v28, vcc
	v_cmp_eq_u32_e32 vcc, 11, v0
	v_cndmask_b32_e32 v63, v63, v29, vcc
	v_cmp_eq_u32_e32 vcc, 12, v0
	;; [unrolled: 2-line block ×3, first 2 shown]
	v_cndmask_b32_e32 v63, v63, v31, vcc
	s_waitcnt lgkmcnt(0)
	v_mul_f32_e32 v63, v63, v64
	s_cbranch_execz .LBB77_85
	s_branch .LBB77_86
.LBB77_84:
                                        ; implicit-def: $vgpr63
.LBB77_85:
	ds_read_b32 v63, v62
.LBB77_86:
	s_and_saveexec_b64 s[6:7], s[2:3]
	s_cbranch_execz .LBB77_96
; %bb.87:
	v_add_u32_e32 v64, -8, v0
	v_add_u32_e32 v65, -7, v0
	v_cmp_lt_u32_e32 vcc, 6, v64
	v_mov_b32_e32 v64, 7
	s_and_saveexec_b64 s[2:3], vcc
	s_cbranch_execz .LBB77_91
; %bb.88:
	v_and_b32_e32 v64, -8, v65
	v_sub_u32_e32 v66, 0, v64
	s_mov_b64 s[8:9], 14
	s_movk_i32 s12, 0x5c
	s_mov_b64 s[10:11], 0
.LBB77_89:                              ; =>This Inner Loop Header: Depth=1
	s_add_i32 s13, s8, -7
	v_mov_b32_e32 v64, s12
	s_add_i32 s14, s8, -6
	s_set_gpr_idx_on s13, gpr_idx(SRC0)
	v_mov_b32_e32 v73, v18
	s_set_gpr_idx_off
	ds_read2_b32 v[67:68], v64 offset1:1
	s_add_i32 s15, s8, -5
	s_set_gpr_idx_on s14, gpr_idx(SRC0)
	v_mov_b32_e32 v74, v18
	s_set_gpr_idx_off
	s_add_i32 s16, s8, -4
	s_set_gpr_idx_on s15, gpr_idx(SRC0)
	v_mov_b32_e32 v75, v18
	s_set_gpr_idx_off
	ds_read2_b32 v[69:70], v64 offset0:2 offset1:3
	s_add_i32 s17, s8, -3
	s_set_gpr_idx_on s16, gpr_idx(SRC0)
	v_mov_b32_e32 v76, v18
	s_set_gpr_idx_off
	s_add_i32 s18, s8, -2
	s_set_gpr_idx_on s17, gpr_idx(SRC0)
	v_mov_b32_e32 v77, v18
	s_set_gpr_idx_off
	ds_read2_b32 v[71:72], v64 offset0:4 offset1:5
	s_add_i32 s19, s8, -1
	s_waitcnt lgkmcnt(2)
	v_fmac_f32_e32 v63, v73, v67
	s_set_gpr_idx_on s18, gpr_idx(SRC0)
	v_mov_b32_e32 v73, v18
	s_set_gpr_idx_off
	v_fmac_f32_e32 v63, v74, v68
	s_set_gpr_idx_on s19, gpr_idx(SRC0)
	v_mov_b32_e32 v74, v18
	s_set_gpr_idx_off
	ds_read2_b32 v[67:68], v64 offset0:6 offset1:7
	s_waitcnt lgkmcnt(2)
	v_fmac_f32_e32 v63, v75, v69
	s_set_gpr_idx_on s8, gpr_idx(SRC0)
	v_mov_b32_e32 v69, v18
	s_set_gpr_idx_off
	v_fmac_f32_e32 v63, v76, v70
	s_add_u32 s8, s8, 8
	s_waitcnt lgkmcnt(1)
	v_fmac_f32_e32 v63, v77, v71
	v_add_u32_e32 v64, s8, v66
	v_fmac_f32_e32 v63, v73, v72
	s_addc_u32 s9, s9, 0
	s_add_i32 s12, s12, 32
	s_add_i32 s13, s8, -7
	v_cmp_eq_u32_e32 vcc, 14, v64
	s_waitcnt lgkmcnt(0)
	v_fmac_f32_e32 v63, v74, v67
	v_mov_b32_e32 v64, s13
	s_or_b64 s[10:11], vcc, s[10:11]
	v_fmac_f32_e32 v63, v69, v68
	s_andn2_b64 exec, exec, s[10:11]
	s_cbranch_execnz .LBB77_89
; %bb.90:
	s_or_b64 exec, exec, s[10:11]
.LBB77_91:
	s_or_b64 exec, exec, s[2:3]
	v_and_b32_e32 v32, 7, v65
	v_cmp_ne_u32_e32 vcc, 0, v32
	s_and_saveexec_b64 s[8:9], vcc
	s_cbranch_execz .LBB77_95
; %bb.92:
	v_lshl_add_u32 v33, v64, 2, 64
	v_mov_b32_e32 v65, 0
	s_mov_b64 s[10:11], 0
.LBB77_93:                              ; =>This Inner Loop Header: Depth=1
	v_cmp_eq_u32_e32 vcc, 1, v64
	v_cndmask_b32_e32 v66, v18, v19, vcc
	v_add_u32_e32 v32, -1, v32
	v_cmp_eq_u32_e32 vcc, 2, v64
	v_cndmask_b32_e32 v66, v66, v20, vcc
	v_cmp_eq_u32_e32 vcc, 0, v32
	v_cmp_eq_u32_e64 s[2:3], 3, v64
	v_cndmask_b32_e64 v66, v66, v21, s[2:3]
	s_or_b64 s[10:11], vcc, s[10:11]
	v_cmp_eq_u32_e32 vcc, 4, v64
	v_cndmask_b32_e32 v66, v66, v22, vcc
	v_cmp_eq_u32_e32 vcc, 5, v64
	v_cndmask_b32_e32 v66, v66, v23, vcc
	;; [unrolled: 2-line block ×5, first 2 shown]
	v_cmp_eq_u32_e32 vcc, 9, v64
	ds_read_b32 v67, v33
	v_cndmask_b32_e32 v66, v66, v27, vcc
	v_cmp_eq_u32_e32 vcc, 10, v64
	v_cndmask_b32_e32 v66, v66, v28, vcc
	v_cmp_eq_u32_e32 vcc, 11, v64
	;; [unrolled: 2-line block ×4, first 2 shown]
	v_add_co_u32_e64 v64, s[2:3], 1, v64
	v_cndmask_b32_e32 v66, v66, v31, vcc
	v_add_u32_e32 v33, 4, v33
	v_addc_co_u32_e64 v65, s[2:3], 0, v65, s[2:3]
	s_waitcnt lgkmcnt(0)
	v_fmac_f32_e32 v63, v66, v67
	s_andn2_b64 exec, exec, s[10:11]
	s_cbranch_execnz .LBB77_93
; %bb.94:
	s_or_b64 exec, exec, s[10:11]
.LBB77_95:
	s_or_b64 exec, exec, s[8:9]
.LBB77_96:
	s_or_b64 exec, exec, s[6:7]
	v_mov_b32_e32 v24, 0
	ds_read_b32 v24, v24 offset:24
	s_waitcnt lgkmcnt(0)
	v_mul_f32_e32 v24, v63, v24
.LBB77_97:
	s_or_b64 exec, exec, s[4:5]
	v_cmp_lt_u32_e64 s[2:3], 5, v0
	ds_write_b32 v62, v23
	s_waitcnt lgkmcnt(0)
	; wave barrier
	s_and_saveexec_b64 s[4:5], s[2:3]
	s_cbranch_execz .LBB77_113
; %bb.98:
	s_andn2_b64 vcc, exec, s[30:31]
	s_cbranch_vccnz .LBB77_100
; %bb.99:
	v_cmp_eq_u32_e32 vcc, 1, v0
	v_cndmask_b32_e32 v63, v18, v19, vcc
	v_cmp_eq_u32_e32 vcc, 2, v0
	v_cndmask_b32_e32 v63, v63, v20, vcc
	;; [unrolled: 2-line block ×9, first 2 shown]
	v_cmp_eq_u32_e32 vcc, 10, v0
	ds_read_b32 v64, v62
	v_cndmask_b32_e32 v63, v63, v28, vcc
	v_cmp_eq_u32_e32 vcc, 11, v0
	v_cndmask_b32_e32 v63, v63, v29, vcc
	v_cmp_eq_u32_e32 vcc, 12, v0
	;; [unrolled: 2-line block ×3, first 2 shown]
	v_cndmask_b32_e32 v63, v63, v31, vcc
	s_waitcnt lgkmcnt(0)
	v_mul_f32_e32 v63, v63, v64
	s_cbranch_execz .LBB77_101
	s_branch .LBB77_102
.LBB77_100:
                                        ; implicit-def: $vgpr63
.LBB77_101:
	ds_read_b32 v63, v62
.LBB77_102:
	s_and_saveexec_b64 s[6:7], s[0:1]
	s_cbranch_execz .LBB77_112
; %bb.103:
	v_add_u32_e32 v66, -7, v0
	v_add_u32_e32 v65, -6, v0
	v_mov_b32_e32 v64, 6
	v_cmp_lt_u32_e32 vcc, 6, v66
	s_and_saveexec_b64 s[0:1], vcc
	s_cbranch_execz .LBB77_107
; %bb.104:
	v_and_b32_e32 v64, -8, v65
	v_sub_u32_e32 v66, 0, v64
	s_mov_b64 s[8:9], 13
	s_movk_i32 s12, 0x58
	s_mov_b64 s[10:11], 0
.LBB77_105:                             ; =>This Inner Loop Header: Depth=1
	s_add_i32 s13, s8, -7
	v_mov_b32_e32 v64, s12
	s_add_i32 s14, s8, -6
	s_set_gpr_idx_on s13, gpr_idx(SRC0)
	v_mov_b32_e32 v75, v18
	s_set_gpr_idx_off
	ds_read2_b64 v[67:70], v64 offset1:1
	s_add_i32 s15, s8, -5
	s_set_gpr_idx_on s14, gpr_idx(SRC0)
	v_mov_b32_e32 v76, v18
	s_set_gpr_idx_off
	s_add_i32 s16, s8, -4
	s_set_gpr_idx_on s15, gpr_idx(SRC0)
	v_mov_b32_e32 v77, v18
	s_set_gpr_idx_off
	;; [unrolled: 4-line block ×4, first 2 shown]
	ds_read2_b64 v[71:74], v64 offset0:2 offset1:3
	s_add_i32 s19, s8, -1
	s_waitcnt lgkmcnt(1)
	v_fmac_f32_e32 v63, v75, v67
	s_set_gpr_idx_on s18, gpr_idx(SRC0)
	v_mov_b32_e32 v67, v18
	s_set_gpr_idx_off
	v_fmac_f32_e32 v63, v76, v68
	s_set_gpr_idx_on s19, gpr_idx(SRC0)
	v_mov_b32_e32 v68, v18
	s_set_gpr_idx_off
	;; [unrolled: 4-line block ×3, first 2 shown]
	v_fmac_f32_e32 v63, v78, v70
	s_add_u32 s8, s8, 8
	s_waitcnt lgkmcnt(0)
	v_fmac_f32_e32 v63, v79, v71
	v_add_u32_e32 v64, s8, v66
	v_fmac_f32_e32 v63, v67, v72
	s_addc_u32 s9, s9, 0
	s_add_i32 s12, s12, 32
	s_add_i32 s13, s8, -7
	v_cmp_eq_u32_e32 vcc, 13, v64
	v_fmac_f32_e32 v63, v68, v73
	v_mov_b32_e32 v64, s13
	s_or_b64 s[10:11], vcc, s[10:11]
	v_fmac_f32_e32 v63, v69, v74
	s_andn2_b64 exec, exec, s[10:11]
	s_cbranch_execnz .LBB77_105
; %bb.106:
	s_or_b64 exec, exec, s[10:11]
.LBB77_107:
	s_or_b64 exec, exec, s[0:1]
	v_and_b32_e32 v32, 7, v65
	v_cmp_ne_u32_e32 vcc, 0, v32
	s_and_saveexec_b64 s[8:9], vcc
	s_cbranch_execz .LBB77_111
; %bb.108:
	v_lshl_add_u32 v33, v64, 2, 64
	v_mov_b32_e32 v65, 0
	s_mov_b64 s[10:11], 0
.LBB77_109:                             ; =>This Inner Loop Header: Depth=1
	v_cmp_eq_u32_e32 vcc, 1, v64
	v_cndmask_b32_e32 v66, v18, v19, vcc
	v_add_u32_e32 v32, -1, v32
	v_cmp_eq_u32_e32 vcc, 2, v64
	v_cndmask_b32_e32 v66, v66, v20, vcc
	v_cmp_eq_u32_e32 vcc, 0, v32
	v_cmp_eq_u32_e64 s[0:1], 3, v64
	v_cndmask_b32_e64 v66, v66, v21, s[0:1]
	s_or_b64 s[10:11], vcc, s[10:11]
	v_cmp_eq_u32_e32 vcc, 4, v64
	v_cndmask_b32_e32 v66, v66, v22, vcc
	v_cmp_eq_u32_e32 vcc, 5, v64
	v_cndmask_b32_e32 v66, v66, v23, vcc
	;; [unrolled: 2-line block ×5, first 2 shown]
	v_cmp_eq_u32_e32 vcc, 9, v64
	ds_read_b32 v67, v33
	v_cndmask_b32_e32 v66, v66, v27, vcc
	v_cmp_eq_u32_e32 vcc, 10, v64
	v_cndmask_b32_e32 v66, v66, v28, vcc
	v_cmp_eq_u32_e32 vcc, 11, v64
	;; [unrolled: 2-line block ×4, first 2 shown]
	v_add_co_u32_e64 v64, s[0:1], 1, v64
	v_cndmask_b32_e32 v66, v66, v31, vcc
	v_add_u32_e32 v33, 4, v33
	v_addc_co_u32_e64 v65, s[0:1], 0, v65, s[0:1]
	s_waitcnt lgkmcnt(0)
	v_fmac_f32_e32 v63, v66, v67
	s_andn2_b64 exec, exec, s[10:11]
	s_cbranch_execnz .LBB77_109
; %bb.110:
	s_or_b64 exec, exec, s[10:11]
.LBB77_111:
	s_or_b64 exec, exec, s[8:9]
.LBB77_112:
	s_or_b64 exec, exec, s[6:7]
	v_mov_b32_e32 v23, 0
	ds_read_b32 v23, v23 offset:20
	s_waitcnt lgkmcnt(0)
	v_mul_f32_e32 v23, v63, v23
.LBB77_113:
	s_or_b64 exec, exec, s[4:5]
	v_cmp_lt_u32_e64 s[0:1], 4, v0
	ds_write_b32 v62, v22
	s_waitcnt lgkmcnt(0)
	; wave barrier
	s_and_saveexec_b64 s[4:5], s[0:1]
	s_cbranch_execz .LBB77_129
; %bb.114:
	s_andn2_b64 vcc, exec, s[30:31]
	s_cbranch_vccnz .LBB77_116
; %bb.115:
	v_cmp_eq_u32_e32 vcc, 1, v0
	v_cndmask_b32_e32 v63, v18, v19, vcc
	v_cmp_eq_u32_e32 vcc, 2, v0
	v_cndmask_b32_e32 v63, v63, v20, vcc
	v_cmp_eq_u32_e32 vcc, 3, v0
	v_cndmask_b32_e32 v63, v63, v21, vcc
	v_cmp_eq_u32_e32 vcc, 4, v0
	v_cndmask_b32_e32 v63, v63, v22, vcc
	v_cmp_eq_u32_e32 vcc, 5, v0
	v_cndmask_b32_e32 v63, v63, v23, vcc
	v_cmp_eq_u32_e32 vcc, 6, v0
	v_cndmask_b32_e32 v63, v63, v24, vcc
	v_cmp_eq_u32_e32 vcc, 7, v0
	v_cndmask_b32_e32 v63, v63, v25, vcc
	v_cmp_eq_u32_e32 vcc, 8, v0
	v_cndmask_b32_e32 v63, v63, v26, vcc
	v_cmp_eq_u32_e32 vcc, 9, v0
	v_cndmask_b32_e32 v63, v63, v27, vcc
	v_cmp_eq_u32_e32 vcc, 10, v0
	ds_read_b32 v64, v62
	v_cndmask_b32_e32 v63, v63, v28, vcc
	v_cmp_eq_u32_e32 vcc, 11, v0
	v_cndmask_b32_e32 v63, v63, v29, vcc
	v_cmp_eq_u32_e32 vcc, 12, v0
	;; [unrolled: 2-line block ×3, first 2 shown]
	v_cndmask_b32_e32 v63, v63, v31, vcc
	s_waitcnt lgkmcnt(0)
	v_mul_f32_e32 v63, v63, v64
	s_cbranch_execz .LBB77_117
	s_branch .LBB77_118
.LBB77_116:
                                        ; implicit-def: $vgpr63
.LBB77_117:
	ds_read_b32 v63, v62
.LBB77_118:
	s_and_saveexec_b64 s[6:7], s[2:3]
	s_cbranch_execz .LBB77_128
; %bb.119:
	v_add_u32_e32 v64, -6, v0
	v_add_u32_e32 v65, -5, v0
	v_cmp_lt_u32_e32 vcc, 6, v64
	v_mov_b32_e32 v64, 5
	s_and_saveexec_b64 s[2:3], vcc
	s_cbranch_execz .LBB77_123
; %bb.120:
	v_and_b32_e32 v64, -8, v65
	v_sub_u32_e32 v66, 0, v64
	s_mov_b64 s[8:9], 12
	s_movk_i32 s12, 0x54
	s_mov_b64 s[10:11], 0
.LBB77_121:                             ; =>This Inner Loop Header: Depth=1
	s_add_i32 s13, s8, -7
	v_mov_b32_e32 v64, s12
	s_add_i32 s14, s8, -6
	s_set_gpr_idx_on s13, gpr_idx(SRC0)
	v_mov_b32_e32 v73, v18
	s_set_gpr_idx_off
	ds_read2_b32 v[67:68], v64 offset1:1
	s_add_i32 s15, s8, -5
	s_set_gpr_idx_on s14, gpr_idx(SRC0)
	v_mov_b32_e32 v74, v18
	s_set_gpr_idx_off
	s_add_i32 s16, s8, -4
	s_set_gpr_idx_on s15, gpr_idx(SRC0)
	v_mov_b32_e32 v75, v18
	s_set_gpr_idx_off
	ds_read2_b32 v[69:70], v64 offset0:2 offset1:3
	s_add_i32 s17, s8, -3
	s_set_gpr_idx_on s16, gpr_idx(SRC0)
	v_mov_b32_e32 v76, v18
	s_set_gpr_idx_off
	s_add_i32 s18, s8, -2
	s_set_gpr_idx_on s17, gpr_idx(SRC0)
	v_mov_b32_e32 v77, v18
	s_set_gpr_idx_off
	ds_read2_b32 v[71:72], v64 offset0:4 offset1:5
	s_add_i32 s19, s8, -1
	s_waitcnt lgkmcnt(2)
	v_fmac_f32_e32 v63, v73, v67
	s_set_gpr_idx_on s18, gpr_idx(SRC0)
	v_mov_b32_e32 v73, v18
	s_set_gpr_idx_off
	v_fmac_f32_e32 v63, v74, v68
	s_set_gpr_idx_on s19, gpr_idx(SRC0)
	v_mov_b32_e32 v74, v18
	s_set_gpr_idx_off
	ds_read2_b32 v[67:68], v64 offset0:6 offset1:7
	s_waitcnt lgkmcnt(2)
	v_fmac_f32_e32 v63, v75, v69
	s_set_gpr_idx_on s8, gpr_idx(SRC0)
	v_mov_b32_e32 v69, v18
	s_set_gpr_idx_off
	v_fmac_f32_e32 v63, v76, v70
	s_add_u32 s8, s8, 8
	s_waitcnt lgkmcnt(1)
	v_fmac_f32_e32 v63, v77, v71
	v_add_u32_e32 v64, s8, v66
	v_fmac_f32_e32 v63, v73, v72
	s_addc_u32 s9, s9, 0
	s_add_i32 s12, s12, 32
	s_add_i32 s13, s8, -7
	v_cmp_eq_u32_e32 vcc, 12, v64
	s_waitcnt lgkmcnt(0)
	v_fmac_f32_e32 v63, v74, v67
	v_mov_b32_e32 v64, s13
	s_or_b64 s[10:11], vcc, s[10:11]
	v_fmac_f32_e32 v63, v69, v68
	s_andn2_b64 exec, exec, s[10:11]
	s_cbranch_execnz .LBB77_121
; %bb.122:
	s_or_b64 exec, exec, s[10:11]
.LBB77_123:
	s_or_b64 exec, exec, s[2:3]
	v_and_b32_e32 v32, 7, v65
	v_cmp_ne_u32_e32 vcc, 0, v32
	s_and_saveexec_b64 s[8:9], vcc
	s_cbranch_execz .LBB77_127
; %bb.124:
	v_lshl_add_u32 v33, v64, 2, 64
	v_mov_b32_e32 v65, 0
	s_mov_b64 s[10:11], 0
.LBB77_125:                             ; =>This Inner Loop Header: Depth=1
	v_cmp_eq_u32_e32 vcc, 1, v64
	v_cndmask_b32_e32 v66, v18, v19, vcc
	v_add_u32_e32 v32, -1, v32
	v_cmp_eq_u32_e32 vcc, 2, v64
	v_cndmask_b32_e32 v66, v66, v20, vcc
	v_cmp_eq_u32_e32 vcc, 0, v32
	v_cmp_eq_u32_e64 s[2:3], 3, v64
	v_cndmask_b32_e64 v66, v66, v21, s[2:3]
	s_or_b64 s[10:11], vcc, s[10:11]
	v_cmp_eq_u32_e32 vcc, 4, v64
	v_cndmask_b32_e32 v66, v66, v22, vcc
	v_cmp_eq_u32_e32 vcc, 5, v64
	v_cndmask_b32_e32 v66, v66, v23, vcc
	;; [unrolled: 2-line block ×5, first 2 shown]
	v_cmp_eq_u32_e32 vcc, 9, v64
	ds_read_b32 v67, v33
	v_cndmask_b32_e32 v66, v66, v27, vcc
	v_cmp_eq_u32_e32 vcc, 10, v64
	v_cndmask_b32_e32 v66, v66, v28, vcc
	v_cmp_eq_u32_e32 vcc, 11, v64
	;; [unrolled: 2-line block ×4, first 2 shown]
	v_add_co_u32_e64 v64, s[2:3], 1, v64
	v_cndmask_b32_e32 v66, v66, v31, vcc
	v_add_u32_e32 v33, 4, v33
	v_addc_co_u32_e64 v65, s[2:3], 0, v65, s[2:3]
	s_waitcnt lgkmcnt(0)
	v_fmac_f32_e32 v63, v66, v67
	s_andn2_b64 exec, exec, s[10:11]
	s_cbranch_execnz .LBB77_125
; %bb.126:
	s_or_b64 exec, exec, s[10:11]
.LBB77_127:
	s_or_b64 exec, exec, s[8:9]
.LBB77_128:
	s_or_b64 exec, exec, s[6:7]
	v_mov_b32_e32 v22, 0
	ds_read_b32 v22, v22 offset:16
	s_waitcnt lgkmcnt(0)
	v_mul_f32_e32 v22, v63, v22
.LBB77_129:
	s_or_b64 exec, exec, s[4:5]
	v_cmp_lt_u32_e64 s[2:3], 3, v0
	ds_write_b32 v62, v21
	s_waitcnt lgkmcnt(0)
	; wave barrier
	s_and_saveexec_b64 s[4:5], s[2:3]
	s_cbranch_execz .LBB77_145
; %bb.130:
	s_andn2_b64 vcc, exec, s[30:31]
	s_cbranch_vccnz .LBB77_132
; %bb.131:
	v_cmp_eq_u32_e32 vcc, 1, v0
	v_cndmask_b32_e32 v63, v18, v19, vcc
	v_cmp_eq_u32_e32 vcc, 2, v0
	v_cndmask_b32_e32 v63, v63, v20, vcc
	;; [unrolled: 2-line block ×9, first 2 shown]
	v_cmp_eq_u32_e32 vcc, 10, v0
	ds_read_b32 v64, v62
	v_cndmask_b32_e32 v63, v63, v28, vcc
	v_cmp_eq_u32_e32 vcc, 11, v0
	v_cndmask_b32_e32 v63, v63, v29, vcc
	v_cmp_eq_u32_e32 vcc, 12, v0
	;; [unrolled: 2-line block ×3, first 2 shown]
	v_cndmask_b32_e32 v63, v63, v31, vcc
	s_waitcnt lgkmcnt(0)
	v_mul_f32_e32 v63, v63, v64
	s_cbranch_execz .LBB77_133
	s_branch .LBB77_134
.LBB77_132:
                                        ; implicit-def: $vgpr63
.LBB77_133:
	ds_read_b32 v63, v62
.LBB77_134:
	s_and_saveexec_b64 s[6:7], s[0:1]
	s_cbranch_execz .LBB77_144
; %bb.135:
	v_add_u32_e32 v64, -5, v0
	v_add_u32_e32 v65, -4, v0
	v_cmp_lt_u32_e32 vcc, 6, v64
	v_mov_b32_e32 v64, 4
	s_and_saveexec_b64 s[0:1], vcc
	s_cbranch_execz .LBB77_139
; %bb.136:
	v_and_b32_e32 v64, -8, v65
	v_sub_u32_e32 v66, 0, v64
	s_mov_b64 s[8:9], 5
	s_movk_i32 s12, 0x50
	s_mov_b64 s[10:11], 0
.LBB77_137:                             ; =>This Inner Loop Header: Depth=1
	s_add_i32 s13, s8, -1
	v_mov_b32_e32 v64, s12
	s_set_gpr_idx_on s13, gpr_idx(SRC0)
	v_mov_b32_e32 v75, v18
	s_set_gpr_idx_off
	s_add_i32 s14, s8, 1
	ds_read_b128 v[67:70], v64
	ds_read_b128 v[71:74], v64 offset:16
	s_set_gpr_idx_on s8, gpr_idx(SRC0)
	v_mov_b32_e32 v76, v18
	s_set_gpr_idx_off
	s_add_i32 s15, s8, 2
	s_set_gpr_idx_on s14, gpr_idx(SRC0)
	v_mov_b32_e32 v77, v18
	s_set_gpr_idx_off
	s_add_i32 s16, s8, 3
	;; [unrolled: 4-line block ×4, first 2 shown]
	s_waitcnt lgkmcnt(1)
	v_fmac_f32_e32 v63, v75, v67
	s_set_gpr_idx_on s17, gpr_idx(SRC0)
	v_mov_b32_e32 v67, v18
	s_set_gpr_idx_off
	s_add_i32 s19, s8, 6
	v_fmac_f32_e32 v63, v76, v68
	s_set_gpr_idx_on s18, gpr_idx(SRC0)
	v_mov_b32_e32 v68, v18
	s_set_gpr_idx_off
	v_fmac_f32_e32 v63, v77, v69
	s_set_gpr_idx_on s19, gpr_idx(SRC0)
	v_mov_b32_e32 v69, v18
	s_set_gpr_idx_off
	v_fmac_f32_e32 v63, v78, v70
	s_add_u32 s8, s8, 8
	s_waitcnt lgkmcnt(0)
	v_fmac_f32_e32 v63, v79, v71
	v_add_u32_e32 v64, s8, v66
	v_fmac_f32_e32 v63, v67, v72
	s_addc_u32 s9, s9, 0
	s_add_i32 s12, s12, 32
	s_add_i32 s13, s8, -1
	v_cmp_eq_u32_e32 vcc, 5, v64
	v_fmac_f32_e32 v63, v68, v73
	v_mov_b32_e32 v64, s13
	s_or_b64 s[10:11], vcc, s[10:11]
	v_fmac_f32_e32 v63, v69, v74
	s_andn2_b64 exec, exec, s[10:11]
	s_cbranch_execnz .LBB77_137
; %bb.138:
	s_or_b64 exec, exec, s[10:11]
.LBB77_139:
	s_or_b64 exec, exec, s[0:1]
	v_and_b32_e32 v32, 7, v65
	v_cmp_ne_u32_e32 vcc, 0, v32
	s_and_saveexec_b64 s[8:9], vcc
	s_cbranch_execz .LBB77_143
; %bb.140:
	v_lshl_add_u32 v33, v64, 2, 64
	v_mov_b32_e32 v65, 0
	s_mov_b64 s[10:11], 0
.LBB77_141:                             ; =>This Inner Loop Header: Depth=1
	v_cmp_eq_u32_e32 vcc, 1, v64
	v_cndmask_b32_e32 v66, v18, v19, vcc
	v_add_u32_e32 v32, -1, v32
	v_cmp_eq_u32_e32 vcc, 2, v64
	v_cndmask_b32_e32 v66, v66, v20, vcc
	v_cmp_eq_u32_e32 vcc, 0, v32
	v_cmp_eq_u32_e64 s[0:1], 3, v64
	v_cndmask_b32_e64 v66, v66, v21, s[0:1]
	s_or_b64 s[10:11], vcc, s[10:11]
	v_cmp_eq_u32_e32 vcc, 4, v64
	v_cndmask_b32_e32 v66, v66, v22, vcc
	v_cmp_eq_u32_e32 vcc, 5, v64
	v_cndmask_b32_e32 v66, v66, v23, vcc
	;; [unrolled: 2-line block ×5, first 2 shown]
	v_cmp_eq_u32_e32 vcc, 9, v64
	ds_read_b32 v67, v33
	v_cndmask_b32_e32 v66, v66, v27, vcc
	v_cmp_eq_u32_e32 vcc, 10, v64
	v_cndmask_b32_e32 v66, v66, v28, vcc
	v_cmp_eq_u32_e32 vcc, 11, v64
	;; [unrolled: 2-line block ×4, first 2 shown]
	v_add_co_u32_e64 v64, s[0:1], 1, v64
	v_cndmask_b32_e32 v66, v66, v31, vcc
	v_add_u32_e32 v33, 4, v33
	v_addc_co_u32_e64 v65, s[0:1], 0, v65, s[0:1]
	s_waitcnt lgkmcnt(0)
	v_fmac_f32_e32 v63, v66, v67
	s_andn2_b64 exec, exec, s[10:11]
	s_cbranch_execnz .LBB77_141
; %bb.142:
	s_or_b64 exec, exec, s[10:11]
.LBB77_143:
	s_or_b64 exec, exec, s[8:9]
.LBB77_144:
	s_or_b64 exec, exec, s[6:7]
	v_mov_b32_e32 v21, 0
	ds_read_b32 v21, v21 offset:12
	s_waitcnt lgkmcnt(0)
	v_mul_f32_e32 v21, v63, v21
.LBB77_145:
	s_or_b64 exec, exec, s[4:5]
	v_cmp_lt_u32_e64 s[0:1], 2, v0
	ds_write_b32 v62, v20
	s_waitcnt lgkmcnt(0)
	; wave barrier
	s_and_saveexec_b64 s[4:5], s[0:1]
	s_cbranch_execz .LBB77_161
; %bb.146:
	s_andn2_b64 vcc, exec, s[30:31]
	s_cbranch_vccnz .LBB77_148
; %bb.147:
	v_cmp_eq_u32_e32 vcc, 1, v0
	v_cndmask_b32_e32 v63, v18, v19, vcc
	v_cmp_eq_u32_e32 vcc, 2, v0
	v_cndmask_b32_e32 v63, v63, v20, vcc
	;; [unrolled: 2-line block ×9, first 2 shown]
	v_cmp_eq_u32_e32 vcc, 10, v0
	ds_read_b32 v64, v62
	v_cndmask_b32_e32 v63, v63, v28, vcc
	v_cmp_eq_u32_e32 vcc, 11, v0
	v_cndmask_b32_e32 v63, v63, v29, vcc
	v_cmp_eq_u32_e32 vcc, 12, v0
	;; [unrolled: 2-line block ×3, first 2 shown]
	v_cndmask_b32_e32 v63, v63, v31, vcc
	s_waitcnt lgkmcnt(0)
	v_mul_f32_e32 v63, v63, v64
	s_cbranch_execz .LBB77_149
	s_branch .LBB77_150
.LBB77_148:
                                        ; implicit-def: $vgpr63
.LBB77_149:
	ds_read_b32 v63, v62
.LBB77_150:
	s_and_saveexec_b64 s[6:7], s[2:3]
	s_cbranch_execz .LBB77_160
; %bb.151:
	v_add_u32_e32 v64, -4, v0
	v_add_u32_e32 v65, -3, v0
	v_cmp_lt_u32_e32 vcc, 6, v64
	v_mov_b32_e32 v64, 3
	s_and_saveexec_b64 s[2:3], vcc
	s_cbranch_execz .LBB77_155
; %bb.152:
	v_and_b32_e32 v64, -8, v65
	v_sub_u32_e32 v66, 0, v64
	s_mov_b64 s[8:9], 10
	s_movk_i32 s12, 0x4c
	s_mov_b64 s[10:11], 0
.LBB77_153:                             ; =>This Inner Loop Header: Depth=1
	s_add_i32 s13, s8, -7
	v_mov_b32_e32 v64, s12
	s_add_i32 s14, s8, -6
	s_set_gpr_idx_on s13, gpr_idx(SRC0)
	v_mov_b32_e32 v73, v18
	s_set_gpr_idx_off
	ds_read2_b32 v[67:68], v64 offset1:1
	s_add_i32 s15, s8, -5
	s_set_gpr_idx_on s14, gpr_idx(SRC0)
	v_mov_b32_e32 v74, v18
	s_set_gpr_idx_off
	s_add_i32 s16, s8, -4
	s_set_gpr_idx_on s15, gpr_idx(SRC0)
	v_mov_b32_e32 v75, v18
	s_set_gpr_idx_off
	ds_read2_b32 v[69:70], v64 offset0:2 offset1:3
	s_add_i32 s17, s8, -3
	s_set_gpr_idx_on s16, gpr_idx(SRC0)
	v_mov_b32_e32 v76, v18
	s_set_gpr_idx_off
	s_add_i32 s18, s8, -2
	s_set_gpr_idx_on s17, gpr_idx(SRC0)
	v_mov_b32_e32 v77, v18
	s_set_gpr_idx_off
	ds_read2_b32 v[71:72], v64 offset0:4 offset1:5
	s_add_i32 s19, s8, -1
	s_waitcnt lgkmcnt(2)
	v_fmac_f32_e32 v63, v73, v67
	s_set_gpr_idx_on s18, gpr_idx(SRC0)
	v_mov_b32_e32 v73, v18
	s_set_gpr_idx_off
	v_fmac_f32_e32 v63, v74, v68
	s_set_gpr_idx_on s19, gpr_idx(SRC0)
	v_mov_b32_e32 v74, v18
	s_set_gpr_idx_off
	ds_read2_b32 v[67:68], v64 offset0:6 offset1:7
	s_waitcnt lgkmcnt(2)
	v_fmac_f32_e32 v63, v75, v69
	s_set_gpr_idx_on s8, gpr_idx(SRC0)
	v_mov_b32_e32 v69, v18
	s_set_gpr_idx_off
	v_fmac_f32_e32 v63, v76, v70
	s_add_u32 s8, s8, 8
	s_waitcnt lgkmcnt(1)
	v_fmac_f32_e32 v63, v77, v71
	v_add_u32_e32 v64, s8, v66
	v_fmac_f32_e32 v63, v73, v72
	s_addc_u32 s9, s9, 0
	s_add_i32 s12, s12, 32
	s_add_i32 s13, s8, -7
	v_cmp_eq_u32_e32 vcc, 10, v64
	s_waitcnt lgkmcnt(0)
	v_fmac_f32_e32 v63, v74, v67
	v_mov_b32_e32 v64, s13
	s_or_b64 s[10:11], vcc, s[10:11]
	v_fmac_f32_e32 v63, v69, v68
	s_andn2_b64 exec, exec, s[10:11]
	s_cbranch_execnz .LBB77_153
; %bb.154:
	s_or_b64 exec, exec, s[10:11]
.LBB77_155:
	s_or_b64 exec, exec, s[2:3]
	v_and_b32_e32 v32, 7, v65
	v_cmp_ne_u32_e32 vcc, 0, v32
	s_and_saveexec_b64 s[8:9], vcc
	s_cbranch_execz .LBB77_159
; %bb.156:
	v_lshl_add_u32 v33, v64, 2, 64
	v_mov_b32_e32 v65, 0
	s_mov_b64 s[10:11], 0
.LBB77_157:                             ; =>This Inner Loop Header: Depth=1
	v_cmp_eq_u32_e32 vcc, 1, v64
	v_cndmask_b32_e32 v66, v18, v19, vcc
	v_add_u32_e32 v32, -1, v32
	v_cmp_eq_u32_e32 vcc, 2, v64
	v_cndmask_b32_e32 v66, v66, v20, vcc
	v_cmp_eq_u32_e32 vcc, 0, v32
	v_cmp_eq_u32_e64 s[2:3], 3, v64
	v_cndmask_b32_e64 v66, v66, v21, s[2:3]
	s_or_b64 s[10:11], vcc, s[10:11]
	v_cmp_eq_u32_e32 vcc, 4, v64
	v_cndmask_b32_e32 v66, v66, v22, vcc
	v_cmp_eq_u32_e32 vcc, 5, v64
	v_cndmask_b32_e32 v66, v66, v23, vcc
	;; [unrolled: 2-line block ×5, first 2 shown]
	v_cmp_eq_u32_e32 vcc, 9, v64
	ds_read_b32 v67, v33
	v_cndmask_b32_e32 v66, v66, v27, vcc
	v_cmp_eq_u32_e32 vcc, 10, v64
	v_cndmask_b32_e32 v66, v66, v28, vcc
	v_cmp_eq_u32_e32 vcc, 11, v64
	v_cndmask_b32_e32 v66, v66, v29, vcc
	v_cmp_eq_u32_e32 vcc, 12, v64
	v_cndmask_b32_e32 v66, v66, v30, vcc
	v_cmp_eq_u32_e32 vcc, 13, v64
	v_add_co_u32_e64 v64, s[2:3], 1, v64
	v_cndmask_b32_e32 v66, v66, v31, vcc
	v_add_u32_e32 v33, 4, v33
	v_addc_co_u32_e64 v65, s[2:3], 0, v65, s[2:3]
	s_waitcnt lgkmcnt(0)
	v_fmac_f32_e32 v63, v66, v67
	s_andn2_b64 exec, exec, s[10:11]
	s_cbranch_execnz .LBB77_157
; %bb.158:
	s_or_b64 exec, exec, s[10:11]
.LBB77_159:
	s_or_b64 exec, exec, s[8:9]
.LBB77_160:
	s_or_b64 exec, exec, s[6:7]
	v_mov_b32_e32 v20, 0
	ds_read_b32 v20, v20 offset:8
	s_waitcnt lgkmcnt(0)
	v_mul_f32_e32 v20, v63, v20
.LBB77_161:
	s_or_b64 exec, exec, s[4:5]
	v_cmp_lt_u32_e64 s[2:3], 1, v0
	ds_write_b32 v62, v19
	s_waitcnt lgkmcnt(0)
	; wave barrier
	s_and_saveexec_b64 s[4:5], s[2:3]
	s_cbranch_execz .LBB77_177
; %bb.162:
	s_andn2_b64 vcc, exec, s[30:31]
	s_cbranch_vccnz .LBB77_164
; %bb.163:
	v_cmp_eq_u32_e32 vcc, 1, v0
	v_cndmask_b32_e32 v63, v18, v19, vcc
	v_cmp_eq_u32_e32 vcc, 2, v0
	v_cndmask_b32_e32 v63, v63, v20, vcc
	;; [unrolled: 2-line block ×9, first 2 shown]
	v_cmp_eq_u32_e32 vcc, 10, v0
	ds_read_b32 v64, v62
	v_cndmask_b32_e32 v63, v63, v28, vcc
	v_cmp_eq_u32_e32 vcc, 11, v0
	v_cndmask_b32_e32 v63, v63, v29, vcc
	v_cmp_eq_u32_e32 vcc, 12, v0
	;; [unrolled: 2-line block ×3, first 2 shown]
	v_cndmask_b32_e32 v63, v63, v31, vcc
	s_waitcnt lgkmcnt(0)
	v_mul_f32_e32 v63, v63, v64
	s_cbranch_execz .LBB77_165
	s_branch .LBB77_166
.LBB77_164:
                                        ; implicit-def: $vgpr63
.LBB77_165:
	ds_read_b32 v63, v62
.LBB77_166:
	s_and_saveexec_b64 s[6:7], s[0:1]
	s_cbranch_execz .LBB77_176
; %bb.167:
	v_add_u32_e32 v64, -3, v0
	v_add_u32_e32 v65, -2, v0
	v_cmp_lt_u32_e32 vcc, 6, v64
	v_mov_b32_e32 v64, 2
	s_and_saveexec_b64 s[0:1], vcc
	s_cbranch_execz .LBB77_171
; %bb.168:
	v_and_b32_e32 v64, -8, v65
	v_sub_u32_e32 v66, 0, v64
	s_mov_b64 s[8:9], 9
	s_movk_i32 s12, 0x48
	s_mov_b64 s[10:11], 0
.LBB77_169:                             ; =>This Inner Loop Header: Depth=1
	s_add_i32 s13, s8, -7
	v_mov_b32_e32 v64, s12
	s_add_i32 s14, s8, -6
	s_set_gpr_idx_on s13, gpr_idx(SRC0)
	v_mov_b32_e32 v75, v18
	s_set_gpr_idx_off
	ds_read2_b64 v[67:70], v64 offset1:1
	s_add_i32 s15, s8, -5
	s_set_gpr_idx_on s14, gpr_idx(SRC0)
	v_mov_b32_e32 v76, v18
	s_set_gpr_idx_off
	s_add_i32 s16, s8, -4
	s_set_gpr_idx_on s15, gpr_idx(SRC0)
	v_mov_b32_e32 v77, v18
	s_set_gpr_idx_off
	;; [unrolled: 4-line block ×4, first 2 shown]
	ds_read2_b64 v[71:74], v64 offset0:2 offset1:3
	s_add_i32 s19, s8, -1
	s_waitcnt lgkmcnt(1)
	v_fmac_f32_e32 v63, v75, v67
	s_set_gpr_idx_on s18, gpr_idx(SRC0)
	v_mov_b32_e32 v67, v18
	s_set_gpr_idx_off
	v_fmac_f32_e32 v63, v76, v68
	s_set_gpr_idx_on s19, gpr_idx(SRC0)
	v_mov_b32_e32 v68, v18
	s_set_gpr_idx_off
	;; [unrolled: 4-line block ×3, first 2 shown]
	v_fmac_f32_e32 v63, v78, v70
	s_add_u32 s8, s8, 8
	s_waitcnt lgkmcnt(0)
	v_fmac_f32_e32 v63, v79, v71
	v_add_u32_e32 v64, s8, v66
	v_fmac_f32_e32 v63, v67, v72
	s_addc_u32 s9, s9, 0
	s_add_i32 s12, s12, 32
	s_add_i32 s13, s8, -7
	v_cmp_eq_u32_e32 vcc, 9, v64
	v_fmac_f32_e32 v63, v68, v73
	v_mov_b32_e32 v64, s13
	s_or_b64 s[10:11], vcc, s[10:11]
	v_fmac_f32_e32 v63, v69, v74
	s_andn2_b64 exec, exec, s[10:11]
	s_cbranch_execnz .LBB77_169
; %bb.170:
	s_or_b64 exec, exec, s[10:11]
.LBB77_171:
	s_or_b64 exec, exec, s[0:1]
	v_and_b32_e32 v32, 7, v65
	v_cmp_ne_u32_e32 vcc, 0, v32
	s_and_saveexec_b64 s[8:9], vcc
	s_cbranch_execz .LBB77_175
; %bb.172:
	v_lshl_add_u32 v33, v64, 2, 64
	v_mov_b32_e32 v65, 0
	s_mov_b64 s[10:11], 0
.LBB77_173:                             ; =>This Inner Loop Header: Depth=1
	v_cmp_eq_u32_e32 vcc, 1, v64
	v_cndmask_b32_e32 v66, v18, v19, vcc
	v_add_u32_e32 v32, -1, v32
	v_cmp_eq_u32_e32 vcc, 2, v64
	v_cndmask_b32_e32 v66, v66, v20, vcc
	v_cmp_eq_u32_e32 vcc, 0, v32
	v_cmp_eq_u32_e64 s[0:1], 3, v64
	v_cndmask_b32_e64 v66, v66, v21, s[0:1]
	s_or_b64 s[10:11], vcc, s[10:11]
	v_cmp_eq_u32_e32 vcc, 4, v64
	v_cndmask_b32_e32 v66, v66, v22, vcc
	v_cmp_eq_u32_e32 vcc, 5, v64
	v_cndmask_b32_e32 v66, v66, v23, vcc
	;; [unrolled: 2-line block ×5, first 2 shown]
	v_cmp_eq_u32_e32 vcc, 9, v64
	ds_read_b32 v67, v33
	v_cndmask_b32_e32 v66, v66, v27, vcc
	v_cmp_eq_u32_e32 vcc, 10, v64
	v_cndmask_b32_e32 v66, v66, v28, vcc
	v_cmp_eq_u32_e32 vcc, 11, v64
	;; [unrolled: 2-line block ×4, first 2 shown]
	v_add_co_u32_e64 v64, s[0:1], 1, v64
	v_cndmask_b32_e32 v66, v66, v31, vcc
	v_add_u32_e32 v33, 4, v33
	v_addc_co_u32_e64 v65, s[0:1], 0, v65, s[0:1]
	s_waitcnt lgkmcnt(0)
	v_fmac_f32_e32 v63, v66, v67
	s_andn2_b64 exec, exec, s[10:11]
	s_cbranch_execnz .LBB77_173
; %bb.174:
	s_or_b64 exec, exec, s[10:11]
.LBB77_175:
	s_or_b64 exec, exec, s[8:9]
.LBB77_176:
	s_or_b64 exec, exec, s[6:7]
	v_mov_b32_e32 v19, 0
	ds_read_b32 v19, v19 offset:4
	s_waitcnt lgkmcnt(0)
	v_mul_f32_e32 v19, v63, v19
.LBB77_177:
	s_or_b64 exec, exec, s[4:5]
	v_cmp_ne_u32_e32 vcc, 0, v0
	ds_write_b32 v62, v18
	s_waitcnt lgkmcnt(0)
	; wave barrier
	s_and_saveexec_b64 s[4:5], vcc
	s_cbranch_execz .LBB77_193
; %bb.178:
	s_andn2_b64 vcc, exec, s[30:31]
	s_cbranch_vccnz .LBB77_180
; %bb.179:
	v_cmp_eq_u32_e32 vcc, 1, v0
	v_cndmask_b32_e32 v63, v18, v19, vcc
	v_cmp_eq_u32_e32 vcc, 2, v0
	v_cndmask_b32_e32 v63, v63, v20, vcc
	;; [unrolled: 2-line block ×9, first 2 shown]
	v_cmp_eq_u32_e32 vcc, 10, v0
	ds_read_b32 v64, v62
	v_cndmask_b32_e32 v63, v63, v28, vcc
	v_cmp_eq_u32_e32 vcc, 11, v0
	v_cndmask_b32_e32 v63, v63, v29, vcc
	v_cmp_eq_u32_e32 vcc, 12, v0
	;; [unrolled: 2-line block ×3, first 2 shown]
	v_cndmask_b32_e32 v63, v63, v31, vcc
	s_waitcnt lgkmcnt(0)
	v_mul_f32_e32 v63, v63, v64
	s_cbranch_execz .LBB77_181
	s_branch .LBB77_182
.LBB77_180:
                                        ; implicit-def: $vgpr63
.LBB77_181:
	ds_read_b32 v63, v62
.LBB77_182:
	s_and_saveexec_b64 s[6:7], s[2:3]
	s_cbranch_execz .LBB77_192
; %bb.183:
	v_add_u32_e32 v64, -2, v0
	v_add_u32_e32 v65, -1, v0
	v_cmp_lt_u32_e32 vcc, 6, v64
	v_mov_b32_e32 v64, 1
	s_and_saveexec_b64 s[0:1], vcc
	s_cbranch_execz .LBB77_187
; %bb.184:
	v_and_b32_e32 v64, -8, v65
	v_sub_u32_e32 v66, 0, v64
	s_mov_b64 s[2:3], 8
	s_movk_i32 s10, 0x44
	s_mov_b64 s[8:9], 0
.LBB77_185:                             ; =>This Inner Loop Header: Depth=1
	s_add_i32 s11, s2, -7
	v_mov_b32_e32 v64, s10
	s_add_i32 s12, s2, -6
	s_set_gpr_idx_on s11, gpr_idx(SRC0)
	v_mov_b32_e32 v73, v18
	s_set_gpr_idx_off
	ds_read2_b32 v[67:68], v64 offset1:1
	s_add_i32 s13, s2, -5
	s_set_gpr_idx_on s12, gpr_idx(SRC0)
	v_mov_b32_e32 v74, v18
	s_set_gpr_idx_off
	s_add_i32 s14, s2, -4
	s_set_gpr_idx_on s13, gpr_idx(SRC0)
	v_mov_b32_e32 v75, v18
	s_set_gpr_idx_off
	ds_read2_b32 v[69:70], v64 offset0:2 offset1:3
	s_add_i32 s15, s2, -3
	s_set_gpr_idx_on s14, gpr_idx(SRC0)
	v_mov_b32_e32 v76, v18
	s_set_gpr_idx_off
	s_add_i32 s16, s2, -2
	s_set_gpr_idx_on s15, gpr_idx(SRC0)
	v_mov_b32_e32 v77, v18
	s_set_gpr_idx_off
	ds_read2_b32 v[71:72], v64 offset0:4 offset1:5
	s_add_i32 s17, s2, -1
	s_waitcnt lgkmcnt(2)
	v_fmac_f32_e32 v63, v73, v67
	s_set_gpr_idx_on s16, gpr_idx(SRC0)
	v_mov_b32_e32 v73, v18
	s_set_gpr_idx_off
	v_fmac_f32_e32 v63, v74, v68
	s_set_gpr_idx_on s17, gpr_idx(SRC0)
	v_mov_b32_e32 v74, v18
	s_set_gpr_idx_off
	ds_read2_b32 v[67:68], v64 offset0:6 offset1:7
	s_waitcnt lgkmcnt(2)
	v_fmac_f32_e32 v63, v75, v69
	s_set_gpr_idx_on s2, gpr_idx(SRC0)
	v_mov_b32_e32 v69, v18
	s_set_gpr_idx_off
	v_fmac_f32_e32 v63, v76, v70
	s_add_u32 s2, s2, 8
	s_waitcnt lgkmcnt(1)
	v_fmac_f32_e32 v63, v77, v71
	v_add_u32_e32 v64, s2, v66
	v_fmac_f32_e32 v63, v73, v72
	s_addc_u32 s3, s3, 0
	s_add_i32 s10, s10, 32
	s_add_i32 s11, s2, -7
	v_cmp_eq_u32_e32 vcc, 8, v64
	s_waitcnt lgkmcnt(0)
	v_fmac_f32_e32 v63, v74, v67
	v_mov_b32_e32 v64, s11
	s_or_b64 s[8:9], vcc, s[8:9]
	v_fmac_f32_e32 v63, v69, v68
	s_andn2_b64 exec, exec, s[8:9]
	s_cbranch_execnz .LBB77_185
; %bb.186:
	s_or_b64 exec, exec, s[8:9]
.LBB77_187:
	s_or_b64 exec, exec, s[0:1]
	v_and_b32_e32 v32, 7, v65
	v_cmp_ne_u32_e32 vcc, 0, v32
	s_and_saveexec_b64 s[2:3], vcc
	s_cbranch_execz .LBB77_191
; %bb.188:
	v_lshl_add_u32 v33, v64, 2, 64
	v_mov_b32_e32 v65, 0
	s_mov_b64 s[8:9], 0
.LBB77_189:                             ; =>This Inner Loop Header: Depth=1
	v_cmp_eq_u32_e32 vcc, 1, v64
	v_cndmask_b32_e32 v66, v18, v19, vcc
	v_add_u32_e32 v32, -1, v32
	v_cmp_eq_u32_e32 vcc, 2, v64
	v_cndmask_b32_e32 v66, v66, v20, vcc
	v_cmp_eq_u32_e32 vcc, 0, v32
	v_cmp_eq_u32_e64 s[0:1], 3, v64
	v_cndmask_b32_e64 v66, v66, v21, s[0:1]
	s_or_b64 s[8:9], vcc, s[8:9]
	v_cmp_eq_u32_e32 vcc, 4, v64
	v_cndmask_b32_e32 v66, v66, v22, vcc
	v_cmp_eq_u32_e32 vcc, 5, v64
	v_cndmask_b32_e32 v66, v66, v23, vcc
	;; [unrolled: 2-line block ×5, first 2 shown]
	v_cmp_eq_u32_e32 vcc, 9, v64
	ds_read_b32 v67, v33
	v_cndmask_b32_e32 v66, v66, v27, vcc
	v_cmp_eq_u32_e32 vcc, 10, v64
	v_cndmask_b32_e32 v66, v66, v28, vcc
	v_cmp_eq_u32_e32 vcc, 11, v64
	;; [unrolled: 2-line block ×4, first 2 shown]
	v_add_co_u32_e64 v64, s[0:1], 1, v64
	v_cndmask_b32_e32 v66, v66, v31, vcc
	v_add_u32_e32 v33, 4, v33
	v_addc_co_u32_e64 v65, s[0:1], 0, v65, s[0:1]
	s_waitcnt lgkmcnt(0)
	v_fmac_f32_e32 v63, v66, v67
	s_andn2_b64 exec, exec, s[8:9]
	s_cbranch_execnz .LBB77_189
; %bb.190:
	s_or_b64 exec, exec, s[8:9]
.LBB77_191:
	s_or_b64 exec, exec, s[2:3]
.LBB77_192:
	s_or_b64 exec, exec, s[6:7]
	v_mov_b32_e32 v18, 0
	ds_read_b32 v18, v18
	s_waitcnt lgkmcnt(0)
	v_mul_f32_e32 v18, v63, v18
.LBB77_193:
	s_or_b64 exec, exec, s[4:5]
	s_branch .LBB77_327
.LBB77_194:
	v_cmp_eq_u32_e64 s[2:3], 0, v0
	s_waitcnt vmcnt(0) lgkmcnt(0)
	ds_write_b32 v62, v3
	s_waitcnt lgkmcnt(0)
	; wave barrier
	s_and_saveexec_b64 s[0:1], s[2:3]
	s_cbranch_execz .LBB77_200
; %bb.195:
	s_and_b64 vcc, exec, s[30:31]
	s_cbranch_vccz .LBB77_197
; %bb.196:
	v_cmp_eq_u32_e32 vcc, 1, v0
	v_cndmask_b32_e32 v3, v2, v3, vcc
	v_cmp_eq_u32_e32 vcc, 2, v0
	v_cndmask_b32_e32 v3, v3, v4, vcc
	;; [unrolled: 2-line block ×9, first 2 shown]
	v_cmp_eq_u32_e32 vcc, 10, v0
	ds_read_b32 v16, v62
	v_cndmask_b32_e32 v3, v3, v12, vcc
	v_cmp_eq_u32_e32 vcc, 11, v0
	v_cndmask_b32_e32 v3, v3, v13, vcc
	v_cmp_eq_u32_e32 vcc, 12, v0
	;; [unrolled: 2-line block ×3, first 2 shown]
	v_cndmask_b32_e32 v3, v3, v15, vcc
	s_waitcnt lgkmcnt(0)
	v_mul_f32_e32 v3, v3, v16
	s_cbranch_execz .LBB77_198
	s_branch .LBB77_199
.LBB77_197:
                                        ; implicit-def: $vgpr3
.LBB77_198:
	ds_read_b32 v3, v62
.LBB77_199:
	v_mov_b32_e32 v16, 0
	ds_read_b32 v16, v16 offset:4
	s_waitcnt lgkmcnt(0)
	v_mul_f32_e32 v3, v3, v16
.LBB77_200:
	s_or_b64 exec, exec, s[0:1]
	v_cndmask_b32_e64 v18, 0, 1, s[30:31]
	v_cmp_gt_u32_e32 vcc, 2, v0
	v_cmp_ne_u32_e64 s[0:1], 1, v18
	ds_write_b32 v62, v4
	s_waitcnt lgkmcnt(0)
	; wave barrier
	s_and_saveexec_b64 s[4:5], vcc
	s_cbranch_execz .LBB77_206
; %bb.201:
	s_and_b64 vcc, exec, s[0:1]
	s_cbranch_vccnz .LBB77_203
; %bb.202:
	v_cmp_eq_u32_e32 vcc, 1, v0
	v_cndmask_b32_e32 v16, v2, v3, vcc
	v_cmp_eq_u32_e32 vcc, 2, v0
	v_cndmask_b32_e32 v4, v16, v4, vcc
	;; [unrolled: 2-line block ×9, first 2 shown]
	v_cmp_eq_u32_e32 vcc, 10, v0
	ds_read_b32 v16, v62
	v_cndmask_b32_e32 v4, v4, v12, vcc
	v_cmp_eq_u32_e32 vcc, 11, v0
	v_cndmask_b32_e32 v4, v4, v13, vcc
	v_cmp_eq_u32_e32 vcc, 12, v0
	;; [unrolled: 2-line block ×3, first 2 shown]
	v_cndmask_b32_e32 v4, v4, v15, vcc
	s_waitcnt lgkmcnt(0)
	v_mul_f32_e32 v4, v4, v16
	s_cbranch_execz .LBB77_204
	s_branch .LBB77_205
.LBB77_203:
                                        ; implicit-def: $vgpr4
.LBB77_204:
	ds_read_b32 v4, v62
.LBB77_205:
	v_mov_b32_e32 v16, 0
	ds_read2_b32 v[16:17], v16 offset0:2 offset1:17
	s_waitcnt lgkmcnt(0)
	v_fma_f32 v17, v3, v17, v4
	v_cndmask_b32_e64 v4, v4, v17, s[2:3]
	v_mul_f32_e32 v4, v4, v16
.LBB77_206:
	s_or_b64 exec, exec, s[4:5]
	v_add_u32_e32 v18, 1, v0
	v_cmp_gt_u32_e64 s[4:5], 3, v0
	ds_write_b32 v62, v5
	s_waitcnt lgkmcnt(0)
	; wave barrier
	s_and_saveexec_b64 s[6:7], s[4:5]
	s_cbranch_execz .LBB77_214
; %bb.207:
	s_and_b64 vcc, exec, s[0:1]
	s_cbranch_vccnz .LBB77_209
; %bb.208:
	v_cmp_eq_u32_e32 vcc, 1, v0
	v_cndmask_b32_e32 v16, v2, v3, vcc
	v_cmp_eq_u32_e32 vcc, 2, v0
	v_cndmask_b32_e32 v16, v16, v4, vcc
	;; [unrolled: 2-line block ×9, first 2 shown]
	v_cmp_eq_u32_e32 vcc, 10, v0
	ds_read_b32 v17, v62
	v_cndmask_b32_e32 v16, v16, v12, vcc
	v_cmp_eq_u32_e32 vcc, 11, v0
	v_cndmask_b32_e32 v16, v16, v13, vcc
	v_cmp_eq_u32_e32 vcc, 12, v0
	v_cndmask_b32_e32 v16, v16, v14, vcc
	v_cmp_eq_u32_e32 vcc, 13, v0
	v_cndmask_b32_e32 v16, v16, v15, vcc
	s_waitcnt lgkmcnt(0)
	v_mul_f32_e32 v16, v16, v17
	s_cbranch_execz .LBB77_210
	s_branch .LBB77_211
.LBB77_209:
                                        ; implicit-def: $vgpr16
.LBB77_210:
	ds_read_b32 v16, v62
.LBB77_211:
	v_cmp_ne_u32_e32 vcc, 2, v0
	s_and_saveexec_b64 s[8:9], vcc
	s_cbranch_execz .LBB77_213
; %bb.212:
	v_cmp_eq_u32_e32 vcc, 1, v18
	v_cndmask_b32_e32 v17, v2, v3, vcc
	v_cmp_eq_u32_e32 vcc, 2, v18
	v_cndmask_b32_e32 v17, v17, v4, vcc
	v_cmp_eq_u32_e32 vcc, 3, v18
	v_cndmask_b32_e32 v5, v17, v5, vcc
	v_cmp_eq_u32_e32 vcc, 4, v18
	v_cndmask_b32_e32 v5, v5, v6, vcc
	v_cmp_eq_u32_e32 vcc, 5, v18
	v_cndmask_b32_e32 v5, v5, v7, vcc
	v_cmp_eq_u32_e32 vcc, 6, v18
	v_cndmask_b32_e32 v5, v5, v8, vcc
	v_cmp_eq_u32_e32 vcc, 7, v18
	v_cndmask_b32_e32 v5, v5, v9, vcc
	v_cmp_eq_u32_e32 vcc, 8, v18
	v_cndmask_b32_e32 v5, v5, v10, vcc
	v_cmp_eq_u32_e32 vcc, 9, v18
	v_cndmask_b32_e32 v5, v5, v11, vcc
	v_cmp_eq_u32_e32 vcc, 10, v18
	v_mov_b32_e32 v17, 0
	v_cndmask_b32_e32 v5, v5, v12, vcc
	v_cmp_eq_u32_e32 vcc, 11, v18
	ds_read_b32 v19, v62 offset:4
	ds_read_b32 v17, v17 offset:72
	v_cndmask_b32_e32 v5, v5, v13, vcc
	v_cmp_eq_u32_e32 vcc, 12, v18
	v_cndmask_b32_e32 v5, v5, v14, vcc
	v_cmp_eq_u32_e32 vcc, 13, v18
	v_cndmask_b32_e32 v5, v5, v15, vcc
	s_waitcnt lgkmcnt(1)
	v_fmac_f32_e32 v16, v5, v19
	s_waitcnt lgkmcnt(0)
	v_fma_f32 v5, v4, v17, v16
	v_cndmask_b32_e64 v16, v16, v5, s[2:3]
.LBB77_213:
	s_or_b64 exec, exec, s[8:9]
	v_mov_b32_e32 v5, 0
	ds_read_b32 v5, v5 offset:12
	s_waitcnt lgkmcnt(0)
	v_mul_f32_e32 v5, v16, v5
.LBB77_214:
	s_or_b64 exec, exec, s[6:7]
	v_cmp_gt_u32_e32 vcc, 4, v0
	ds_write_b32 v62, v6
	s_waitcnt lgkmcnt(0)
	; wave barrier
	s_and_saveexec_b64 s[8:9], vcc
	s_cbranch_execz .LBB77_224
; %bb.215:
	s_and_b64 vcc, exec, s[0:1]
	s_cbranch_vccnz .LBB77_217
; %bb.216:
	v_cmp_eq_u32_e32 vcc, 1, v0
	v_cndmask_b32_e32 v16, v2, v3, vcc
	v_cmp_eq_u32_e32 vcc, 2, v0
	v_cndmask_b32_e32 v16, v16, v4, vcc
	v_cmp_eq_u32_e32 vcc, 3, v0
	v_cndmask_b32_e32 v16, v16, v5, vcc
	v_cmp_eq_u32_e32 vcc, 4, v0
	v_cndmask_b32_e32 v16, v16, v6, vcc
	v_cmp_eq_u32_e32 vcc, 5, v0
	v_cndmask_b32_e32 v16, v16, v7, vcc
	v_cmp_eq_u32_e32 vcc, 6, v0
	v_cndmask_b32_e32 v16, v16, v8, vcc
	v_cmp_eq_u32_e32 vcc, 7, v0
	v_cndmask_b32_e32 v16, v16, v9, vcc
	v_cmp_eq_u32_e32 vcc, 8, v0
	v_cndmask_b32_e32 v16, v16, v10, vcc
	v_cmp_eq_u32_e32 vcc, 9, v0
	v_cndmask_b32_e32 v16, v16, v11, vcc
	v_cmp_eq_u32_e32 vcc, 10, v0
	ds_read_b32 v17, v62
	v_cndmask_b32_e32 v16, v16, v12, vcc
	v_cmp_eq_u32_e32 vcc, 11, v0
	v_cndmask_b32_e32 v16, v16, v13, vcc
	v_cmp_eq_u32_e32 vcc, 12, v0
	;; [unrolled: 2-line block ×3, first 2 shown]
	v_cndmask_b32_e32 v16, v16, v15, vcc
	s_waitcnt lgkmcnt(0)
	v_mul_f32_e32 v19, v16, v17
	s_cbranch_execz .LBB77_218
	s_branch .LBB77_219
.LBB77_217:
                                        ; implicit-def: $vgpr19
.LBB77_218:
	ds_read_b32 v19, v62
.LBB77_219:
	v_cmp_ne_u32_e32 vcc, 3, v0
	s_and_saveexec_b64 s[10:11], vcc
	s_cbranch_execz .LBB77_223
; %bb.220:
	v_mov_b32_e32 v16, 0x44
	v_lshl_add_u32 v20, v0, 2, v16
	v_mov_b32_e32 v17, v1
	s_mov_b64 s[12:13], 0
	v_mov_b32_e32 v16, v0
.LBB77_221:                             ; =>This Inner Loop Header: Depth=1
	v_add_co_u32_e32 v16, vcc, 1, v16
	v_addc_co_u32_e32 v17, vcc, 0, v17, vcc
	v_cmp_eq_u32_e32 vcc, 1, v16
	v_cndmask_b32_e32 v22, v2, v3, vcc
	v_cmp_lt_u32_e32 vcc, 2, v16
	v_cmp_eq_u32_e64 s[6:7], 2, v16
	v_cndmask_b32_e64 v22, v22, v4, s[6:7]
	s_or_b64 s[12:13], vcc, s[12:13]
	v_cmp_eq_u32_e32 vcc, 3, v16
	v_cndmask_b32_e32 v22, v22, v5, vcc
	v_cmp_eq_u32_e32 vcc, 4, v16
	v_cndmask_b32_e32 v22, v22, v6, vcc
	;; [unrolled: 2-line block ×6, first 2 shown]
	v_cmp_eq_u32_e32 vcc, 9, v16
	ds_read_b32 v21, v20
	v_cndmask_b32_e32 v22, v22, v11, vcc
	v_cmp_eq_u32_e32 vcc, 10, v16
	v_cndmask_b32_e32 v22, v22, v12, vcc
	v_cmp_eq_u32_e32 vcc, 11, v16
	;; [unrolled: 2-line block ×4, first 2 shown]
	v_cndmask_b32_e32 v22, v22, v15, vcc
	v_add_u32_e32 v20, 4, v20
	s_waitcnt lgkmcnt(0)
	v_fmac_f32_e32 v19, v22, v21
	s_andn2_b64 exec, exec, s[12:13]
	s_cbranch_execnz .LBB77_221
; %bb.222:
	s_or_b64 exec, exec, s[12:13]
.LBB77_223:
	s_or_b64 exec, exec, s[10:11]
	v_mov_b32_e32 v6, 0
	ds_read_b32 v6, v6 offset:16
	s_waitcnt lgkmcnt(0)
	v_mul_f32_e32 v6, v19, v6
.LBB77_224:
	s_or_b64 exec, exec, s[8:9]
	v_cmp_gt_u32_e64 s[6:7], 5, v0
	ds_write_b32 v62, v7
	s_waitcnt lgkmcnt(0)
	; wave barrier
	s_and_saveexec_b64 s[10:11], s[6:7]
	s_cbranch_execz .LBB77_234
; %bb.225:
	s_and_b64 vcc, exec, s[0:1]
	s_cbranch_vccnz .LBB77_227
; %bb.226:
	v_cmp_eq_u32_e32 vcc, 1, v0
	v_cndmask_b32_e32 v16, v2, v3, vcc
	v_cmp_eq_u32_e32 vcc, 2, v0
	v_cndmask_b32_e32 v16, v16, v4, vcc
	;; [unrolled: 2-line block ×9, first 2 shown]
	v_cmp_eq_u32_e32 vcc, 10, v0
	ds_read_b32 v17, v62
	v_cndmask_b32_e32 v16, v16, v12, vcc
	v_cmp_eq_u32_e32 vcc, 11, v0
	v_cndmask_b32_e32 v16, v16, v13, vcc
	v_cmp_eq_u32_e32 vcc, 12, v0
	;; [unrolled: 2-line block ×3, first 2 shown]
	v_cndmask_b32_e32 v16, v16, v15, vcc
	s_waitcnt lgkmcnt(0)
	v_mul_f32_e32 v19, v16, v17
	s_cbranch_execz .LBB77_228
	s_branch .LBB77_229
.LBB77_227:
                                        ; implicit-def: $vgpr19
.LBB77_228:
	ds_read_b32 v19, v62
.LBB77_229:
	v_cmp_ne_u32_e32 vcc, 4, v0
	s_and_saveexec_b64 s[12:13], vcc
	s_cbranch_execz .LBB77_233
; %bb.230:
	v_mov_b32_e32 v16, 0x44
	v_lshl_add_u32 v20, v0, 2, v16
	v_mov_b32_e32 v17, v1
	s_mov_b64 s[14:15], 0
	v_mov_b32_e32 v16, v0
.LBB77_231:                             ; =>This Inner Loop Header: Depth=1
	v_add_co_u32_e32 v16, vcc, 1, v16
	v_addc_co_u32_e32 v17, vcc, 0, v17, vcc
	v_cmp_eq_u32_e32 vcc, 1, v16
	v_cndmask_b32_e32 v22, v2, v3, vcc
	v_cmp_lt_u32_e32 vcc, 3, v16
	v_cmp_eq_u32_e64 s[8:9], 2, v16
	v_cndmask_b32_e64 v22, v22, v4, s[8:9]
	s_or_b64 s[14:15], vcc, s[14:15]
	v_cmp_eq_u32_e32 vcc, 3, v16
	v_cndmask_b32_e32 v22, v22, v5, vcc
	v_cmp_eq_u32_e32 vcc, 4, v16
	v_cndmask_b32_e32 v22, v22, v6, vcc
	;; [unrolled: 2-line block ×6, first 2 shown]
	v_cmp_eq_u32_e32 vcc, 9, v16
	ds_read_b32 v21, v20
	v_cndmask_b32_e32 v22, v22, v11, vcc
	v_cmp_eq_u32_e32 vcc, 10, v16
	v_cndmask_b32_e32 v22, v22, v12, vcc
	v_cmp_eq_u32_e32 vcc, 11, v16
	;; [unrolled: 2-line block ×4, first 2 shown]
	v_cndmask_b32_e32 v22, v22, v15, vcc
	v_add_u32_e32 v20, 4, v20
	s_waitcnt lgkmcnt(0)
	v_fmac_f32_e32 v19, v22, v21
	s_andn2_b64 exec, exec, s[14:15]
	s_cbranch_execnz .LBB77_231
; %bb.232:
	s_or_b64 exec, exec, s[14:15]
.LBB77_233:
	s_or_b64 exec, exec, s[12:13]
	v_mov_b32_e32 v7, 0
	ds_read_b32 v7, v7 offset:20
	s_waitcnt lgkmcnt(0)
	v_mul_f32_e32 v7, v19, v7
.LBB77_234:
	s_or_b64 exec, exec, s[10:11]
	v_cmp_gt_u32_e32 vcc, 6, v0
	ds_write_b32 v62, v8
	s_waitcnt lgkmcnt(0)
	; wave barrier
	s_and_saveexec_b64 s[10:11], vcc
	s_cbranch_execz .LBB77_244
; %bb.235:
	s_and_b64 vcc, exec, s[0:1]
	s_cbranch_vccnz .LBB77_237
; %bb.236:
	v_cmp_eq_u32_e32 vcc, 1, v0
	v_cndmask_b32_e32 v16, v2, v3, vcc
	v_cmp_eq_u32_e32 vcc, 2, v0
	v_cndmask_b32_e32 v16, v16, v4, vcc
	;; [unrolled: 2-line block ×9, first 2 shown]
	v_cmp_eq_u32_e32 vcc, 10, v0
	ds_read_b32 v17, v62
	v_cndmask_b32_e32 v16, v16, v12, vcc
	v_cmp_eq_u32_e32 vcc, 11, v0
	v_cndmask_b32_e32 v16, v16, v13, vcc
	v_cmp_eq_u32_e32 vcc, 12, v0
	;; [unrolled: 2-line block ×3, first 2 shown]
	v_cndmask_b32_e32 v16, v16, v15, vcc
	s_waitcnt lgkmcnt(0)
	v_mul_f32_e32 v19, v16, v17
	s_cbranch_execz .LBB77_238
	s_branch .LBB77_239
.LBB77_237:
                                        ; implicit-def: $vgpr19
.LBB77_238:
	ds_read_b32 v19, v62
.LBB77_239:
	v_cmp_ne_u32_e32 vcc, 5, v0
	s_and_saveexec_b64 s[12:13], vcc
	s_cbranch_execz .LBB77_243
; %bb.240:
	v_mov_b32_e32 v16, 0x44
	v_lshl_add_u32 v20, v0, 2, v16
	v_mov_b32_e32 v17, v1
	s_mov_b64 s[14:15], 0
	v_mov_b32_e32 v16, v0
.LBB77_241:                             ; =>This Inner Loop Header: Depth=1
	v_add_co_u32_e32 v16, vcc, 1, v16
	v_addc_co_u32_e32 v17, vcc, 0, v17, vcc
	v_cmp_eq_u32_e32 vcc, 1, v16
	v_cndmask_b32_e32 v22, v2, v3, vcc
	v_cmp_lt_u32_e32 vcc, 4, v16
	v_cmp_eq_u32_e64 s[8:9], 2, v16
	v_cndmask_b32_e64 v22, v22, v4, s[8:9]
	s_or_b64 s[14:15], vcc, s[14:15]
	v_cmp_eq_u32_e32 vcc, 3, v16
	v_cndmask_b32_e32 v22, v22, v5, vcc
	v_cmp_eq_u32_e32 vcc, 4, v16
	v_cndmask_b32_e32 v22, v22, v6, vcc
	;; [unrolled: 2-line block ×6, first 2 shown]
	v_cmp_eq_u32_e32 vcc, 9, v16
	ds_read_b32 v21, v20
	v_cndmask_b32_e32 v22, v22, v11, vcc
	v_cmp_eq_u32_e32 vcc, 10, v16
	v_cndmask_b32_e32 v22, v22, v12, vcc
	v_cmp_eq_u32_e32 vcc, 11, v16
	;; [unrolled: 2-line block ×4, first 2 shown]
	v_cndmask_b32_e32 v22, v22, v15, vcc
	v_add_u32_e32 v20, 4, v20
	s_waitcnt lgkmcnt(0)
	v_fmac_f32_e32 v19, v22, v21
	s_andn2_b64 exec, exec, s[14:15]
	s_cbranch_execnz .LBB77_241
; %bb.242:
	s_or_b64 exec, exec, s[14:15]
.LBB77_243:
	s_or_b64 exec, exec, s[12:13]
	v_mov_b32_e32 v8, 0
	ds_read_b32 v8, v8 offset:24
	s_waitcnt lgkmcnt(0)
	v_mul_f32_e32 v8, v19, v8
.LBB77_244:
	s_or_b64 exec, exec, s[10:11]
	v_cmp_gt_u32_e64 s[8:9], 7, v0
	ds_write_b32 v62, v9
	s_waitcnt lgkmcnt(0)
	; wave barrier
	s_and_saveexec_b64 s[12:13], s[8:9]
	s_cbranch_execz .LBB77_254
; %bb.245:
	s_and_b64 vcc, exec, s[0:1]
	s_cbranch_vccnz .LBB77_247
; %bb.246:
	v_cmp_eq_u32_e32 vcc, 1, v0
	v_cndmask_b32_e32 v16, v2, v3, vcc
	v_cmp_eq_u32_e32 vcc, 2, v0
	v_cndmask_b32_e32 v16, v16, v4, vcc
	;; [unrolled: 2-line block ×9, first 2 shown]
	v_cmp_eq_u32_e32 vcc, 10, v0
	ds_read_b32 v17, v62
	v_cndmask_b32_e32 v16, v16, v12, vcc
	v_cmp_eq_u32_e32 vcc, 11, v0
	v_cndmask_b32_e32 v16, v16, v13, vcc
	v_cmp_eq_u32_e32 vcc, 12, v0
	;; [unrolled: 2-line block ×3, first 2 shown]
	v_cndmask_b32_e32 v16, v16, v15, vcc
	s_waitcnt lgkmcnt(0)
	v_mul_f32_e32 v19, v16, v17
	s_cbranch_execz .LBB77_248
	s_branch .LBB77_249
.LBB77_247:
                                        ; implicit-def: $vgpr19
.LBB77_248:
	ds_read_b32 v19, v62
.LBB77_249:
	v_cmp_ne_u32_e32 vcc, 6, v0
	s_and_saveexec_b64 s[14:15], vcc
	s_cbranch_execz .LBB77_253
; %bb.250:
	v_mov_b32_e32 v16, 0x44
	v_lshl_add_u32 v20, v0, 2, v16
	v_mov_b32_e32 v17, v1
	s_mov_b64 s[16:17], 0
	v_mov_b32_e32 v16, v0
.LBB77_251:                             ; =>This Inner Loop Header: Depth=1
	v_add_co_u32_e32 v16, vcc, 1, v16
	v_addc_co_u32_e32 v17, vcc, 0, v17, vcc
	v_cmp_eq_u32_e32 vcc, 1, v16
	v_cndmask_b32_e32 v22, v2, v3, vcc
	v_cmp_lt_u32_e32 vcc, 5, v16
	v_cmp_eq_u32_e64 s[10:11], 2, v16
	v_cndmask_b32_e64 v22, v22, v4, s[10:11]
	s_or_b64 s[16:17], vcc, s[16:17]
	v_cmp_eq_u32_e32 vcc, 3, v16
	v_cndmask_b32_e32 v22, v22, v5, vcc
	v_cmp_eq_u32_e32 vcc, 4, v16
	v_cndmask_b32_e32 v22, v22, v6, vcc
	;; [unrolled: 2-line block ×6, first 2 shown]
	v_cmp_eq_u32_e32 vcc, 9, v16
	ds_read_b32 v21, v20
	v_cndmask_b32_e32 v22, v22, v11, vcc
	v_cmp_eq_u32_e32 vcc, 10, v16
	v_cndmask_b32_e32 v22, v22, v12, vcc
	v_cmp_eq_u32_e32 vcc, 11, v16
	v_cndmask_b32_e32 v22, v22, v13, vcc
	v_cmp_eq_u32_e32 vcc, 12, v16
	v_cndmask_b32_e32 v22, v22, v14, vcc
	v_cmp_eq_u32_e32 vcc, 13, v16
	v_cndmask_b32_e32 v22, v22, v15, vcc
	v_add_u32_e32 v20, 4, v20
	s_waitcnt lgkmcnt(0)
	v_fmac_f32_e32 v19, v22, v21
	s_andn2_b64 exec, exec, s[16:17]
	s_cbranch_execnz .LBB77_251
; %bb.252:
	s_or_b64 exec, exec, s[16:17]
.LBB77_253:
	s_or_b64 exec, exec, s[14:15]
	v_mov_b32_e32 v9, 0
	ds_read_b32 v9, v9 offset:28
	s_waitcnt lgkmcnt(0)
	v_mul_f32_e32 v9, v19, v9
.LBB77_254:
	s_or_b64 exec, exec, s[12:13]
	v_cmp_gt_u32_e32 vcc, 8, v0
	ds_write_b32 v62, v10
	s_waitcnt lgkmcnt(0)
	; wave barrier
	s_and_saveexec_b64 s[12:13], vcc
	s_cbranch_execz .LBB77_264
; %bb.255:
	s_and_b64 vcc, exec, s[0:1]
	s_cbranch_vccnz .LBB77_257
; %bb.256:
	v_cmp_eq_u32_e32 vcc, 1, v0
	v_cndmask_b32_e32 v16, v2, v3, vcc
	v_cmp_eq_u32_e32 vcc, 2, v0
	v_cndmask_b32_e32 v16, v16, v4, vcc
	;; [unrolled: 2-line block ×9, first 2 shown]
	v_cmp_eq_u32_e32 vcc, 10, v0
	ds_read_b32 v17, v62
	v_cndmask_b32_e32 v16, v16, v12, vcc
	v_cmp_eq_u32_e32 vcc, 11, v0
	v_cndmask_b32_e32 v16, v16, v13, vcc
	v_cmp_eq_u32_e32 vcc, 12, v0
	;; [unrolled: 2-line block ×3, first 2 shown]
	v_cndmask_b32_e32 v16, v16, v15, vcc
	s_waitcnt lgkmcnt(0)
	v_mul_f32_e32 v19, v16, v17
	s_cbranch_execz .LBB77_258
	s_branch .LBB77_259
.LBB77_257:
                                        ; implicit-def: $vgpr19
.LBB77_258:
	ds_read_b32 v19, v62
.LBB77_259:
	v_cmp_ne_u32_e32 vcc, 7, v0
	s_and_saveexec_b64 s[14:15], vcc
	s_cbranch_execz .LBB77_263
; %bb.260:
	v_mov_b32_e32 v16, 0x44
	v_lshl_add_u32 v20, v0, 2, v16
	v_mov_b32_e32 v17, v1
	s_mov_b64 s[16:17], 0
	v_mov_b32_e32 v16, v0
.LBB77_261:                             ; =>This Inner Loop Header: Depth=1
	v_add_co_u32_e32 v16, vcc, 1, v16
	v_addc_co_u32_e32 v17, vcc, 0, v17, vcc
	v_cmp_eq_u32_e32 vcc, 1, v16
	v_cndmask_b32_e32 v22, v2, v3, vcc
	v_cmp_lt_u32_e32 vcc, 6, v16
	v_cmp_eq_u32_e64 s[10:11], 2, v16
	v_cndmask_b32_e64 v22, v22, v4, s[10:11]
	s_or_b64 s[16:17], vcc, s[16:17]
	v_cmp_eq_u32_e32 vcc, 3, v16
	v_cndmask_b32_e32 v22, v22, v5, vcc
	v_cmp_eq_u32_e32 vcc, 4, v16
	v_cndmask_b32_e32 v22, v22, v6, vcc
	;; [unrolled: 2-line block ×6, first 2 shown]
	v_cmp_eq_u32_e32 vcc, 9, v16
	ds_read_b32 v21, v20
	v_cndmask_b32_e32 v22, v22, v11, vcc
	v_cmp_eq_u32_e32 vcc, 10, v16
	v_cndmask_b32_e32 v22, v22, v12, vcc
	v_cmp_eq_u32_e32 vcc, 11, v16
	;; [unrolled: 2-line block ×4, first 2 shown]
	v_cndmask_b32_e32 v22, v22, v15, vcc
	v_add_u32_e32 v20, 4, v20
	s_waitcnt lgkmcnt(0)
	v_fmac_f32_e32 v19, v22, v21
	s_andn2_b64 exec, exec, s[16:17]
	s_cbranch_execnz .LBB77_261
; %bb.262:
	s_or_b64 exec, exec, s[16:17]
.LBB77_263:
	s_or_b64 exec, exec, s[14:15]
	v_mov_b32_e32 v10, 0
	ds_read_b32 v10, v10 offset:32
	s_waitcnt lgkmcnt(0)
	v_mul_f32_e32 v10, v19, v10
.LBB77_264:
	s_or_b64 exec, exec, s[12:13]
	v_cmp_gt_u32_e32 vcc, 9, v0
	ds_write_b32 v62, v11
	s_waitcnt lgkmcnt(0)
	; wave barrier
	s_and_saveexec_b64 s[10:11], vcc
	s_cbranch_execz .LBB77_286
; %bb.265:
	s_and_b64 vcc, exec, s[0:1]
	s_cbranch_vccnz .LBB77_267
; %bb.266:
	v_cmp_eq_u32_e32 vcc, 1, v0
	v_cndmask_b32_e32 v16, v2, v3, vcc
	v_cmp_eq_u32_e32 vcc, 2, v0
	v_cndmask_b32_e32 v16, v16, v4, vcc
	;; [unrolled: 2-line block ×9, first 2 shown]
	v_cmp_eq_u32_e32 vcc, 10, v0
	ds_read_b32 v17, v62
	v_cndmask_b32_e32 v16, v16, v12, vcc
	v_cmp_eq_u32_e32 vcc, 11, v0
	v_cndmask_b32_e32 v16, v16, v13, vcc
	v_cmp_eq_u32_e32 vcc, 12, v0
	;; [unrolled: 2-line block ×3, first 2 shown]
	v_cndmask_b32_e32 v16, v16, v15, vcc
	s_waitcnt lgkmcnt(0)
	v_mul_f32_e32 v16, v16, v17
	s_cbranch_execz .LBB77_268
	s_branch .LBB77_269
.LBB77_267:
                                        ; implicit-def: $vgpr16
.LBB77_268:
	ds_read_b32 v16, v62
.LBB77_269:
	v_cmp_ne_u32_e32 vcc, 8, v0
	s_and_saveexec_b64 s[12:13], vcc
	s_cbranch_execz .LBB77_285
; %bb.270:
	v_cmp_eq_u32_e32 vcc, 1, v18
	v_cndmask_b32_e32 v17, v2, v3, vcc
	v_cmp_eq_u32_e32 vcc, 2, v18
	v_cndmask_b32_e32 v17, v17, v4, vcc
	;; [unrolled: 2-line block ×9, first 2 shown]
	v_cmp_eq_u32_e32 vcc, 10, v18
	ds_read_b32 v19, v62 offset:4
	v_cndmask_b32_e32 v17, v17, v12, vcc
	v_cmp_eq_u32_e32 vcc, 11, v18
	v_cndmask_b32_e32 v17, v17, v13, vcc
	v_cmp_eq_u32_e32 vcc, 12, v18
	;; [unrolled: 2-line block ×3, first 2 shown]
	v_cndmask_b32_e32 v17, v17, v15, vcc
	s_waitcnt lgkmcnt(0)
	v_fmac_f32_e32 v16, v17, v19
	s_and_saveexec_b64 s[14:15], s[8:9]
	s_cbranch_execz .LBB77_284
; %bb.271:
	v_add_u32_e32 v17, 2, v0
	v_cmp_eq_u32_e32 vcc, 1, v17
	v_cndmask_b32_e32 v18, v2, v3, vcc
	v_cmp_eq_u32_e32 vcc, 2, v17
	v_cndmask_b32_e32 v18, v18, v4, vcc
	;; [unrolled: 2-line block ×9, first 2 shown]
	v_cmp_eq_u32_e32 vcc, 10, v17
	ds_read_b32 v19, v62 offset:8
	v_cndmask_b32_e32 v18, v18, v12, vcc
	v_cmp_eq_u32_e32 vcc, 11, v17
	v_cndmask_b32_e32 v18, v18, v13, vcc
	v_cmp_eq_u32_e32 vcc, 12, v17
	;; [unrolled: 2-line block ×3, first 2 shown]
	v_cndmask_b32_e32 v17, v18, v15, vcc
	s_waitcnt lgkmcnt(0)
	v_fmac_f32_e32 v16, v17, v19
	v_cmp_ne_u32_e32 vcc, 6, v0
	s_and_saveexec_b64 s[8:9], vcc
	s_cbranch_execz .LBB77_283
; %bb.272:
	v_add_u32_e32 v17, 3, v0
	v_cmp_eq_u32_e32 vcc, 1, v17
	v_cndmask_b32_e32 v18, v2, v3, vcc
	v_cmp_eq_u32_e32 vcc, 2, v17
	v_cndmask_b32_e32 v18, v18, v4, vcc
	;; [unrolled: 2-line block ×9, first 2 shown]
	v_cmp_eq_u32_e32 vcc, 10, v17
	ds_read_b32 v19, v62 offset:12
	v_cndmask_b32_e32 v18, v18, v12, vcc
	v_cmp_eq_u32_e32 vcc, 11, v17
	v_cndmask_b32_e32 v18, v18, v13, vcc
	v_cmp_eq_u32_e32 vcc, 12, v17
	;; [unrolled: 2-line block ×3, first 2 shown]
	v_cndmask_b32_e32 v17, v18, v15, vcc
	s_waitcnt lgkmcnt(0)
	v_fmac_f32_e32 v16, v17, v19
	s_and_saveexec_b64 s[16:17], s[6:7]
	s_cbranch_execz .LBB77_282
; %bb.273:
	v_add_u32_e32 v17, 4, v0
	v_cmp_eq_u32_e32 vcc, 1, v17
	v_cndmask_b32_e32 v18, v2, v3, vcc
	v_cmp_eq_u32_e32 vcc, 2, v17
	v_cndmask_b32_e32 v18, v18, v4, vcc
	;; [unrolled: 2-line block ×9, first 2 shown]
	v_cmp_eq_u32_e32 vcc, 10, v17
	ds_read_b32 v19, v62 offset:16
	v_cndmask_b32_e32 v18, v18, v12, vcc
	v_cmp_eq_u32_e32 vcc, 11, v17
	v_cndmask_b32_e32 v18, v18, v13, vcc
	v_cmp_eq_u32_e32 vcc, 12, v17
	;; [unrolled: 2-line block ×3, first 2 shown]
	v_cndmask_b32_e32 v17, v18, v15, vcc
	s_waitcnt lgkmcnt(0)
	v_fmac_f32_e32 v16, v17, v19
	v_cmp_ne_u32_e32 vcc, 4, v0
	s_and_saveexec_b64 s[6:7], vcc
	s_cbranch_execz .LBB77_281
; %bb.274:
	v_add_u32_e32 v17, 5, v0
	v_cmp_eq_u32_e32 vcc, 1, v17
	v_cndmask_b32_e32 v18, v2, v3, vcc
	v_cmp_eq_u32_e32 vcc, 2, v17
	v_cndmask_b32_e32 v18, v18, v4, vcc
	;; [unrolled: 2-line block ×9, first 2 shown]
	v_cmp_eq_u32_e32 vcc, 10, v17
	ds_read_b32 v19, v62 offset:20
	v_cndmask_b32_e32 v18, v18, v12, vcc
	v_cmp_eq_u32_e32 vcc, 11, v17
	v_cndmask_b32_e32 v18, v18, v13, vcc
	v_cmp_eq_u32_e32 vcc, 12, v17
	;; [unrolled: 2-line block ×3, first 2 shown]
	v_cndmask_b32_e32 v17, v18, v15, vcc
	s_waitcnt lgkmcnt(0)
	v_fmac_f32_e32 v16, v17, v19
	s_and_saveexec_b64 s[18:19], s[4:5]
	s_cbranch_execz .LBB77_280
; %bb.275:
	v_add_u32_e32 v17, 6, v0
	v_cmp_eq_u32_e32 vcc, 1, v17
	v_cndmask_b32_e32 v18, v2, v3, vcc
	v_cmp_eq_u32_e32 vcc, 2, v17
	v_cndmask_b32_e32 v18, v18, v4, vcc
	;; [unrolled: 2-line block ×9, first 2 shown]
	v_cmp_eq_u32_e32 vcc, 10, v17
	ds_read_b32 v19, v62 offset:24
	v_cndmask_b32_e32 v18, v18, v12, vcc
	v_cmp_eq_u32_e32 vcc, 11, v17
	v_cndmask_b32_e32 v18, v18, v13, vcc
	v_cmp_eq_u32_e32 vcc, 12, v17
	;; [unrolled: 2-line block ×3, first 2 shown]
	v_cndmask_b32_e32 v17, v18, v15, vcc
	s_waitcnt lgkmcnt(0)
	v_fmac_f32_e32 v16, v17, v19
	v_cmp_ne_u32_e32 vcc, 2, v0
	s_and_saveexec_b64 s[4:5], vcc
	s_cbranch_execz .LBB77_279
; %bb.276:
	v_add_u32_e32 v17, 7, v0
	v_cmp_eq_u32_e32 vcc, 1, v17
	v_cndmask_b32_e32 v18, v2, v3, vcc
	v_cmp_eq_u32_e32 vcc, 2, v17
	v_cndmask_b32_e32 v18, v18, v4, vcc
	;; [unrolled: 2-line block ×9, first 2 shown]
	v_cmp_eq_u32_e32 vcc, 10, v17
	ds_read_b32 v18, v62 offset:28
	v_cndmask_b32_e32 v11, v11, v12, vcc
	v_cmp_eq_u32_e32 vcc, 11, v17
	v_cndmask_b32_e32 v11, v11, v13, vcc
	v_cmp_eq_u32_e32 vcc, 12, v17
	;; [unrolled: 2-line block ×3, first 2 shown]
	v_cndmask_b32_e32 v11, v11, v15, vcc
	s_waitcnt lgkmcnt(0)
	v_fmac_f32_e32 v16, v11, v18
	s_and_saveexec_b64 s[20:21], s[2:3]
	s_cbranch_execz .LBB77_278
; %bb.277:
	ds_read_b32 v11, v62 offset:32
	s_waitcnt lgkmcnt(0)
	v_fmac_f32_e32 v16, v10, v11
.LBB77_278:
	s_or_b64 exec, exec, s[20:21]
.LBB77_279:
	s_or_b64 exec, exec, s[4:5]
.LBB77_280:
	s_or_b64 exec, exec, s[18:19]
.LBB77_281:
	s_or_b64 exec, exec, s[6:7]
.LBB77_282:
	s_or_b64 exec, exec, s[16:17]
.LBB77_283:
	s_or_b64 exec, exec, s[8:9]
.LBB77_284:
	s_or_b64 exec, exec, s[14:15]
.LBB77_285:
	s_or_b64 exec, exec, s[12:13]
	v_mov_b32_e32 v11, 0
	ds_read_b32 v11, v11 offset:36
	s_waitcnt lgkmcnt(0)
	v_mul_f32_e32 v11, v16, v11
.LBB77_286:
	s_or_b64 exec, exec, s[10:11]
	v_cmp_gt_u32_e32 vcc, 10, v0
	ds_write_b32 v62, v12
	s_waitcnt lgkmcnt(0)
	; wave barrier
	s_and_saveexec_b64 s[4:5], vcc
	s_cbranch_execz .LBB77_296
; %bb.287:
	s_and_b64 vcc, exec, s[0:1]
	s_cbranch_vccnz .LBB77_289
; %bb.288:
	v_cmp_eq_u32_e32 vcc, 1, v0
	v_cndmask_b32_e32 v16, v2, v3, vcc
	v_cmp_eq_u32_e32 vcc, 2, v0
	v_cndmask_b32_e32 v16, v16, v4, vcc
	;; [unrolled: 2-line block ×9, first 2 shown]
	v_cmp_eq_u32_e32 vcc, 10, v0
	ds_read_b32 v17, v62
	v_cndmask_b32_e32 v16, v16, v12, vcc
	v_cmp_eq_u32_e32 vcc, 11, v0
	v_cndmask_b32_e32 v16, v16, v13, vcc
	v_cmp_eq_u32_e32 vcc, 12, v0
	;; [unrolled: 2-line block ×3, first 2 shown]
	v_cndmask_b32_e32 v16, v16, v15, vcc
	s_waitcnt lgkmcnt(0)
	v_mul_f32_e32 v18, v16, v17
	s_cbranch_execz .LBB77_290
	s_branch .LBB77_291
.LBB77_289:
                                        ; implicit-def: $vgpr18
.LBB77_290:
	ds_read_b32 v18, v62
.LBB77_291:
	v_cmp_ne_u32_e32 vcc, 9, v0
	s_and_saveexec_b64 s[6:7], vcc
	s_cbranch_execz .LBB77_295
; %bb.292:
	v_mov_b32_e32 v16, 0x44
	v_lshl_add_u32 v19, v0, 2, v16
	v_mov_b32_e32 v17, v1
	s_mov_b64 s[8:9], 0
	v_mov_b32_e32 v16, v0
.LBB77_293:                             ; =>This Inner Loop Header: Depth=1
	v_add_co_u32_e32 v16, vcc, 1, v16
	v_addc_co_u32_e32 v17, vcc, 0, v17, vcc
	v_cmp_eq_u32_e32 vcc, 1, v16
	v_cndmask_b32_e32 v21, v2, v3, vcc
	v_cmp_lt_u32_e32 vcc, 8, v16
	v_cmp_eq_u32_e64 s[2:3], 2, v16
	v_cndmask_b32_e64 v21, v21, v4, s[2:3]
	s_or_b64 s[8:9], vcc, s[8:9]
	v_cmp_eq_u32_e32 vcc, 3, v16
	v_cndmask_b32_e32 v21, v21, v5, vcc
	v_cmp_eq_u32_e32 vcc, 4, v16
	v_cndmask_b32_e32 v21, v21, v6, vcc
	;; [unrolled: 2-line block ×6, first 2 shown]
	v_cmp_eq_u32_e32 vcc, 9, v16
	ds_read_b32 v20, v19
	v_cndmask_b32_e32 v21, v21, v11, vcc
	v_cmp_eq_u32_e32 vcc, 10, v16
	v_cndmask_b32_e32 v21, v21, v12, vcc
	v_cmp_eq_u32_e32 vcc, 11, v16
	;; [unrolled: 2-line block ×4, first 2 shown]
	v_cndmask_b32_e32 v21, v21, v15, vcc
	v_add_u32_e32 v19, 4, v19
	s_waitcnt lgkmcnt(0)
	v_fmac_f32_e32 v18, v21, v20
	s_andn2_b64 exec, exec, s[8:9]
	s_cbranch_execnz .LBB77_293
; %bb.294:
	s_or_b64 exec, exec, s[8:9]
.LBB77_295:
	s_or_b64 exec, exec, s[6:7]
	v_mov_b32_e32 v12, 0
	ds_read_b32 v12, v12 offset:40
	s_waitcnt lgkmcnt(0)
	v_mul_f32_e32 v12, v18, v12
.LBB77_296:
	s_or_b64 exec, exec, s[4:5]
	v_cmp_gt_u32_e32 vcc, 11, v0
	ds_write_b32 v62, v13
	s_waitcnt lgkmcnt(0)
	; wave barrier
	s_and_saveexec_b64 s[4:5], vcc
	s_cbranch_execz .LBB77_306
; %bb.297:
	s_and_b64 vcc, exec, s[0:1]
	s_cbranch_vccnz .LBB77_299
; %bb.298:
	v_cmp_eq_u32_e32 vcc, 1, v0
	v_cndmask_b32_e32 v16, v2, v3, vcc
	v_cmp_eq_u32_e32 vcc, 2, v0
	v_cndmask_b32_e32 v16, v16, v4, vcc
	v_cmp_eq_u32_e32 vcc, 3, v0
	v_cndmask_b32_e32 v16, v16, v5, vcc
	v_cmp_eq_u32_e32 vcc, 4, v0
	v_cndmask_b32_e32 v16, v16, v6, vcc
	v_cmp_eq_u32_e32 vcc, 5, v0
	v_cndmask_b32_e32 v16, v16, v7, vcc
	v_cmp_eq_u32_e32 vcc, 6, v0
	v_cndmask_b32_e32 v16, v16, v8, vcc
	v_cmp_eq_u32_e32 vcc, 7, v0
	v_cndmask_b32_e32 v16, v16, v9, vcc
	v_cmp_eq_u32_e32 vcc, 8, v0
	v_cndmask_b32_e32 v16, v16, v10, vcc
	v_cmp_eq_u32_e32 vcc, 9, v0
	v_cndmask_b32_e32 v16, v16, v11, vcc
	v_cmp_eq_u32_e32 vcc, 10, v0
	ds_read_b32 v17, v62
	v_cndmask_b32_e32 v16, v16, v12, vcc
	v_cmp_eq_u32_e32 vcc, 11, v0
	v_cndmask_b32_e32 v16, v16, v13, vcc
	v_cmp_eq_u32_e32 vcc, 12, v0
	;; [unrolled: 2-line block ×3, first 2 shown]
	v_cndmask_b32_e32 v16, v16, v15, vcc
	s_waitcnt lgkmcnt(0)
	v_mul_f32_e32 v18, v16, v17
	s_cbranch_execz .LBB77_300
	s_branch .LBB77_301
.LBB77_299:
                                        ; implicit-def: $vgpr18
.LBB77_300:
	ds_read_b32 v18, v62
.LBB77_301:
	v_cmp_ne_u32_e32 vcc, 10, v0
	s_and_saveexec_b64 s[6:7], vcc
	s_cbranch_execz .LBB77_305
; %bb.302:
	v_mov_b32_e32 v16, 0x44
	v_lshl_add_u32 v19, v0, 2, v16
	v_mov_b32_e32 v17, v1
	s_mov_b64 s[8:9], 0
	v_mov_b32_e32 v16, v0
.LBB77_303:                             ; =>This Inner Loop Header: Depth=1
	v_add_co_u32_e32 v16, vcc, 1, v16
	v_addc_co_u32_e32 v17, vcc, 0, v17, vcc
	v_cmp_eq_u32_e32 vcc, 1, v16
	v_cndmask_b32_e32 v21, v2, v3, vcc
	v_cmp_lt_u32_e32 vcc, 9, v16
	v_cmp_eq_u32_e64 s[2:3], 2, v16
	v_cndmask_b32_e64 v21, v21, v4, s[2:3]
	s_or_b64 s[8:9], vcc, s[8:9]
	v_cmp_eq_u32_e32 vcc, 3, v16
	v_cndmask_b32_e32 v21, v21, v5, vcc
	v_cmp_eq_u32_e32 vcc, 4, v16
	v_cndmask_b32_e32 v21, v21, v6, vcc
	;; [unrolled: 2-line block ×6, first 2 shown]
	v_cmp_eq_u32_e32 vcc, 9, v16
	ds_read_b32 v20, v19
	v_cndmask_b32_e32 v21, v21, v11, vcc
	v_cmp_eq_u32_e32 vcc, 10, v16
	v_cndmask_b32_e32 v21, v21, v12, vcc
	v_cmp_eq_u32_e32 vcc, 11, v16
	;; [unrolled: 2-line block ×4, first 2 shown]
	v_cndmask_b32_e32 v21, v21, v15, vcc
	v_add_u32_e32 v19, 4, v19
	s_waitcnt lgkmcnt(0)
	v_fmac_f32_e32 v18, v21, v20
	s_andn2_b64 exec, exec, s[8:9]
	s_cbranch_execnz .LBB77_303
; %bb.304:
	s_or_b64 exec, exec, s[8:9]
.LBB77_305:
	s_or_b64 exec, exec, s[6:7]
	v_mov_b32_e32 v13, 0
	ds_read_b32 v13, v13 offset:44
	s_waitcnt lgkmcnt(0)
	v_mul_f32_e32 v13, v18, v13
.LBB77_306:
	s_or_b64 exec, exec, s[4:5]
	v_cmp_gt_u32_e64 s[2:3], 12, v0
	ds_write_b32 v62, v14
	s_waitcnt lgkmcnt(0)
	; wave barrier
	s_and_saveexec_b64 s[6:7], s[2:3]
	s_cbranch_execz .LBB77_316
; %bb.307:
	s_and_b64 vcc, exec, s[0:1]
	s_cbranch_vccnz .LBB77_309
; %bb.308:
	v_cmp_eq_u32_e32 vcc, 1, v0
	v_cndmask_b32_e32 v16, v2, v3, vcc
	v_cmp_eq_u32_e32 vcc, 2, v0
	v_cndmask_b32_e32 v16, v16, v4, vcc
	;; [unrolled: 2-line block ×9, first 2 shown]
	v_cmp_eq_u32_e32 vcc, 10, v0
	ds_read_b32 v17, v62
	v_cndmask_b32_e32 v16, v16, v12, vcc
	v_cmp_eq_u32_e32 vcc, 11, v0
	v_cndmask_b32_e32 v16, v16, v13, vcc
	v_cmp_eq_u32_e32 vcc, 12, v0
	;; [unrolled: 2-line block ×3, first 2 shown]
	v_cndmask_b32_e32 v16, v16, v15, vcc
	s_waitcnt lgkmcnt(0)
	v_mul_f32_e32 v18, v16, v17
	s_cbranch_execz .LBB77_310
	s_branch .LBB77_311
.LBB77_309:
                                        ; implicit-def: $vgpr18
.LBB77_310:
	ds_read_b32 v18, v62
.LBB77_311:
	v_cmp_ne_u32_e32 vcc, 11, v0
	s_and_saveexec_b64 s[8:9], vcc
	s_cbranch_execz .LBB77_315
; %bb.312:
	v_mov_b32_e32 v16, 0x44
	v_lshl_add_u32 v19, v0, 2, v16
	v_mov_b32_e32 v17, v1
	s_mov_b64 s[10:11], 0
	v_mov_b32_e32 v16, v0
.LBB77_313:                             ; =>This Inner Loop Header: Depth=1
	v_add_co_u32_e32 v16, vcc, 1, v16
	v_addc_co_u32_e32 v17, vcc, 0, v17, vcc
	v_cmp_eq_u32_e32 vcc, 1, v16
	v_cndmask_b32_e32 v21, v2, v3, vcc
	v_cmp_lt_u32_e32 vcc, 10, v16
	v_cmp_eq_u32_e64 s[4:5], 2, v16
	v_cndmask_b32_e64 v21, v21, v4, s[4:5]
	s_or_b64 s[10:11], vcc, s[10:11]
	v_cmp_eq_u32_e32 vcc, 3, v16
	v_cndmask_b32_e32 v21, v21, v5, vcc
	v_cmp_eq_u32_e32 vcc, 4, v16
	v_cndmask_b32_e32 v21, v21, v6, vcc
	;; [unrolled: 2-line block ×6, first 2 shown]
	v_cmp_eq_u32_e32 vcc, 9, v16
	ds_read_b32 v20, v19
	v_cndmask_b32_e32 v21, v21, v11, vcc
	v_cmp_eq_u32_e32 vcc, 10, v16
	v_cndmask_b32_e32 v21, v21, v12, vcc
	v_cmp_eq_u32_e32 vcc, 11, v16
	;; [unrolled: 2-line block ×4, first 2 shown]
	v_cndmask_b32_e32 v21, v21, v15, vcc
	v_add_u32_e32 v19, 4, v19
	s_waitcnt lgkmcnt(0)
	v_fmac_f32_e32 v18, v21, v20
	s_andn2_b64 exec, exec, s[10:11]
	s_cbranch_execnz .LBB77_313
; %bb.314:
	s_or_b64 exec, exec, s[10:11]
.LBB77_315:
	s_or_b64 exec, exec, s[8:9]
	v_mov_b32_e32 v14, 0
	ds_read_b32 v14, v14 offset:48
	s_waitcnt lgkmcnt(0)
	v_mul_f32_e32 v14, v18, v14
.LBB77_316:
	s_or_b64 exec, exec, s[6:7]
	v_cmp_ne_u32_e32 vcc, 13, v0
	ds_write_b32 v62, v15
	s_waitcnt lgkmcnt(0)
	; wave barrier
	s_and_saveexec_b64 s[4:5], vcc
	s_cbranch_execz .LBB77_326
; %bb.317:
	s_and_b64 vcc, exec, s[0:1]
	s_cbranch_vccnz .LBB77_319
; %bb.318:
	v_cmp_eq_u32_e32 vcc, 1, v0
	v_cndmask_b32_e32 v16, v2, v3, vcc
	v_cmp_eq_u32_e32 vcc, 2, v0
	v_cndmask_b32_e32 v16, v16, v4, vcc
	v_cmp_eq_u32_e32 vcc, 3, v0
	v_cndmask_b32_e32 v16, v16, v5, vcc
	v_cmp_eq_u32_e32 vcc, 4, v0
	v_cndmask_b32_e32 v16, v16, v6, vcc
	v_cmp_eq_u32_e32 vcc, 5, v0
	v_cndmask_b32_e32 v16, v16, v7, vcc
	v_cmp_eq_u32_e32 vcc, 6, v0
	v_cndmask_b32_e32 v16, v16, v8, vcc
	v_cmp_eq_u32_e32 vcc, 7, v0
	v_cndmask_b32_e32 v16, v16, v9, vcc
	v_cmp_eq_u32_e32 vcc, 8, v0
	v_cndmask_b32_e32 v16, v16, v10, vcc
	v_cmp_eq_u32_e32 vcc, 9, v0
	v_cndmask_b32_e32 v16, v16, v11, vcc
	v_cmp_eq_u32_e32 vcc, 10, v0
	ds_read_b32 v17, v62
	v_cndmask_b32_e32 v16, v16, v12, vcc
	v_cmp_eq_u32_e32 vcc, 11, v0
	v_cndmask_b32_e32 v16, v16, v13, vcc
	v_cmp_eq_u32_e32 vcc, 12, v0
	;; [unrolled: 2-line block ×3, first 2 shown]
	v_cndmask_b32_e32 v16, v16, v15, vcc
	s_waitcnt lgkmcnt(0)
	v_mul_f32_e32 v16, v16, v17
	s_cbranch_execz .LBB77_320
	s_branch .LBB77_321
.LBB77_319:
                                        ; implicit-def: $vgpr16
.LBB77_320:
	ds_read_b32 v16, v62
.LBB77_321:
	s_and_saveexec_b64 s[6:7], s[2:3]
	s_cbranch_execz .LBB77_325
; %bb.322:
	v_mov_b32_e32 v17, 0x44
	v_lshl_add_u32 v17, v0, 2, v17
	s_mov_b64 s[2:3], 0
.LBB77_323:                             ; =>This Inner Loop Header: Depth=1
	v_add_co_u32_e32 v0, vcc, 1, v0
	v_addc_co_u32_e32 v1, vcc, 0, v1, vcc
	v_cmp_eq_u32_e32 vcc, 1, v0
	v_cndmask_b32_e32 v19, v2, v3, vcc
	v_cmp_lt_u32_e32 vcc, 11, v0
	v_cmp_eq_u32_e64 s[0:1], 2, v0
	v_cndmask_b32_e64 v19, v19, v4, s[0:1]
	s_or_b64 s[2:3], vcc, s[2:3]
	v_cmp_eq_u32_e32 vcc, 3, v0
	v_cndmask_b32_e32 v19, v19, v5, vcc
	v_cmp_eq_u32_e32 vcc, 4, v0
	v_cndmask_b32_e32 v19, v19, v6, vcc
	;; [unrolled: 2-line block ×6, first 2 shown]
	v_cmp_eq_u32_e32 vcc, 9, v0
	ds_read_b32 v18, v17
	v_cndmask_b32_e32 v19, v19, v11, vcc
	v_cmp_eq_u32_e32 vcc, 10, v0
	v_cndmask_b32_e32 v19, v19, v12, vcc
	v_cmp_eq_u32_e32 vcc, 11, v0
	v_cndmask_b32_e32 v19, v19, v13, vcc
	v_cmp_eq_u32_e32 vcc, 12, v0
	v_cndmask_b32_e32 v19, v19, v14, vcc
	v_cmp_eq_u32_e32 vcc, 13, v0
	v_cndmask_b32_e32 v19, v19, v15, vcc
	v_add_u32_e32 v17, 4, v17
	s_waitcnt lgkmcnt(0)
	v_fmac_f32_e32 v16, v19, v18
	s_andn2_b64 exec, exec, s[2:3]
	s_cbranch_execnz .LBB77_323
; %bb.324:
	s_or_b64 exec, exec, s[2:3]
.LBB77_325:
	s_or_b64 exec, exec, s[6:7]
	v_mov_b32_e32 v0, 0
	ds_read_b32 v0, v0 offset:52
	s_waitcnt lgkmcnt(0)
	v_mul_f32_e32 v15, v16, v0
.LBB77_326:
	s_or_b64 exec, exec, s[4:5]
	v_mov_b32_e32 v33, v17
	v_mov_b32_e32 v32, v16
	;; [unrolled: 1-line block ×16, first 2 shown]
.LBB77_327:
	flat_store_dword v[58:59], v18
	flat_store_dword v[60:61], v19
	;; [unrolled: 1-line block ×14, first 2 shown]
.LBB77_328:
	s_endpgm
	.section	.rodata,"a",@progbits
	.p2align	6, 0x0
	.amdhsa_kernel _ZN9rocsolver6v33100L18trti2_kernel_smallILi14EfPKPfEEv13rocblas_fill_17rocblas_diagonal_T1_iil
		.amdhsa_group_segment_fixed_size 120
		.amdhsa_private_segment_fixed_size 0
		.amdhsa_kernarg_size 32
		.amdhsa_user_sgpr_count 6
		.amdhsa_user_sgpr_private_segment_buffer 1
		.amdhsa_user_sgpr_dispatch_ptr 0
		.amdhsa_user_sgpr_queue_ptr 0
		.amdhsa_user_sgpr_kernarg_segment_ptr 1
		.amdhsa_user_sgpr_dispatch_id 0
		.amdhsa_user_sgpr_flat_scratch_init 0
		.amdhsa_user_sgpr_private_segment_size 0
		.amdhsa_uses_dynamic_stack 0
		.amdhsa_system_sgpr_private_segment_wavefront_offset 0
		.amdhsa_system_sgpr_workgroup_id_x 1
		.amdhsa_system_sgpr_workgroup_id_y 0
		.amdhsa_system_sgpr_workgroup_id_z 0
		.amdhsa_system_sgpr_workgroup_info 0
		.amdhsa_system_vgpr_workitem_id 0
		.amdhsa_next_free_vgpr 80
		.amdhsa_next_free_sgpr 36
		.amdhsa_reserve_vcc 1
		.amdhsa_reserve_flat_scratch 0
		.amdhsa_float_round_mode_32 0
		.amdhsa_float_round_mode_16_64 0
		.amdhsa_float_denorm_mode_32 3
		.amdhsa_float_denorm_mode_16_64 3
		.amdhsa_dx10_clamp 1
		.amdhsa_ieee_mode 1
		.amdhsa_fp16_overflow 0
		.amdhsa_exception_fp_ieee_invalid_op 0
		.amdhsa_exception_fp_denorm_src 0
		.amdhsa_exception_fp_ieee_div_zero 0
		.amdhsa_exception_fp_ieee_overflow 0
		.amdhsa_exception_fp_ieee_underflow 0
		.amdhsa_exception_fp_ieee_inexact 0
		.amdhsa_exception_int_div_zero 0
	.end_amdhsa_kernel
	.section	.text._ZN9rocsolver6v33100L18trti2_kernel_smallILi14EfPKPfEEv13rocblas_fill_17rocblas_diagonal_T1_iil,"axG",@progbits,_ZN9rocsolver6v33100L18trti2_kernel_smallILi14EfPKPfEEv13rocblas_fill_17rocblas_diagonal_T1_iil,comdat
.Lfunc_end77:
	.size	_ZN9rocsolver6v33100L18trti2_kernel_smallILi14EfPKPfEEv13rocblas_fill_17rocblas_diagonal_T1_iil, .Lfunc_end77-_ZN9rocsolver6v33100L18trti2_kernel_smallILi14EfPKPfEEv13rocblas_fill_17rocblas_diagonal_T1_iil
                                        ; -- End function
	.set _ZN9rocsolver6v33100L18trti2_kernel_smallILi14EfPKPfEEv13rocblas_fill_17rocblas_diagonal_T1_iil.num_vgpr, 80
	.set _ZN9rocsolver6v33100L18trti2_kernel_smallILi14EfPKPfEEv13rocblas_fill_17rocblas_diagonal_T1_iil.num_agpr, 0
	.set _ZN9rocsolver6v33100L18trti2_kernel_smallILi14EfPKPfEEv13rocblas_fill_17rocblas_diagonal_T1_iil.numbered_sgpr, 36
	.set _ZN9rocsolver6v33100L18trti2_kernel_smallILi14EfPKPfEEv13rocblas_fill_17rocblas_diagonal_T1_iil.num_named_barrier, 0
	.set _ZN9rocsolver6v33100L18trti2_kernel_smallILi14EfPKPfEEv13rocblas_fill_17rocblas_diagonal_T1_iil.private_seg_size, 0
	.set _ZN9rocsolver6v33100L18trti2_kernel_smallILi14EfPKPfEEv13rocblas_fill_17rocblas_diagonal_T1_iil.uses_vcc, 1
	.set _ZN9rocsolver6v33100L18trti2_kernel_smallILi14EfPKPfEEv13rocblas_fill_17rocblas_diagonal_T1_iil.uses_flat_scratch, 0
	.set _ZN9rocsolver6v33100L18trti2_kernel_smallILi14EfPKPfEEv13rocblas_fill_17rocblas_diagonal_T1_iil.has_dyn_sized_stack, 0
	.set _ZN9rocsolver6v33100L18trti2_kernel_smallILi14EfPKPfEEv13rocblas_fill_17rocblas_diagonal_T1_iil.has_recursion, 0
	.set _ZN9rocsolver6v33100L18trti2_kernel_smallILi14EfPKPfEEv13rocblas_fill_17rocblas_diagonal_T1_iil.has_indirect_call, 0
	.section	.AMDGPU.csdata,"",@progbits
; Kernel info:
; codeLenInByte = 14996
; TotalNumSgprs: 40
; NumVgprs: 80
; ScratchSize: 0
; MemoryBound: 0
; FloatMode: 240
; IeeeMode: 1
; LDSByteSize: 120 bytes/workgroup (compile time only)
; SGPRBlocks: 4
; VGPRBlocks: 19
; NumSGPRsForWavesPerEU: 40
; NumVGPRsForWavesPerEU: 80
; Occupancy: 3
; WaveLimiterHint : 1
; COMPUTE_PGM_RSRC2:SCRATCH_EN: 0
; COMPUTE_PGM_RSRC2:USER_SGPR: 6
; COMPUTE_PGM_RSRC2:TRAP_HANDLER: 0
; COMPUTE_PGM_RSRC2:TGID_X_EN: 1
; COMPUTE_PGM_RSRC2:TGID_Y_EN: 0
; COMPUTE_PGM_RSRC2:TGID_Z_EN: 0
; COMPUTE_PGM_RSRC2:TIDIG_COMP_CNT: 0
	.section	.text._ZN9rocsolver6v33100L18trti2_kernel_smallILi15EfPKPfEEv13rocblas_fill_17rocblas_diagonal_T1_iil,"axG",@progbits,_ZN9rocsolver6v33100L18trti2_kernel_smallILi15EfPKPfEEv13rocblas_fill_17rocblas_diagonal_T1_iil,comdat
	.globl	_ZN9rocsolver6v33100L18trti2_kernel_smallILi15EfPKPfEEv13rocblas_fill_17rocblas_diagonal_T1_iil ; -- Begin function _ZN9rocsolver6v33100L18trti2_kernel_smallILi15EfPKPfEEv13rocblas_fill_17rocblas_diagonal_T1_iil
	.p2align	8
	.type	_ZN9rocsolver6v33100L18trti2_kernel_smallILi15EfPKPfEEv13rocblas_fill_17rocblas_diagonal_T1_iil,@function
_ZN9rocsolver6v33100L18trti2_kernel_smallILi15EfPKPfEEv13rocblas_fill_17rocblas_diagonal_T1_iil: ; @_ZN9rocsolver6v33100L18trti2_kernel_smallILi15EfPKPfEEv13rocblas_fill_17rocblas_diagonal_T1_iil
; %bb.0:
	v_cmp_gt_u32_e32 vcc, 15, v0
	s_and_saveexec_b64 s[0:1], vcc
	s_cbranch_execz .LBB78_354
; %bb.1:
	s_load_dwordx2 s[0:1], s[4:5], 0x10
	s_load_dwordx4 s[36:39], s[4:5], 0x0
	s_ashr_i32 s7, s6, 31
	s_lshl_b64 s[2:3], s[6:7], 3
	v_lshlrev_b32_e32 v18, 2, v0
	s_waitcnt lgkmcnt(0)
	s_ashr_i32 s5, s0, 31
	s_add_u32 s2, s38, s2
	s_addc_u32 s3, s39, s3
	s_load_dwordx2 s[2:3], s[2:3], 0x0
	s_mov_b32 s4, s0
	s_lshl_b64 s[4:5], s[4:5], 2
	v_mov_b32_e32 v19, -1.0
	s_waitcnt lgkmcnt(0)
	s_add_u32 s0, s2, s4
	s_addc_u32 s2, s3, s5
	s_add_i32 s3, s1, s1
	v_add_u32_e32 v1, s3, v0
	v_ashrrev_i32_e32 v2, 31, v1
	v_lshlrev_b64 v[2:3], 2, v[1:2]
	v_add_u32_e32 v1, s1, v1
	v_mov_b32_e32 v4, s2
	v_add_co_u32_e32 v34, vcc, s0, v2
	v_ashrrev_i32_e32 v2, 31, v1
	v_addc_co_u32_e32 v35, vcc, v4, v3, vcc
	v_lshlrev_b64 v[2:3], 2, v[1:2]
	v_add_u32_e32 v1, s1, v1
	v_add_co_u32_e32 v36, vcc, s0, v2
	v_ashrrev_i32_e32 v2, 31, v1
	v_addc_co_u32_e32 v37, vcc, v4, v3, vcc
	v_lshlrev_b64 v[2:3], 2, v[1:2]
	v_add_u32_e32 v1, s1, v1
	;; [unrolled: 5-line block ×11, first 2 shown]
	v_add_co_u32_e32 v56, vcc, s0, v2
	v_ashrrev_i32_e32 v2, 31, v1
	v_lshlrev_b64 v[1:2], 2, v[1:2]
	v_addc_co_u32_e32 v57, vcc, v4, v3, vcc
	v_mov_b32_e32 v3, s2
	v_add_co_u32_e32 v58, vcc, s0, v1
	v_addc_co_u32_e32 v59, vcc, v3, v2, vcc
	v_mov_b32_e32 v1, s2
	v_add_co_u32_e32 v60, vcc, s0, v18
	s_ashr_i32 s3, s1, 31
	s_mov_b32 s2, s1
	v_addc_co_u32_e32 v61, vcc, 0, v1, vcc
	s_lshl_b64 s[0:1], s[2:3], 2
	v_mov_b32_e32 v1, s1
	v_add_co_u32_e32 v62, vcc, s0, v60
	v_addc_co_u32_e32 v63, vcc, v61, v1, vcc
	flat_load_dword v2, v[60:61]
	flat_load_dword v3, v[62:63]
	;; [unrolled: 1-line block ×15, first 2 shown]
	s_cmpk_lg_i32 s37, 0x84
	v_mov_b32_e32 v1, 0
	s_cselect_b64 s[30:31], -1, 0
	s_cmpk_eq_i32 s37, 0x84
	v_cmp_eq_u32_e64 s[0:1], 0, v0
	s_cbranch_scc1 .LBB78_3
; %bb.2:
	v_cmp_eq_u32_e64 s[2:3], 1, v0
	s_waitcnt vmcnt(0) lgkmcnt(0)
	v_cndmask_b32_e64 v17, v2, v3, s[2:3]
	v_cmp_eq_u32_e64 s[4:5], 2, v0
	v_cndmask_b32_e64 v17, v17, v4, s[4:5]
	v_cmp_eq_u32_e64 s[6:7], 3, v0
	;; [unrolled: 2-line block ×13, first 2 shown]
	v_cndmask_b32_e64 v17, v17, v16, s[28:29]
	v_div_scale_f32 v19, s[34:35], v17, v17, 1.0
	v_div_scale_f32 v20, vcc, 1.0, v17, 1.0
	v_rcp_f32_e32 v21, v19
	v_fma_f32 v22, -v19, v21, 1.0
	v_fmac_f32_e32 v21, v22, v21
	v_mul_f32_e32 v22, v20, v21
	v_fma_f32 v23, -v19, v22, v20
	v_fmac_f32_e32 v22, v23, v21
	v_fma_f32 v19, -v19, v22, v20
	v_div_fmas_f32 v19, v19, v21, v22
	v_div_fixup_f32 v17, v19, v17, 1.0
	v_cndmask_b32_e64 v16, v16, v17, s[28:29]
	v_cndmask_b32_e64 v15, v15, v17, s[26:27]
	;; [unrolled: 1-line block ×15, first 2 shown]
	v_xor_b32_e32 v19, 0x80000000, v17
.LBB78_3:
	s_cmpk_eq_i32 s36, 0x79
	v_add_u32_e32 v64, 64, v18
	ds_write_b32 v18, v19
	s_cbranch_scc1 .LBB78_7
; %bb.4:
	s_waitcnt vmcnt(0) lgkmcnt(0)
	v_mov_b32_e32 v33, v17
	v_mov_b32_e32 v32, v16
	;; [unrolled: 1-line block ×16, first 2 shown]
	v_cmp_eq_u32_e64 s[2:3], 14, v0
	ds_write_b32 v64, v15
	s_waitcnt lgkmcnt(0)
	; wave barrier
	s_and_saveexec_b64 s[0:1], s[2:3]
	s_cbranch_execz .LBB78_11
; %bb.5:
	s_and_b64 vcc, exec, s[30:31]
	s_cbranch_vccz .LBB78_8
; %bb.6:
	v_cmp_eq_u32_e32 vcc, 1, v0
	v_cndmask_b32_e32 v18, v2, v3, vcc
	v_cmp_eq_u32_e32 vcc, 2, v0
	v_cndmask_b32_e32 v18, v18, v4, vcc
	;; [unrolled: 2-line block ×10, first 2 shown]
	v_cmp_eq_u32_e32 vcc, 11, v0
	ds_read_b32 v19, v64
	v_cndmask_b32_e32 v18, v18, v13, vcc
	v_cmp_eq_u32_e32 vcc, 12, v0
	v_cndmask_b32_e32 v18, v18, v14, vcc
	v_cmp_eq_u32_e32 vcc, 13, v0
	;; [unrolled: 2-line block ×3, first 2 shown]
	v_cndmask_b32_e32 v18, v18, v16, vcc
	s_waitcnt lgkmcnt(0)
	v_mul_f32_e32 v22, v18, v19
	s_cbranch_execz .LBB78_9
	s_branch .LBB78_10
.LBB78_7:
                                        ; implicit-def: $vgpr18_vgpr19_vgpr20_vgpr21_vgpr22_vgpr23_vgpr24_vgpr25_vgpr26_vgpr27_vgpr28_vgpr29_vgpr30_vgpr31_vgpr32_vgpr33
	s_cbranch_execnz .LBB78_210
	s_branch .LBB78_353
.LBB78_8:
                                        ; implicit-def: $vgpr22
.LBB78_9:
	ds_read_b32 v22, v64
.LBB78_10:
	v_mov_b32_e32 v18, 0
	ds_read_b32 v23, v18 offset:52
	v_mov_b32_e32 v18, v2
	v_mov_b32_e32 v19, v3
	;; [unrolled: 1-line block ×4, first 2 shown]
	s_waitcnt lgkmcnt(0)
	v_mul_f32_e32 v31, v22, v23
	v_mov_b32_e32 v22, v6
	v_mov_b32_e32 v23, v7
	;; [unrolled: 1-line block ×10, first 2 shown]
.LBB78_11:
	s_or_b64 exec, exec, s[0:1]
	v_cmp_lt_u32_e64 s[0:1], 12, v0
	ds_write_b32 v64, v30
	s_waitcnt lgkmcnt(0)
	; wave barrier
	s_and_saveexec_b64 s[4:5], s[0:1]
	s_cbranch_execz .LBB78_17
; %bb.12:
	s_andn2_b64 vcc, exec, s[30:31]
	s_cbranch_vccnz .LBB78_14
; %bb.13:
	v_cmp_eq_u32_e32 vcc, 1, v0
	v_cndmask_b32_e32 v33, v18, v19, vcc
	v_cmp_eq_u32_e32 vcc, 2, v0
	v_cndmask_b32_e32 v33, v33, v20, vcc
	;; [unrolled: 2-line block ×12, first 2 shown]
	ds_read_b32 v33, v64
	v_cmp_eq_u32_e32 vcc, 13, v0
	v_cndmask_b32_e32 v30, v30, v31, vcc
	v_cmp_eq_u32_e32 vcc, 14, v0
	v_cndmask_b32_e32 v30, v30, v32, vcc
	s_waitcnt lgkmcnt(0)
	v_mul_f32_e32 v30, v30, v33
	s_cbranch_execz .LBB78_15
	s_branch .LBB78_16
.LBB78_14:
                                        ; implicit-def: $vgpr30
.LBB78_15:
	ds_read_b32 v30, v64
.LBB78_16:
	v_mov_b32_e32 v33, 0
	ds_read2_b32 v[65:66], v33 offset0:12 offset1:29
	s_waitcnt lgkmcnt(0)
	v_fma_f32 v33, v31, v66, v30
	v_cndmask_b32_e64 v30, v30, v33, s[2:3]
	v_mul_f32_e32 v30, v30, v65
.LBB78_17:
	s_or_b64 exec, exec, s[4:5]
	v_cmp_lt_u32_e64 s[2:3], 11, v0
	ds_write_b32 v64, v29
	s_waitcnt lgkmcnt(0)
	; wave barrier
	s_and_saveexec_b64 s[4:5], s[2:3]
	s_cbranch_execz .LBB78_33
; %bb.18:
	s_andn2_b64 vcc, exec, s[30:31]
	s_cbranch_vccnz .LBB78_20
; %bb.19:
	v_cmp_eq_u32_e32 vcc, 1, v0
	v_cndmask_b32_e32 v65, v18, v19, vcc
	v_cmp_eq_u32_e32 vcc, 2, v0
	v_cndmask_b32_e32 v65, v65, v20, vcc
	;; [unrolled: 2-line block ×10, first 2 shown]
	v_cmp_eq_u32_e32 vcc, 11, v0
	ds_read_b32 v66, v64
	v_cndmask_b32_e32 v65, v65, v29, vcc
	v_cmp_eq_u32_e32 vcc, 12, v0
	v_cndmask_b32_e32 v65, v65, v30, vcc
	v_cmp_eq_u32_e32 vcc, 13, v0
	;; [unrolled: 2-line block ×3, first 2 shown]
	v_cndmask_b32_e32 v65, v65, v32, vcc
	s_waitcnt lgkmcnt(0)
	v_mul_f32_e32 v65, v65, v66
	s_cbranch_execz .LBB78_21
	s_branch .LBB78_22
.LBB78_20:
                                        ; implicit-def: $vgpr65
.LBB78_21:
	ds_read_b32 v65, v64
.LBB78_22:
	s_and_saveexec_b64 s[6:7], s[0:1]
	s_cbranch_execz .LBB78_32
; %bb.23:
	v_add_u32_e32 v66, -13, v0
	v_add_u32_e32 v67, -12, v0
	v_cmp_lt_u32_e32 vcc, 6, v66
	v_mov_b32_e32 v66, 12
	s_and_saveexec_b64 s[0:1], vcc
	s_cbranch_execz .LBB78_27
; %bb.24:
	v_and_b32_e32 v66, -8, v67
	v_sub_u32_e32 v68, 0, v66
	s_mov_b64 s[8:9], 19
	s_movk_i32 s12, 0x70
	s_mov_b64 s[10:11], 0
.LBB78_25:                              ; =>This Inner Loop Header: Depth=1
	s_add_i32 s13, s8, -7
	v_mov_b32_e32 v66, s12
	s_add_i32 s14, s8, -6
	s_set_gpr_idx_on s13, gpr_idx(SRC0)
	v_mov_b32_e32 v77, v18
	s_set_gpr_idx_off
	s_add_i32 s15, s8, -5
	ds_read_b128 v[69:72], v66
	ds_read_b128 v[73:76], v66 offset:16
	s_set_gpr_idx_on s14, gpr_idx(SRC0)
	v_mov_b32_e32 v66, v18
	s_set_gpr_idx_off
	s_add_i32 s16, s8, -4
	s_set_gpr_idx_on s15, gpr_idx(SRC0)
	v_mov_b32_e32 v78, v18
	s_set_gpr_idx_off
	s_add_i32 s17, s8, -3
	;; [unrolled: 4-line block ×4, first 2 shown]
	s_waitcnt lgkmcnt(1)
	v_fmac_f32_e32 v65, v77, v69
	s_set_gpr_idx_on s18, gpr_idx(SRC0)
	v_mov_b32_e32 v69, v18
	s_set_gpr_idx_off
	v_fmac_f32_e32 v65, v66, v70
	s_set_gpr_idx_on s19, gpr_idx(SRC0)
	v_mov_b32_e32 v70, v18
	s_set_gpr_idx_off
	;; [unrolled: 4-line block ×3, first 2 shown]
	v_fmac_f32_e32 v65, v79, v72
	s_add_u32 s8, s8, 8
	s_waitcnt lgkmcnt(0)
	v_fmac_f32_e32 v65, v80, v73
	v_add_u32_e32 v66, s8, v68
	v_fmac_f32_e32 v65, v69, v74
	s_addc_u32 s9, s9, 0
	s_add_i32 s12, s12, 32
	s_add_i32 s13, s8, -7
	v_cmp_eq_u32_e32 vcc, 19, v66
	v_fmac_f32_e32 v65, v70, v75
	v_mov_b32_e32 v66, s13
	s_or_b64 s[10:11], vcc, s[10:11]
	v_fmac_f32_e32 v65, v71, v76
	s_andn2_b64 exec, exec, s[10:11]
	s_cbranch_execnz .LBB78_25
; %bb.26:
	s_or_b64 exec, exec, s[10:11]
.LBB78_27:
	s_or_b64 exec, exec, s[0:1]
	v_and_b32_e32 v33, 7, v67
	v_cmp_ne_u32_e32 vcc, 0, v33
	s_and_saveexec_b64 s[8:9], vcc
	s_cbranch_execz .LBB78_31
; %bb.28:
	v_lshl_add_u32 v67, v66, 2, 64
	v_mov_b32_e32 v68, 0
	s_mov_b64 s[10:11], 0
.LBB78_29:                              ; =>This Inner Loop Header: Depth=1
	v_cmp_eq_u32_e32 vcc, 1, v66
	v_cndmask_b32_e32 v69, v18, v19, vcc
	v_add_u32_e32 v33, -1, v33
	v_cmp_eq_u32_e32 vcc, 2, v66
	v_cndmask_b32_e32 v69, v69, v20, vcc
	v_cmp_eq_u32_e32 vcc, 0, v33
	v_cmp_eq_u32_e64 s[0:1], 3, v66
	v_cndmask_b32_e64 v69, v69, v21, s[0:1]
	s_or_b64 s[10:11], vcc, s[10:11]
	v_cmp_eq_u32_e32 vcc, 4, v66
	v_cndmask_b32_e32 v69, v69, v22, vcc
	v_cmp_eq_u32_e32 vcc, 5, v66
	v_cndmask_b32_e32 v69, v69, v23, vcc
	;; [unrolled: 2-line block ×6, first 2 shown]
	v_cmp_eq_u32_e32 vcc, 10, v66
	ds_read_b32 v70, v67
	v_cndmask_b32_e32 v69, v69, v28, vcc
	v_cmp_eq_u32_e32 vcc, 11, v66
	v_cndmask_b32_e32 v69, v69, v29, vcc
	v_cmp_eq_u32_e32 vcc, 12, v66
	;; [unrolled: 2-line block ×4, first 2 shown]
	v_add_co_u32_e64 v66, s[0:1], 1, v66
	v_cndmask_b32_e32 v69, v69, v32, vcc
	v_add_u32_e32 v67, 4, v67
	v_addc_co_u32_e64 v68, s[0:1], 0, v68, s[0:1]
	s_waitcnt lgkmcnt(0)
	v_fmac_f32_e32 v65, v69, v70
	s_andn2_b64 exec, exec, s[10:11]
	s_cbranch_execnz .LBB78_29
; %bb.30:
	s_or_b64 exec, exec, s[10:11]
.LBB78_31:
	s_or_b64 exec, exec, s[8:9]
.LBB78_32:
	s_or_b64 exec, exec, s[6:7]
	v_mov_b32_e32 v29, 0
	ds_read_b32 v29, v29 offset:44
	s_waitcnt lgkmcnt(0)
	v_mul_f32_e32 v29, v65, v29
.LBB78_33:
	s_or_b64 exec, exec, s[4:5]
	v_cmp_lt_u32_e64 s[0:1], 10, v0
	ds_write_b32 v64, v28
	s_waitcnt lgkmcnt(0)
	; wave barrier
	s_and_saveexec_b64 s[4:5], s[0:1]
	s_cbranch_execz .LBB78_49
; %bb.34:
	s_andn2_b64 vcc, exec, s[30:31]
	s_cbranch_vccnz .LBB78_36
; %bb.35:
	v_cmp_eq_u32_e32 vcc, 1, v0
	v_cndmask_b32_e32 v65, v18, v19, vcc
	v_cmp_eq_u32_e32 vcc, 2, v0
	v_cndmask_b32_e32 v65, v65, v20, vcc
	;; [unrolled: 2-line block ×10, first 2 shown]
	v_cmp_eq_u32_e32 vcc, 11, v0
	ds_read_b32 v66, v64
	v_cndmask_b32_e32 v65, v65, v29, vcc
	v_cmp_eq_u32_e32 vcc, 12, v0
	v_cndmask_b32_e32 v65, v65, v30, vcc
	v_cmp_eq_u32_e32 vcc, 13, v0
	;; [unrolled: 2-line block ×3, first 2 shown]
	v_cndmask_b32_e32 v65, v65, v32, vcc
	s_waitcnt lgkmcnt(0)
	v_mul_f32_e32 v65, v65, v66
	s_cbranch_execz .LBB78_37
	s_branch .LBB78_38
.LBB78_36:
                                        ; implicit-def: $vgpr65
.LBB78_37:
	ds_read_b32 v65, v64
.LBB78_38:
	s_and_saveexec_b64 s[6:7], s[2:3]
	s_cbranch_execz .LBB78_48
; %bb.39:
	v_add_u32_e32 v66, -12, v0
	v_add_u32_e32 v67, -11, v0
	v_cmp_lt_u32_e32 vcc, 6, v66
	v_mov_b32_e32 v66, 11
	s_and_saveexec_b64 s[2:3], vcc
	s_cbranch_execz .LBB78_43
; %bb.40:
	v_and_b32_e32 v66, -8, v67
	v_sub_u32_e32 v68, 0, v66
	s_mov_b64 s[8:9], 18
	s_movk_i32 s12, 0x6c
	s_mov_b64 s[10:11], 0
.LBB78_41:                              ; =>This Inner Loop Header: Depth=1
	s_add_i32 s13, s8, -7
	v_mov_b32_e32 v66, s12
	s_add_i32 s14, s8, -6
	s_set_gpr_idx_on s13, gpr_idx(SRC0)
	v_mov_b32_e32 v75, v18
	s_set_gpr_idx_off
	ds_read2_b32 v[69:70], v66 offset1:1
	s_add_i32 s15, s8, -5
	s_set_gpr_idx_on s14, gpr_idx(SRC0)
	v_mov_b32_e32 v76, v18
	s_set_gpr_idx_off
	s_add_i32 s16, s8, -4
	s_set_gpr_idx_on s15, gpr_idx(SRC0)
	v_mov_b32_e32 v77, v18
	s_set_gpr_idx_off
	ds_read2_b32 v[71:72], v66 offset0:2 offset1:3
	s_add_i32 s17, s8, -3
	s_set_gpr_idx_on s16, gpr_idx(SRC0)
	v_mov_b32_e32 v78, v18
	s_set_gpr_idx_off
	s_add_i32 s18, s8, -2
	s_set_gpr_idx_on s17, gpr_idx(SRC0)
	v_mov_b32_e32 v79, v18
	s_set_gpr_idx_off
	ds_read2_b32 v[73:74], v66 offset0:4 offset1:5
	s_add_i32 s19, s8, -1
	s_waitcnt lgkmcnt(2)
	v_fmac_f32_e32 v65, v75, v69
	s_set_gpr_idx_on s18, gpr_idx(SRC0)
	v_mov_b32_e32 v75, v18
	s_set_gpr_idx_off
	v_fmac_f32_e32 v65, v76, v70
	s_set_gpr_idx_on s19, gpr_idx(SRC0)
	v_mov_b32_e32 v76, v18
	s_set_gpr_idx_off
	ds_read2_b32 v[69:70], v66 offset0:6 offset1:7
	s_waitcnt lgkmcnt(2)
	v_fmac_f32_e32 v65, v77, v71
	s_set_gpr_idx_on s8, gpr_idx(SRC0)
	v_mov_b32_e32 v71, v18
	s_set_gpr_idx_off
	v_fmac_f32_e32 v65, v78, v72
	s_add_u32 s8, s8, 8
	s_waitcnt lgkmcnt(1)
	v_fmac_f32_e32 v65, v79, v73
	v_add_u32_e32 v66, s8, v68
	v_fmac_f32_e32 v65, v75, v74
	s_addc_u32 s9, s9, 0
	s_add_i32 s12, s12, 32
	s_add_i32 s13, s8, -7
	v_cmp_eq_u32_e32 vcc, 18, v66
	s_waitcnt lgkmcnt(0)
	v_fmac_f32_e32 v65, v76, v69
	v_mov_b32_e32 v66, s13
	s_or_b64 s[10:11], vcc, s[10:11]
	v_fmac_f32_e32 v65, v71, v70
	s_andn2_b64 exec, exec, s[10:11]
	s_cbranch_execnz .LBB78_41
; %bb.42:
	s_or_b64 exec, exec, s[10:11]
.LBB78_43:
	s_or_b64 exec, exec, s[2:3]
	v_and_b32_e32 v33, 7, v67
	v_cmp_ne_u32_e32 vcc, 0, v33
	s_and_saveexec_b64 s[8:9], vcc
	s_cbranch_execz .LBB78_47
; %bb.44:
	v_lshl_add_u32 v67, v66, 2, 64
	v_mov_b32_e32 v68, 0
	s_mov_b64 s[10:11], 0
.LBB78_45:                              ; =>This Inner Loop Header: Depth=1
	v_cmp_eq_u32_e32 vcc, 1, v66
	v_cndmask_b32_e32 v69, v18, v19, vcc
	v_add_u32_e32 v33, -1, v33
	v_cmp_eq_u32_e32 vcc, 2, v66
	v_cndmask_b32_e32 v69, v69, v20, vcc
	v_cmp_eq_u32_e32 vcc, 0, v33
	v_cmp_eq_u32_e64 s[2:3], 3, v66
	v_cndmask_b32_e64 v69, v69, v21, s[2:3]
	s_or_b64 s[10:11], vcc, s[10:11]
	v_cmp_eq_u32_e32 vcc, 4, v66
	v_cndmask_b32_e32 v69, v69, v22, vcc
	v_cmp_eq_u32_e32 vcc, 5, v66
	v_cndmask_b32_e32 v69, v69, v23, vcc
	;; [unrolled: 2-line block ×6, first 2 shown]
	v_cmp_eq_u32_e32 vcc, 10, v66
	ds_read_b32 v70, v67
	v_cndmask_b32_e32 v69, v69, v28, vcc
	v_cmp_eq_u32_e32 vcc, 11, v66
	v_cndmask_b32_e32 v69, v69, v29, vcc
	v_cmp_eq_u32_e32 vcc, 12, v66
	;; [unrolled: 2-line block ×4, first 2 shown]
	v_add_co_u32_e64 v66, s[2:3], 1, v66
	v_cndmask_b32_e32 v69, v69, v32, vcc
	v_add_u32_e32 v67, 4, v67
	v_addc_co_u32_e64 v68, s[2:3], 0, v68, s[2:3]
	s_waitcnt lgkmcnt(0)
	v_fmac_f32_e32 v65, v69, v70
	s_andn2_b64 exec, exec, s[10:11]
	s_cbranch_execnz .LBB78_45
; %bb.46:
	s_or_b64 exec, exec, s[10:11]
.LBB78_47:
	s_or_b64 exec, exec, s[8:9]
.LBB78_48:
	s_or_b64 exec, exec, s[6:7]
	v_mov_b32_e32 v28, 0
	ds_read_b32 v28, v28 offset:40
	s_waitcnt lgkmcnt(0)
	v_mul_f32_e32 v28, v65, v28
.LBB78_49:
	s_or_b64 exec, exec, s[4:5]
	v_cmp_lt_u32_e64 s[2:3], 9, v0
	ds_write_b32 v64, v27
	s_waitcnt lgkmcnt(0)
	; wave barrier
	s_and_saveexec_b64 s[4:5], s[2:3]
	s_cbranch_execz .LBB78_65
; %bb.50:
	s_andn2_b64 vcc, exec, s[30:31]
	s_cbranch_vccnz .LBB78_52
; %bb.51:
	v_cmp_eq_u32_e32 vcc, 1, v0
	v_cndmask_b32_e32 v65, v18, v19, vcc
	v_cmp_eq_u32_e32 vcc, 2, v0
	v_cndmask_b32_e32 v65, v65, v20, vcc
	;; [unrolled: 2-line block ×10, first 2 shown]
	v_cmp_eq_u32_e32 vcc, 11, v0
	ds_read_b32 v66, v64
	v_cndmask_b32_e32 v65, v65, v29, vcc
	v_cmp_eq_u32_e32 vcc, 12, v0
	v_cndmask_b32_e32 v65, v65, v30, vcc
	v_cmp_eq_u32_e32 vcc, 13, v0
	;; [unrolled: 2-line block ×3, first 2 shown]
	v_cndmask_b32_e32 v65, v65, v32, vcc
	s_waitcnt lgkmcnt(0)
	v_mul_f32_e32 v65, v65, v66
	s_cbranch_execz .LBB78_53
	s_branch .LBB78_54
.LBB78_52:
                                        ; implicit-def: $vgpr65
.LBB78_53:
	ds_read_b32 v65, v64
.LBB78_54:
	s_and_saveexec_b64 s[6:7], s[0:1]
	s_cbranch_execz .LBB78_64
; %bb.55:
	v_add_u32_e32 v66, -11, v0
	v_add_u32_e32 v67, -10, v0
	v_cmp_lt_u32_e32 vcc, 6, v66
	v_mov_b32_e32 v66, 10
	s_and_saveexec_b64 s[0:1], vcc
	s_cbranch_execz .LBB78_59
; %bb.56:
	v_and_b32_e32 v66, -8, v67
	v_sub_u32_e32 v68, 0, v66
	s_mov_b64 s[8:9], 17
	s_movk_i32 s12, 0x68
	s_mov_b64 s[10:11], 0
.LBB78_57:                              ; =>This Inner Loop Header: Depth=1
	s_add_i32 s13, s8, -7
	v_mov_b32_e32 v66, s12
	s_add_i32 s14, s8, -6
	s_set_gpr_idx_on s13, gpr_idx(SRC0)
	v_mov_b32_e32 v77, v18
	s_set_gpr_idx_off
	ds_read2_b64 v[69:72], v66 offset1:1
	s_add_i32 s15, s8, -5
	s_set_gpr_idx_on s14, gpr_idx(SRC0)
	v_mov_b32_e32 v78, v18
	s_set_gpr_idx_off
	s_add_i32 s16, s8, -4
	s_set_gpr_idx_on s15, gpr_idx(SRC0)
	v_mov_b32_e32 v79, v18
	s_set_gpr_idx_off
	;; [unrolled: 4-line block ×4, first 2 shown]
	ds_read2_b64 v[73:76], v66 offset0:2 offset1:3
	s_add_i32 s19, s8, -1
	s_waitcnt lgkmcnt(1)
	v_fmac_f32_e32 v65, v77, v69
	s_set_gpr_idx_on s18, gpr_idx(SRC0)
	v_mov_b32_e32 v69, v18
	s_set_gpr_idx_off
	v_fmac_f32_e32 v65, v78, v70
	s_set_gpr_idx_on s19, gpr_idx(SRC0)
	v_mov_b32_e32 v70, v18
	s_set_gpr_idx_off
	;; [unrolled: 4-line block ×3, first 2 shown]
	v_fmac_f32_e32 v65, v80, v72
	s_add_u32 s8, s8, 8
	s_waitcnt lgkmcnt(0)
	v_fmac_f32_e32 v65, v81, v73
	v_add_u32_e32 v66, s8, v68
	v_fmac_f32_e32 v65, v69, v74
	s_addc_u32 s9, s9, 0
	s_add_i32 s12, s12, 32
	s_add_i32 s13, s8, -7
	v_cmp_eq_u32_e32 vcc, 17, v66
	v_fmac_f32_e32 v65, v70, v75
	v_mov_b32_e32 v66, s13
	s_or_b64 s[10:11], vcc, s[10:11]
	v_fmac_f32_e32 v65, v71, v76
	s_andn2_b64 exec, exec, s[10:11]
	s_cbranch_execnz .LBB78_57
; %bb.58:
	s_or_b64 exec, exec, s[10:11]
.LBB78_59:
	s_or_b64 exec, exec, s[0:1]
	v_and_b32_e32 v33, 7, v67
	v_cmp_ne_u32_e32 vcc, 0, v33
	s_and_saveexec_b64 s[8:9], vcc
	s_cbranch_execz .LBB78_63
; %bb.60:
	v_lshl_add_u32 v67, v66, 2, 64
	v_mov_b32_e32 v68, 0
	s_mov_b64 s[10:11], 0
.LBB78_61:                              ; =>This Inner Loop Header: Depth=1
	v_cmp_eq_u32_e32 vcc, 1, v66
	v_cndmask_b32_e32 v69, v18, v19, vcc
	v_add_u32_e32 v33, -1, v33
	v_cmp_eq_u32_e32 vcc, 2, v66
	v_cndmask_b32_e32 v69, v69, v20, vcc
	v_cmp_eq_u32_e32 vcc, 0, v33
	v_cmp_eq_u32_e64 s[0:1], 3, v66
	v_cndmask_b32_e64 v69, v69, v21, s[0:1]
	s_or_b64 s[10:11], vcc, s[10:11]
	v_cmp_eq_u32_e32 vcc, 4, v66
	v_cndmask_b32_e32 v69, v69, v22, vcc
	v_cmp_eq_u32_e32 vcc, 5, v66
	v_cndmask_b32_e32 v69, v69, v23, vcc
	;; [unrolled: 2-line block ×6, first 2 shown]
	v_cmp_eq_u32_e32 vcc, 10, v66
	ds_read_b32 v70, v67
	v_cndmask_b32_e32 v69, v69, v28, vcc
	v_cmp_eq_u32_e32 vcc, 11, v66
	v_cndmask_b32_e32 v69, v69, v29, vcc
	v_cmp_eq_u32_e32 vcc, 12, v66
	;; [unrolled: 2-line block ×4, first 2 shown]
	v_add_co_u32_e64 v66, s[0:1], 1, v66
	v_cndmask_b32_e32 v69, v69, v32, vcc
	v_add_u32_e32 v67, 4, v67
	v_addc_co_u32_e64 v68, s[0:1], 0, v68, s[0:1]
	s_waitcnt lgkmcnt(0)
	v_fmac_f32_e32 v65, v69, v70
	s_andn2_b64 exec, exec, s[10:11]
	s_cbranch_execnz .LBB78_61
; %bb.62:
	s_or_b64 exec, exec, s[10:11]
.LBB78_63:
	s_or_b64 exec, exec, s[8:9]
.LBB78_64:
	s_or_b64 exec, exec, s[6:7]
	v_mov_b32_e32 v27, 0
	ds_read_b32 v27, v27 offset:36
	s_waitcnt lgkmcnt(0)
	v_mul_f32_e32 v27, v65, v27
.LBB78_65:
	s_or_b64 exec, exec, s[4:5]
	v_cmp_lt_u32_e64 s[0:1], 8, v0
	ds_write_b32 v64, v26
	s_waitcnt lgkmcnt(0)
	; wave barrier
	s_and_saveexec_b64 s[4:5], s[0:1]
	s_cbranch_execz .LBB78_81
; %bb.66:
	s_andn2_b64 vcc, exec, s[30:31]
	s_cbranch_vccnz .LBB78_68
; %bb.67:
	v_cmp_eq_u32_e32 vcc, 1, v0
	v_cndmask_b32_e32 v65, v18, v19, vcc
	v_cmp_eq_u32_e32 vcc, 2, v0
	v_cndmask_b32_e32 v65, v65, v20, vcc
	;; [unrolled: 2-line block ×10, first 2 shown]
	v_cmp_eq_u32_e32 vcc, 11, v0
	ds_read_b32 v66, v64
	v_cndmask_b32_e32 v65, v65, v29, vcc
	v_cmp_eq_u32_e32 vcc, 12, v0
	v_cndmask_b32_e32 v65, v65, v30, vcc
	v_cmp_eq_u32_e32 vcc, 13, v0
	;; [unrolled: 2-line block ×3, first 2 shown]
	v_cndmask_b32_e32 v65, v65, v32, vcc
	s_waitcnt lgkmcnt(0)
	v_mul_f32_e32 v65, v65, v66
	s_cbranch_execz .LBB78_69
	s_branch .LBB78_70
.LBB78_68:
                                        ; implicit-def: $vgpr65
.LBB78_69:
	ds_read_b32 v65, v64
.LBB78_70:
	s_and_saveexec_b64 s[6:7], s[2:3]
	s_cbranch_execz .LBB78_80
; %bb.71:
	v_add_u32_e32 v66, -10, v0
	v_add_u32_e32 v67, -9, v0
	v_cmp_lt_u32_e32 vcc, 6, v66
	v_mov_b32_e32 v66, 9
	s_and_saveexec_b64 s[2:3], vcc
	s_cbranch_execz .LBB78_75
; %bb.72:
	v_and_b32_e32 v66, -8, v67
	v_sub_u32_e32 v68, 0, v66
	s_mov_b64 s[8:9], 16
	s_movk_i32 s12, 0x64
	s_mov_b64 s[10:11], 0
.LBB78_73:                              ; =>This Inner Loop Header: Depth=1
	s_add_i32 s13, s8, -7
	v_mov_b32_e32 v66, s12
	s_add_i32 s14, s8, -6
	s_set_gpr_idx_on s13, gpr_idx(SRC0)
	v_mov_b32_e32 v75, v18
	s_set_gpr_idx_off
	ds_read2_b32 v[69:70], v66 offset1:1
	s_add_i32 s15, s8, -5
	s_set_gpr_idx_on s14, gpr_idx(SRC0)
	v_mov_b32_e32 v76, v18
	s_set_gpr_idx_off
	s_add_i32 s16, s8, -4
	s_set_gpr_idx_on s15, gpr_idx(SRC0)
	v_mov_b32_e32 v77, v18
	s_set_gpr_idx_off
	ds_read2_b32 v[71:72], v66 offset0:2 offset1:3
	s_add_i32 s17, s8, -3
	s_set_gpr_idx_on s16, gpr_idx(SRC0)
	v_mov_b32_e32 v78, v18
	s_set_gpr_idx_off
	s_add_i32 s18, s8, -2
	s_set_gpr_idx_on s17, gpr_idx(SRC0)
	v_mov_b32_e32 v79, v18
	s_set_gpr_idx_off
	ds_read2_b32 v[73:74], v66 offset0:4 offset1:5
	s_add_i32 s19, s8, -1
	s_waitcnt lgkmcnt(2)
	v_fmac_f32_e32 v65, v75, v69
	s_set_gpr_idx_on s18, gpr_idx(SRC0)
	v_mov_b32_e32 v75, v18
	s_set_gpr_idx_off
	v_fmac_f32_e32 v65, v76, v70
	s_set_gpr_idx_on s19, gpr_idx(SRC0)
	v_mov_b32_e32 v76, v18
	s_set_gpr_idx_off
	ds_read2_b32 v[69:70], v66 offset0:6 offset1:7
	s_waitcnt lgkmcnt(2)
	v_fmac_f32_e32 v65, v77, v71
	s_set_gpr_idx_on s8, gpr_idx(SRC0)
	v_mov_b32_e32 v71, v18
	s_set_gpr_idx_off
	v_fmac_f32_e32 v65, v78, v72
	s_add_u32 s8, s8, 8
	s_waitcnt lgkmcnt(1)
	v_fmac_f32_e32 v65, v79, v73
	v_add_u32_e32 v66, s8, v68
	v_fmac_f32_e32 v65, v75, v74
	s_addc_u32 s9, s9, 0
	s_add_i32 s12, s12, 32
	s_add_i32 s13, s8, -7
	v_cmp_eq_u32_e32 vcc, 16, v66
	s_waitcnt lgkmcnt(0)
	v_fmac_f32_e32 v65, v76, v69
	v_mov_b32_e32 v66, s13
	s_or_b64 s[10:11], vcc, s[10:11]
	v_fmac_f32_e32 v65, v71, v70
	s_andn2_b64 exec, exec, s[10:11]
	s_cbranch_execnz .LBB78_73
; %bb.74:
	s_or_b64 exec, exec, s[10:11]
.LBB78_75:
	s_or_b64 exec, exec, s[2:3]
	v_and_b32_e32 v33, 7, v67
	v_cmp_ne_u32_e32 vcc, 0, v33
	s_and_saveexec_b64 s[8:9], vcc
	s_cbranch_execz .LBB78_79
; %bb.76:
	v_lshl_add_u32 v67, v66, 2, 64
	v_mov_b32_e32 v68, 0
	s_mov_b64 s[10:11], 0
.LBB78_77:                              ; =>This Inner Loop Header: Depth=1
	v_cmp_eq_u32_e32 vcc, 1, v66
	v_cndmask_b32_e32 v69, v18, v19, vcc
	v_add_u32_e32 v33, -1, v33
	v_cmp_eq_u32_e32 vcc, 2, v66
	v_cndmask_b32_e32 v69, v69, v20, vcc
	v_cmp_eq_u32_e32 vcc, 0, v33
	v_cmp_eq_u32_e64 s[2:3], 3, v66
	v_cndmask_b32_e64 v69, v69, v21, s[2:3]
	s_or_b64 s[10:11], vcc, s[10:11]
	v_cmp_eq_u32_e32 vcc, 4, v66
	v_cndmask_b32_e32 v69, v69, v22, vcc
	v_cmp_eq_u32_e32 vcc, 5, v66
	v_cndmask_b32_e32 v69, v69, v23, vcc
	v_cmp_eq_u32_e32 vcc, 6, v66
	v_cndmask_b32_e32 v69, v69, v24, vcc
	v_cmp_eq_u32_e32 vcc, 7, v66
	v_cndmask_b32_e32 v69, v69, v25, vcc
	v_cmp_eq_u32_e32 vcc, 8, v66
	v_cndmask_b32_e32 v69, v69, v26, vcc
	v_cmp_eq_u32_e32 vcc, 9, v66
	v_cndmask_b32_e32 v69, v69, v27, vcc
	v_cmp_eq_u32_e32 vcc, 10, v66
	ds_read_b32 v70, v67
	v_cndmask_b32_e32 v69, v69, v28, vcc
	v_cmp_eq_u32_e32 vcc, 11, v66
	v_cndmask_b32_e32 v69, v69, v29, vcc
	v_cmp_eq_u32_e32 vcc, 12, v66
	;; [unrolled: 2-line block ×4, first 2 shown]
	v_add_co_u32_e64 v66, s[2:3], 1, v66
	v_cndmask_b32_e32 v69, v69, v32, vcc
	v_add_u32_e32 v67, 4, v67
	v_addc_co_u32_e64 v68, s[2:3], 0, v68, s[2:3]
	s_waitcnt lgkmcnt(0)
	v_fmac_f32_e32 v65, v69, v70
	s_andn2_b64 exec, exec, s[10:11]
	s_cbranch_execnz .LBB78_77
; %bb.78:
	s_or_b64 exec, exec, s[10:11]
.LBB78_79:
	s_or_b64 exec, exec, s[8:9]
.LBB78_80:
	s_or_b64 exec, exec, s[6:7]
	v_mov_b32_e32 v26, 0
	ds_read_b32 v26, v26 offset:32
	s_waitcnt lgkmcnt(0)
	v_mul_f32_e32 v26, v65, v26
.LBB78_81:
	s_or_b64 exec, exec, s[4:5]
	v_cmp_lt_u32_e64 s[2:3], 7, v0
	ds_write_b32 v64, v25
	s_waitcnt lgkmcnt(0)
	; wave barrier
	s_and_saveexec_b64 s[4:5], s[2:3]
	s_cbranch_execz .LBB78_97
; %bb.82:
	s_andn2_b64 vcc, exec, s[30:31]
	s_cbranch_vccnz .LBB78_84
; %bb.83:
	v_cmp_eq_u32_e32 vcc, 1, v0
	v_cndmask_b32_e32 v65, v18, v19, vcc
	v_cmp_eq_u32_e32 vcc, 2, v0
	v_cndmask_b32_e32 v65, v65, v20, vcc
	;; [unrolled: 2-line block ×10, first 2 shown]
	v_cmp_eq_u32_e32 vcc, 11, v0
	ds_read_b32 v66, v64
	v_cndmask_b32_e32 v65, v65, v29, vcc
	v_cmp_eq_u32_e32 vcc, 12, v0
	v_cndmask_b32_e32 v65, v65, v30, vcc
	v_cmp_eq_u32_e32 vcc, 13, v0
	;; [unrolled: 2-line block ×3, first 2 shown]
	v_cndmask_b32_e32 v65, v65, v32, vcc
	s_waitcnt lgkmcnt(0)
	v_mul_f32_e32 v65, v65, v66
	s_cbranch_execz .LBB78_85
	s_branch .LBB78_86
.LBB78_84:
                                        ; implicit-def: $vgpr65
.LBB78_85:
	ds_read_b32 v65, v64
.LBB78_86:
	s_and_saveexec_b64 s[6:7], s[0:1]
	s_cbranch_execz .LBB78_96
; %bb.87:
	v_add_u32_e32 v66, -9, v0
	v_cmp_lt_u32_e32 vcc, 6, v66
	v_mov_b32_e32 v66, 8
	s_and_saveexec_b64 s[0:1], vcc
	s_cbranch_execz .LBB78_91
; %bb.88:
	v_and_b32_e32 v66, 8, v0
	v_sub_u32_e32 v67, 0, v66
	s_mov_b64 s[8:9], 15
	s_movk_i32 s12, 0x60
	s_mov_b64 s[10:11], 0
.LBB78_89:                              ; =>This Inner Loop Header: Depth=1
	s_add_i32 s13, s8, -7
	v_mov_b32_e32 v66, s12
	s_add_i32 s14, s8, -6
	s_set_gpr_idx_on s13, gpr_idx(SRC0)
	v_mov_b32_e32 v76, v18
	s_set_gpr_idx_off
	s_add_i32 s15, s8, -5
	ds_read_b128 v[68:71], v66
	ds_read_b128 v[72:75], v66 offset:16
	s_set_gpr_idx_on s14, gpr_idx(SRC0)
	v_mov_b32_e32 v66, v18
	s_set_gpr_idx_off
	s_add_i32 s16, s8, -4
	s_set_gpr_idx_on s15, gpr_idx(SRC0)
	v_mov_b32_e32 v77, v18
	s_set_gpr_idx_off
	s_add_i32 s17, s8, -3
	;; [unrolled: 4-line block ×4, first 2 shown]
	s_waitcnt lgkmcnt(1)
	v_fmac_f32_e32 v65, v76, v68
	s_set_gpr_idx_on s18, gpr_idx(SRC0)
	v_mov_b32_e32 v68, v18
	s_set_gpr_idx_off
	v_fmac_f32_e32 v65, v66, v69
	s_set_gpr_idx_on s19, gpr_idx(SRC0)
	v_mov_b32_e32 v69, v18
	s_set_gpr_idx_off
	;; [unrolled: 4-line block ×3, first 2 shown]
	v_fmac_f32_e32 v65, v78, v71
	s_add_u32 s8, s8, 8
	s_waitcnt lgkmcnt(0)
	v_fmac_f32_e32 v65, v79, v72
	v_add_u32_e32 v66, s8, v67
	v_fmac_f32_e32 v65, v68, v73
	s_addc_u32 s9, s9, 0
	s_add_i32 s12, s12, 32
	s_add_i32 s13, s8, -7
	v_cmp_eq_u32_e32 vcc, 7, v66
	v_fmac_f32_e32 v65, v69, v74
	v_mov_b32_e32 v66, s13
	s_or_b64 s[10:11], vcc, s[10:11]
	v_fmac_f32_e32 v65, v70, v75
	s_andn2_b64 exec, exec, s[10:11]
	s_cbranch_execnz .LBB78_89
; %bb.90:
	s_or_b64 exec, exec, s[10:11]
.LBB78_91:
	s_or_b64 exec, exec, s[0:1]
	v_and_b32_e32 v33, 7, v0
	v_cmp_ne_u32_e32 vcc, 0, v33
	s_and_saveexec_b64 s[8:9], vcc
	s_cbranch_execz .LBB78_95
; %bb.92:
	v_lshl_add_u32 v67, v66, 2, 64
	v_mov_b32_e32 v68, 0
	s_mov_b64 s[10:11], 0
.LBB78_93:                              ; =>This Inner Loop Header: Depth=1
	v_cmp_eq_u32_e32 vcc, 1, v66
	v_cndmask_b32_e32 v69, v18, v19, vcc
	v_add_u32_e32 v33, -1, v33
	v_cmp_eq_u32_e32 vcc, 2, v66
	v_cndmask_b32_e32 v69, v69, v20, vcc
	v_cmp_eq_u32_e32 vcc, 0, v33
	v_cmp_eq_u32_e64 s[0:1], 3, v66
	v_cndmask_b32_e64 v69, v69, v21, s[0:1]
	s_or_b64 s[10:11], vcc, s[10:11]
	v_cmp_eq_u32_e32 vcc, 4, v66
	v_cndmask_b32_e32 v69, v69, v22, vcc
	v_cmp_eq_u32_e32 vcc, 5, v66
	v_cndmask_b32_e32 v69, v69, v23, vcc
	;; [unrolled: 2-line block ×6, first 2 shown]
	v_cmp_eq_u32_e32 vcc, 10, v66
	ds_read_b32 v70, v67
	v_cndmask_b32_e32 v69, v69, v28, vcc
	v_cmp_eq_u32_e32 vcc, 11, v66
	v_cndmask_b32_e32 v69, v69, v29, vcc
	v_cmp_eq_u32_e32 vcc, 12, v66
	;; [unrolled: 2-line block ×4, first 2 shown]
	v_add_co_u32_e64 v66, s[0:1], 1, v66
	v_cndmask_b32_e32 v69, v69, v32, vcc
	v_add_u32_e32 v67, 4, v67
	v_addc_co_u32_e64 v68, s[0:1], 0, v68, s[0:1]
	s_waitcnt lgkmcnt(0)
	v_fmac_f32_e32 v65, v69, v70
	s_andn2_b64 exec, exec, s[10:11]
	s_cbranch_execnz .LBB78_93
; %bb.94:
	s_or_b64 exec, exec, s[10:11]
.LBB78_95:
	s_or_b64 exec, exec, s[8:9]
.LBB78_96:
	s_or_b64 exec, exec, s[6:7]
	v_mov_b32_e32 v25, 0
	ds_read_b32 v25, v25 offset:28
	s_waitcnt lgkmcnt(0)
	v_mul_f32_e32 v25, v65, v25
.LBB78_97:
	s_or_b64 exec, exec, s[4:5]
	v_cmp_lt_u32_e64 s[0:1], 6, v0
	ds_write_b32 v64, v24
	s_waitcnt lgkmcnt(0)
	; wave barrier
	s_and_saveexec_b64 s[4:5], s[0:1]
	s_cbranch_execz .LBB78_113
; %bb.98:
	s_andn2_b64 vcc, exec, s[30:31]
	s_cbranch_vccnz .LBB78_100
; %bb.99:
	v_cmp_eq_u32_e32 vcc, 1, v0
	v_cndmask_b32_e32 v65, v18, v19, vcc
	v_cmp_eq_u32_e32 vcc, 2, v0
	v_cndmask_b32_e32 v65, v65, v20, vcc
	;; [unrolled: 2-line block ×10, first 2 shown]
	v_cmp_eq_u32_e32 vcc, 11, v0
	ds_read_b32 v66, v64
	v_cndmask_b32_e32 v65, v65, v29, vcc
	v_cmp_eq_u32_e32 vcc, 12, v0
	v_cndmask_b32_e32 v65, v65, v30, vcc
	v_cmp_eq_u32_e32 vcc, 13, v0
	;; [unrolled: 2-line block ×3, first 2 shown]
	v_cndmask_b32_e32 v65, v65, v32, vcc
	s_waitcnt lgkmcnt(0)
	v_mul_f32_e32 v65, v65, v66
	s_cbranch_execz .LBB78_101
	s_branch .LBB78_102
.LBB78_100:
                                        ; implicit-def: $vgpr65
.LBB78_101:
	ds_read_b32 v65, v64
.LBB78_102:
	s_and_saveexec_b64 s[6:7], s[2:3]
	s_cbranch_execz .LBB78_112
; %bb.103:
	v_add_u32_e32 v66, -8, v0
	v_add_u32_e32 v67, -7, v0
	v_cmp_lt_u32_e32 vcc, 6, v66
	v_mov_b32_e32 v66, 7
	s_and_saveexec_b64 s[2:3], vcc
	s_cbranch_execz .LBB78_107
; %bb.104:
	v_and_b32_e32 v66, -8, v67
	v_sub_u32_e32 v68, 0, v66
	s_mov_b64 s[8:9], 14
	s_movk_i32 s12, 0x5c
	s_mov_b64 s[10:11], 0
.LBB78_105:                             ; =>This Inner Loop Header: Depth=1
	s_add_i32 s13, s8, -7
	v_mov_b32_e32 v66, s12
	s_add_i32 s14, s8, -6
	s_set_gpr_idx_on s13, gpr_idx(SRC0)
	v_mov_b32_e32 v75, v18
	s_set_gpr_idx_off
	ds_read2_b32 v[69:70], v66 offset1:1
	s_add_i32 s15, s8, -5
	s_set_gpr_idx_on s14, gpr_idx(SRC0)
	v_mov_b32_e32 v76, v18
	s_set_gpr_idx_off
	s_add_i32 s16, s8, -4
	s_set_gpr_idx_on s15, gpr_idx(SRC0)
	v_mov_b32_e32 v77, v18
	s_set_gpr_idx_off
	ds_read2_b32 v[71:72], v66 offset0:2 offset1:3
	s_add_i32 s17, s8, -3
	s_set_gpr_idx_on s16, gpr_idx(SRC0)
	v_mov_b32_e32 v78, v18
	s_set_gpr_idx_off
	s_add_i32 s18, s8, -2
	s_set_gpr_idx_on s17, gpr_idx(SRC0)
	v_mov_b32_e32 v79, v18
	s_set_gpr_idx_off
	ds_read2_b32 v[73:74], v66 offset0:4 offset1:5
	s_add_i32 s19, s8, -1
	s_waitcnt lgkmcnt(2)
	v_fmac_f32_e32 v65, v75, v69
	s_set_gpr_idx_on s18, gpr_idx(SRC0)
	v_mov_b32_e32 v75, v18
	s_set_gpr_idx_off
	v_fmac_f32_e32 v65, v76, v70
	s_set_gpr_idx_on s19, gpr_idx(SRC0)
	v_mov_b32_e32 v76, v18
	s_set_gpr_idx_off
	ds_read2_b32 v[69:70], v66 offset0:6 offset1:7
	s_waitcnt lgkmcnt(2)
	v_fmac_f32_e32 v65, v77, v71
	s_set_gpr_idx_on s8, gpr_idx(SRC0)
	v_mov_b32_e32 v71, v18
	s_set_gpr_idx_off
	v_fmac_f32_e32 v65, v78, v72
	s_add_u32 s8, s8, 8
	s_waitcnt lgkmcnt(1)
	v_fmac_f32_e32 v65, v79, v73
	v_add_u32_e32 v66, s8, v68
	v_fmac_f32_e32 v65, v75, v74
	s_addc_u32 s9, s9, 0
	s_add_i32 s12, s12, 32
	s_add_i32 s13, s8, -7
	v_cmp_eq_u32_e32 vcc, 14, v66
	s_waitcnt lgkmcnt(0)
	v_fmac_f32_e32 v65, v76, v69
	v_mov_b32_e32 v66, s13
	s_or_b64 s[10:11], vcc, s[10:11]
	v_fmac_f32_e32 v65, v71, v70
	s_andn2_b64 exec, exec, s[10:11]
	s_cbranch_execnz .LBB78_105
; %bb.106:
	s_or_b64 exec, exec, s[10:11]
.LBB78_107:
	s_or_b64 exec, exec, s[2:3]
	v_and_b32_e32 v33, 7, v67
	v_cmp_ne_u32_e32 vcc, 0, v33
	s_and_saveexec_b64 s[8:9], vcc
	s_cbranch_execz .LBB78_111
; %bb.108:
	v_lshl_add_u32 v67, v66, 2, 64
	v_mov_b32_e32 v68, 0
	s_mov_b64 s[10:11], 0
.LBB78_109:                             ; =>This Inner Loop Header: Depth=1
	v_cmp_eq_u32_e32 vcc, 1, v66
	v_cndmask_b32_e32 v69, v18, v19, vcc
	v_add_u32_e32 v33, -1, v33
	v_cmp_eq_u32_e32 vcc, 2, v66
	v_cndmask_b32_e32 v69, v69, v20, vcc
	v_cmp_eq_u32_e32 vcc, 0, v33
	v_cmp_eq_u32_e64 s[2:3], 3, v66
	v_cndmask_b32_e64 v69, v69, v21, s[2:3]
	s_or_b64 s[10:11], vcc, s[10:11]
	v_cmp_eq_u32_e32 vcc, 4, v66
	v_cndmask_b32_e32 v69, v69, v22, vcc
	v_cmp_eq_u32_e32 vcc, 5, v66
	v_cndmask_b32_e32 v69, v69, v23, vcc
	;; [unrolled: 2-line block ×6, first 2 shown]
	v_cmp_eq_u32_e32 vcc, 10, v66
	ds_read_b32 v70, v67
	v_cndmask_b32_e32 v69, v69, v28, vcc
	v_cmp_eq_u32_e32 vcc, 11, v66
	v_cndmask_b32_e32 v69, v69, v29, vcc
	v_cmp_eq_u32_e32 vcc, 12, v66
	;; [unrolled: 2-line block ×4, first 2 shown]
	v_add_co_u32_e64 v66, s[2:3], 1, v66
	v_cndmask_b32_e32 v69, v69, v32, vcc
	v_add_u32_e32 v67, 4, v67
	v_addc_co_u32_e64 v68, s[2:3], 0, v68, s[2:3]
	s_waitcnt lgkmcnt(0)
	v_fmac_f32_e32 v65, v69, v70
	s_andn2_b64 exec, exec, s[10:11]
	s_cbranch_execnz .LBB78_109
; %bb.110:
	s_or_b64 exec, exec, s[10:11]
.LBB78_111:
	s_or_b64 exec, exec, s[8:9]
.LBB78_112:
	s_or_b64 exec, exec, s[6:7]
	v_mov_b32_e32 v24, 0
	ds_read_b32 v24, v24 offset:24
	s_waitcnt lgkmcnt(0)
	v_mul_f32_e32 v24, v65, v24
.LBB78_113:
	s_or_b64 exec, exec, s[4:5]
	v_cmp_lt_u32_e64 s[2:3], 5, v0
	ds_write_b32 v64, v23
	s_waitcnt lgkmcnt(0)
	; wave barrier
	s_and_saveexec_b64 s[4:5], s[2:3]
	s_cbranch_execz .LBB78_129
; %bb.114:
	s_andn2_b64 vcc, exec, s[30:31]
	s_cbranch_vccnz .LBB78_116
; %bb.115:
	v_cmp_eq_u32_e32 vcc, 1, v0
	v_cndmask_b32_e32 v65, v18, v19, vcc
	v_cmp_eq_u32_e32 vcc, 2, v0
	v_cndmask_b32_e32 v65, v65, v20, vcc
	;; [unrolled: 2-line block ×10, first 2 shown]
	v_cmp_eq_u32_e32 vcc, 11, v0
	ds_read_b32 v66, v64
	v_cndmask_b32_e32 v65, v65, v29, vcc
	v_cmp_eq_u32_e32 vcc, 12, v0
	v_cndmask_b32_e32 v65, v65, v30, vcc
	v_cmp_eq_u32_e32 vcc, 13, v0
	;; [unrolled: 2-line block ×3, first 2 shown]
	v_cndmask_b32_e32 v65, v65, v32, vcc
	s_waitcnt lgkmcnt(0)
	v_mul_f32_e32 v65, v65, v66
	s_cbranch_execz .LBB78_117
	s_branch .LBB78_118
.LBB78_116:
                                        ; implicit-def: $vgpr65
.LBB78_117:
	ds_read_b32 v65, v64
.LBB78_118:
	s_and_saveexec_b64 s[6:7], s[0:1]
	s_cbranch_execz .LBB78_128
; %bb.119:
	v_add_u32_e32 v68, -7, v0
	v_add_u32_e32 v67, -6, v0
	v_mov_b32_e32 v66, 6
	v_cmp_lt_u32_e32 vcc, 6, v68
	s_and_saveexec_b64 s[0:1], vcc
	s_cbranch_execz .LBB78_123
; %bb.120:
	v_and_b32_e32 v66, -8, v67
	v_sub_u32_e32 v68, 0, v66
	s_mov_b64 s[8:9], 13
	s_movk_i32 s12, 0x58
	s_mov_b64 s[10:11], 0
.LBB78_121:                             ; =>This Inner Loop Header: Depth=1
	s_add_i32 s13, s8, -7
	v_mov_b32_e32 v66, s12
	s_add_i32 s14, s8, -6
	s_set_gpr_idx_on s13, gpr_idx(SRC0)
	v_mov_b32_e32 v77, v18
	s_set_gpr_idx_off
	ds_read2_b64 v[69:72], v66 offset1:1
	s_add_i32 s15, s8, -5
	s_set_gpr_idx_on s14, gpr_idx(SRC0)
	v_mov_b32_e32 v78, v18
	s_set_gpr_idx_off
	s_add_i32 s16, s8, -4
	s_set_gpr_idx_on s15, gpr_idx(SRC0)
	v_mov_b32_e32 v79, v18
	s_set_gpr_idx_off
	;; [unrolled: 4-line block ×4, first 2 shown]
	ds_read2_b64 v[73:76], v66 offset0:2 offset1:3
	s_add_i32 s19, s8, -1
	s_waitcnt lgkmcnt(1)
	v_fmac_f32_e32 v65, v77, v69
	s_set_gpr_idx_on s18, gpr_idx(SRC0)
	v_mov_b32_e32 v69, v18
	s_set_gpr_idx_off
	v_fmac_f32_e32 v65, v78, v70
	s_set_gpr_idx_on s19, gpr_idx(SRC0)
	v_mov_b32_e32 v70, v18
	s_set_gpr_idx_off
	v_fmac_f32_e32 v65, v79, v71
	s_set_gpr_idx_on s8, gpr_idx(SRC0)
	v_mov_b32_e32 v71, v18
	s_set_gpr_idx_off
	v_fmac_f32_e32 v65, v80, v72
	s_add_u32 s8, s8, 8
	s_waitcnt lgkmcnt(0)
	v_fmac_f32_e32 v65, v81, v73
	v_add_u32_e32 v66, s8, v68
	v_fmac_f32_e32 v65, v69, v74
	s_addc_u32 s9, s9, 0
	s_add_i32 s12, s12, 32
	s_add_i32 s13, s8, -7
	v_cmp_eq_u32_e32 vcc, 13, v66
	v_fmac_f32_e32 v65, v70, v75
	v_mov_b32_e32 v66, s13
	s_or_b64 s[10:11], vcc, s[10:11]
	v_fmac_f32_e32 v65, v71, v76
	s_andn2_b64 exec, exec, s[10:11]
	s_cbranch_execnz .LBB78_121
; %bb.122:
	s_or_b64 exec, exec, s[10:11]
.LBB78_123:
	s_or_b64 exec, exec, s[0:1]
	v_and_b32_e32 v33, 7, v67
	v_cmp_ne_u32_e32 vcc, 0, v33
	s_and_saveexec_b64 s[8:9], vcc
	s_cbranch_execz .LBB78_127
; %bb.124:
	v_lshl_add_u32 v67, v66, 2, 64
	v_mov_b32_e32 v68, 0
	s_mov_b64 s[10:11], 0
.LBB78_125:                             ; =>This Inner Loop Header: Depth=1
	v_cmp_eq_u32_e32 vcc, 1, v66
	v_cndmask_b32_e32 v69, v18, v19, vcc
	v_add_u32_e32 v33, -1, v33
	v_cmp_eq_u32_e32 vcc, 2, v66
	v_cndmask_b32_e32 v69, v69, v20, vcc
	v_cmp_eq_u32_e32 vcc, 0, v33
	v_cmp_eq_u32_e64 s[0:1], 3, v66
	v_cndmask_b32_e64 v69, v69, v21, s[0:1]
	s_or_b64 s[10:11], vcc, s[10:11]
	v_cmp_eq_u32_e32 vcc, 4, v66
	v_cndmask_b32_e32 v69, v69, v22, vcc
	v_cmp_eq_u32_e32 vcc, 5, v66
	v_cndmask_b32_e32 v69, v69, v23, vcc
	;; [unrolled: 2-line block ×6, first 2 shown]
	v_cmp_eq_u32_e32 vcc, 10, v66
	ds_read_b32 v70, v67
	v_cndmask_b32_e32 v69, v69, v28, vcc
	v_cmp_eq_u32_e32 vcc, 11, v66
	v_cndmask_b32_e32 v69, v69, v29, vcc
	v_cmp_eq_u32_e32 vcc, 12, v66
	;; [unrolled: 2-line block ×4, first 2 shown]
	v_add_co_u32_e64 v66, s[0:1], 1, v66
	v_cndmask_b32_e32 v69, v69, v32, vcc
	v_add_u32_e32 v67, 4, v67
	v_addc_co_u32_e64 v68, s[0:1], 0, v68, s[0:1]
	s_waitcnt lgkmcnt(0)
	v_fmac_f32_e32 v65, v69, v70
	s_andn2_b64 exec, exec, s[10:11]
	s_cbranch_execnz .LBB78_125
; %bb.126:
	s_or_b64 exec, exec, s[10:11]
.LBB78_127:
	s_or_b64 exec, exec, s[8:9]
.LBB78_128:
	s_or_b64 exec, exec, s[6:7]
	v_mov_b32_e32 v23, 0
	ds_read_b32 v23, v23 offset:20
	s_waitcnt lgkmcnt(0)
	v_mul_f32_e32 v23, v65, v23
.LBB78_129:
	s_or_b64 exec, exec, s[4:5]
	v_cmp_lt_u32_e64 s[0:1], 4, v0
	ds_write_b32 v64, v22
	s_waitcnt lgkmcnt(0)
	; wave barrier
	s_and_saveexec_b64 s[4:5], s[0:1]
	s_cbranch_execz .LBB78_145
; %bb.130:
	s_andn2_b64 vcc, exec, s[30:31]
	s_cbranch_vccnz .LBB78_132
; %bb.131:
	v_cmp_eq_u32_e32 vcc, 1, v0
	v_cndmask_b32_e32 v65, v18, v19, vcc
	v_cmp_eq_u32_e32 vcc, 2, v0
	v_cndmask_b32_e32 v65, v65, v20, vcc
	;; [unrolled: 2-line block ×10, first 2 shown]
	v_cmp_eq_u32_e32 vcc, 11, v0
	ds_read_b32 v66, v64
	v_cndmask_b32_e32 v65, v65, v29, vcc
	v_cmp_eq_u32_e32 vcc, 12, v0
	v_cndmask_b32_e32 v65, v65, v30, vcc
	v_cmp_eq_u32_e32 vcc, 13, v0
	;; [unrolled: 2-line block ×3, first 2 shown]
	v_cndmask_b32_e32 v65, v65, v32, vcc
	s_waitcnt lgkmcnt(0)
	v_mul_f32_e32 v65, v65, v66
	s_cbranch_execz .LBB78_133
	s_branch .LBB78_134
.LBB78_132:
                                        ; implicit-def: $vgpr65
.LBB78_133:
	ds_read_b32 v65, v64
.LBB78_134:
	s_and_saveexec_b64 s[6:7], s[2:3]
	s_cbranch_execz .LBB78_144
; %bb.135:
	v_add_u32_e32 v66, -6, v0
	v_add_u32_e32 v67, -5, v0
	v_cmp_lt_u32_e32 vcc, 6, v66
	v_mov_b32_e32 v66, 5
	s_and_saveexec_b64 s[2:3], vcc
	s_cbranch_execz .LBB78_139
; %bb.136:
	v_and_b32_e32 v66, -8, v67
	v_sub_u32_e32 v68, 0, v66
	s_mov_b64 s[8:9], 12
	s_movk_i32 s12, 0x54
	s_mov_b64 s[10:11], 0
.LBB78_137:                             ; =>This Inner Loop Header: Depth=1
	s_add_i32 s13, s8, -7
	v_mov_b32_e32 v66, s12
	s_add_i32 s14, s8, -6
	s_set_gpr_idx_on s13, gpr_idx(SRC0)
	v_mov_b32_e32 v75, v18
	s_set_gpr_idx_off
	ds_read2_b32 v[69:70], v66 offset1:1
	s_add_i32 s15, s8, -5
	s_set_gpr_idx_on s14, gpr_idx(SRC0)
	v_mov_b32_e32 v76, v18
	s_set_gpr_idx_off
	s_add_i32 s16, s8, -4
	s_set_gpr_idx_on s15, gpr_idx(SRC0)
	v_mov_b32_e32 v77, v18
	s_set_gpr_idx_off
	ds_read2_b32 v[71:72], v66 offset0:2 offset1:3
	s_add_i32 s17, s8, -3
	s_set_gpr_idx_on s16, gpr_idx(SRC0)
	v_mov_b32_e32 v78, v18
	s_set_gpr_idx_off
	s_add_i32 s18, s8, -2
	s_set_gpr_idx_on s17, gpr_idx(SRC0)
	v_mov_b32_e32 v79, v18
	s_set_gpr_idx_off
	ds_read2_b32 v[73:74], v66 offset0:4 offset1:5
	s_add_i32 s19, s8, -1
	s_waitcnt lgkmcnt(2)
	v_fmac_f32_e32 v65, v75, v69
	s_set_gpr_idx_on s18, gpr_idx(SRC0)
	v_mov_b32_e32 v75, v18
	s_set_gpr_idx_off
	v_fmac_f32_e32 v65, v76, v70
	s_set_gpr_idx_on s19, gpr_idx(SRC0)
	v_mov_b32_e32 v76, v18
	s_set_gpr_idx_off
	ds_read2_b32 v[69:70], v66 offset0:6 offset1:7
	s_waitcnt lgkmcnt(2)
	v_fmac_f32_e32 v65, v77, v71
	s_set_gpr_idx_on s8, gpr_idx(SRC0)
	v_mov_b32_e32 v71, v18
	s_set_gpr_idx_off
	v_fmac_f32_e32 v65, v78, v72
	s_add_u32 s8, s8, 8
	s_waitcnt lgkmcnt(1)
	v_fmac_f32_e32 v65, v79, v73
	v_add_u32_e32 v66, s8, v68
	v_fmac_f32_e32 v65, v75, v74
	s_addc_u32 s9, s9, 0
	s_add_i32 s12, s12, 32
	s_add_i32 s13, s8, -7
	v_cmp_eq_u32_e32 vcc, 12, v66
	s_waitcnt lgkmcnt(0)
	v_fmac_f32_e32 v65, v76, v69
	v_mov_b32_e32 v66, s13
	s_or_b64 s[10:11], vcc, s[10:11]
	v_fmac_f32_e32 v65, v71, v70
	s_andn2_b64 exec, exec, s[10:11]
	s_cbranch_execnz .LBB78_137
; %bb.138:
	s_or_b64 exec, exec, s[10:11]
.LBB78_139:
	s_or_b64 exec, exec, s[2:3]
	v_and_b32_e32 v33, 7, v67
	v_cmp_ne_u32_e32 vcc, 0, v33
	s_and_saveexec_b64 s[8:9], vcc
	s_cbranch_execz .LBB78_143
; %bb.140:
	v_lshl_add_u32 v67, v66, 2, 64
	v_mov_b32_e32 v68, 0
	s_mov_b64 s[10:11], 0
.LBB78_141:                             ; =>This Inner Loop Header: Depth=1
	v_cmp_eq_u32_e32 vcc, 1, v66
	v_cndmask_b32_e32 v69, v18, v19, vcc
	v_add_u32_e32 v33, -1, v33
	v_cmp_eq_u32_e32 vcc, 2, v66
	v_cndmask_b32_e32 v69, v69, v20, vcc
	v_cmp_eq_u32_e32 vcc, 0, v33
	v_cmp_eq_u32_e64 s[2:3], 3, v66
	v_cndmask_b32_e64 v69, v69, v21, s[2:3]
	s_or_b64 s[10:11], vcc, s[10:11]
	v_cmp_eq_u32_e32 vcc, 4, v66
	v_cndmask_b32_e32 v69, v69, v22, vcc
	v_cmp_eq_u32_e32 vcc, 5, v66
	v_cndmask_b32_e32 v69, v69, v23, vcc
	v_cmp_eq_u32_e32 vcc, 6, v66
	v_cndmask_b32_e32 v69, v69, v24, vcc
	v_cmp_eq_u32_e32 vcc, 7, v66
	v_cndmask_b32_e32 v69, v69, v25, vcc
	v_cmp_eq_u32_e32 vcc, 8, v66
	v_cndmask_b32_e32 v69, v69, v26, vcc
	v_cmp_eq_u32_e32 vcc, 9, v66
	v_cndmask_b32_e32 v69, v69, v27, vcc
	v_cmp_eq_u32_e32 vcc, 10, v66
	ds_read_b32 v70, v67
	v_cndmask_b32_e32 v69, v69, v28, vcc
	v_cmp_eq_u32_e32 vcc, 11, v66
	v_cndmask_b32_e32 v69, v69, v29, vcc
	v_cmp_eq_u32_e32 vcc, 12, v66
	;; [unrolled: 2-line block ×4, first 2 shown]
	v_add_co_u32_e64 v66, s[2:3], 1, v66
	v_cndmask_b32_e32 v69, v69, v32, vcc
	v_add_u32_e32 v67, 4, v67
	v_addc_co_u32_e64 v68, s[2:3], 0, v68, s[2:3]
	s_waitcnt lgkmcnt(0)
	v_fmac_f32_e32 v65, v69, v70
	s_andn2_b64 exec, exec, s[10:11]
	s_cbranch_execnz .LBB78_141
; %bb.142:
	s_or_b64 exec, exec, s[10:11]
.LBB78_143:
	s_or_b64 exec, exec, s[8:9]
.LBB78_144:
	s_or_b64 exec, exec, s[6:7]
	v_mov_b32_e32 v22, 0
	ds_read_b32 v22, v22 offset:16
	s_waitcnt lgkmcnt(0)
	v_mul_f32_e32 v22, v65, v22
.LBB78_145:
	s_or_b64 exec, exec, s[4:5]
	v_cmp_lt_u32_e64 s[2:3], 3, v0
	ds_write_b32 v64, v21
	s_waitcnt lgkmcnt(0)
	; wave barrier
	s_and_saveexec_b64 s[4:5], s[2:3]
	s_cbranch_execz .LBB78_161
; %bb.146:
	s_andn2_b64 vcc, exec, s[30:31]
	s_cbranch_vccnz .LBB78_148
; %bb.147:
	v_cmp_eq_u32_e32 vcc, 1, v0
	v_cndmask_b32_e32 v65, v18, v19, vcc
	v_cmp_eq_u32_e32 vcc, 2, v0
	v_cndmask_b32_e32 v65, v65, v20, vcc
	;; [unrolled: 2-line block ×10, first 2 shown]
	v_cmp_eq_u32_e32 vcc, 11, v0
	ds_read_b32 v66, v64
	v_cndmask_b32_e32 v65, v65, v29, vcc
	v_cmp_eq_u32_e32 vcc, 12, v0
	v_cndmask_b32_e32 v65, v65, v30, vcc
	v_cmp_eq_u32_e32 vcc, 13, v0
	;; [unrolled: 2-line block ×3, first 2 shown]
	v_cndmask_b32_e32 v65, v65, v32, vcc
	s_waitcnt lgkmcnt(0)
	v_mul_f32_e32 v65, v65, v66
	s_cbranch_execz .LBB78_149
	s_branch .LBB78_150
.LBB78_148:
                                        ; implicit-def: $vgpr65
.LBB78_149:
	ds_read_b32 v65, v64
.LBB78_150:
	s_and_saveexec_b64 s[6:7], s[0:1]
	s_cbranch_execz .LBB78_160
; %bb.151:
	v_add_u32_e32 v66, -5, v0
	v_add_u32_e32 v67, -4, v0
	v_cmp_lt_u32_e32 vcc, 6, v66
	v_mov_b32_e32 v66, 4
	s_and_saveexec_b64 s[0:1], vcc
	s_cbranch_execz .LBB78_155
; %bb.152:
	v_and_b32_e32 v66, -8, v67
	v_sub_u32_e32 v68, 0, v66
	s_mov_b64 s[8:9], 5
	s_movk_i32 s12, 0x50
	s_mov_b64 s[10:11], 0
.LBB78_153:                             ; =>This Inner Loop Header: Depth=1
	s_add_i32 s13, s8, -1
	v_mov_b32_e32 v66, s12
	s_set_gpr_idx_on s13, gpr_idx(SRC0)
	v_mov_b32_e32 v77, v18
	s_set_gpr_idx_off
	s_add_i32 s14, s8, 1
	ds_read_b128 v[69:72], v66
	ds_read_b128 v[73:76], v66 offset:16
	s_set_gpr_idx_on s8, gpr_idx(SRC0)
	v_mov_b32_e32 v78, v18
	s_set_gpr_idx_off
	s_add_i32 s15, s8, 2
	s_set_gpr_idx_on s14, gpr_idx(SRC0)
	v_mov_b32_e32 v79, v18
	s_set_gpr_idx_off
	s_add_i32 s16, s8, 3
	;; [unrolled: 4-line block ×4, first 2 shown]
	s_waitcnt lgkmcnt(1)
	v_fmac_f32_e32 v65, v77, v69
	s_set_gpr_idx_on s17, gpr_idx(SRC0)
	v_mov_b32_e32 v69, v18
	s_set_gpr_idx_off
	s_add_i32 s19, s8, 6
	v_fmac_f32_e32 v65, v78, v70
	s_set_gpr_idx_on s18, gpr_idx(SRC0)
	v_mov_b32_e32 v70, v18
	s_set_gpr_idx_off
	v_fmac_f32_e32 v65, v79, v71
	s_set_gpr_idx_on s19, gpr_idx(SRC0)
	v_mov_b32_e32 v71, v18
	s_set_gpr_idx_off
	v_fmac_f32_e32 v65, v80, v72
	s_add_u32 s8, s8, 8
	s_waitcnt lgkmcnt(0)
	v_fmac_f32_e32 v65, v81, v73
	v_add_u32_e32 v66, s8, v68
	v_fmac_f32_e32 v65, v69, v74
	s_addc_u32 s9, s9, 0
	s_add_i32 s12, s12, 32
	s_add_i32 s13, s8, -1
	v_cmp_eq_u32_e32 vcc, 5, v66
	v_fmac_f32_e32 v65, v70, v75
	v_mov_b32_e32 v66, s13
	s_or_b64 s[10:11], vcc, s[10:11]
	v_fmac_f32_e32 v65, v71, v76
	s_andn2_b64 exec, exec, s[10:11]
	s_cbranch_execnz .LBB78_153
; %bb.154:
	s_or_b64 exec, exec, s[10:11]
.LBB78_155:
	s_or_b64 exec, exec, s[0:1]
	v_and_b32_e32 v33, 7, v67
	v_cmp_ne_u32_e32 vcc, 0, v33
	s_and_saveexec_b64 s[8:9], vcc
	s_cbranch_execz .LBB78_159
; %bb.156:
	v_lshl_add_u32 v67, v66, 2, 64
	v_mov_b32_e32 v68, 0
	s_mov_b64 s[10:11], 0
.LBB78_157:                             ; =>This Inner Loop Header: Depth=1
	v_cmp_eq_u32_e32 vcc, 1, v66
	v_cndmask_b32_e32 v69, v18, v19, vcc
	v_add_u32_e32 v33, -1, v33
	v_cmp_eq_u32_e32 vcc, 2, v66
	v_cndmask_b32_e32 v69, v69, v20, vcc
	v_cmp_eq_u32_e32 vcc, 0, v33
	v_cmp_eq_u32_e64 s[0:1], 3, v66
	v_cndmask_b32_e64 v69, v69, v21, s[0:1]
	s_or_b64 s[10:11], vcc, s[10:11]
	v_cmp_eq_u32_e32 vcc, 4, v66
	v_cndmask_b32_e32 v69, v69, v22, vcc
	v_cmp_eq_u32_e32 vcc, 5, v66
	v_cndmask_b32_e32 v69, v69, v23, vcc
	;; [unrolled: 2-line block ×6, first 2 shown]
	v_cmp_eq_u32_e32 vcc, 10, v66
	ds_read_b32 v70, v67
	v_cndmask_b32_e32 v69, v69, v28, vcc
	v_cmp_eq_u32_e32 vcc, 11, v66
	v_cndmask_b32_e32 v69, v69, v29, vcc
	v_cmp_eq_u32_e32 vcc, 12, v66
	;; [unrolled: 2-line block ×4, first 2 shown]
	v_add_co_u32_e64 v66, s[0:1], 1, v66
	v_cndmask_b32_e32 v69, v69, v32, vcc
	v_add_u32_e32 v67, 4, v67
	v_addc_co_u32_e64 v68, s[0:1], 0, v68, s[0:1]
	s_waitcnt lgkmcnt(0)
	v_fmac_f32_e32 v65, v69, v70
	s_andn2_b64 exec, exec, s[10:11]
	s_cbranch_execnz .LBB78_157
; %bb.158:
	s_or_b64 exec, exec, s[10:11]
.LBB78_159:
	s_or_b64 exec, exec, s[8:9]
.LBB78_160:
	s_or_b64 exec, exec, s[6:7]
	v_mov_b32_e32 v21, 0
	ds_read_b32 v21, v21 offset:12
	s_waitcnt lgkmcnt(0)
	v_mul_f32_e32 v21, v65, v21
.LBB78_161:
	s_or_b64 exec, exec, s[4:5]
	v_cmp_lt_u32_e64 s[0:1], 2, v0
	ds_write_b32 v64, v20
	s_waitcnt lgkmcnt(0)
	; wave barrier
	s_and_saveexec_b64 s[4:5], s[0:1]
	s_cbranch_execz .LBB78_177
; %bb.162:
	s_andn2_b64 vcc, exec, s[30:31]
	s_cbranch_vccnz .LBB78_164
; %bb.163:
	v_cmp_eq_u32_e32 vcc, 1, v0
	v_cndmask_b32_e32 v65, v18, v19, vcc
	v_cmp_eq_u32_e32 vcc, 2, v0
	v_cndmask_b32_e32 v65, v65, v20, vcc
	;; [unrolled: 2-line block ×10, first 2 shown]
	v_cmp_eq_u32_e32 vcc, 11, v0
	ds_read_b32 v66, v64
	v_cndmask_b32_e32 v65, v65, v29, vcc
	v_cmp_eq_u32_e32 vcc, 12, v0
	v_cndmask_b32_e32 v65, v65, v30, vcc
	v_cmp_eq_u32_e32 vcc, 13, v0
	;; [unrolled: 2-line block ×3, first 2 shown]
	v_cndmask_b32_e32 v65, v65, v32, vcc
	s_waitcnt lgkmcnt(0)
	v_mul_f32_e32 v65, v65, v66
	s_cbranch_execz .LBB78_165
	s_branch .LBB78_166
.LBB78_164:
                                        ; implicit-def: $vgpr65
.LBB78_165:
	ds_read_b32 v65, v64
.LBB78_166:
	s_and_saveexec_b64 s[6:7], s[2:3]
	s_cbranch_execz .LBB78_176
; %bb.167:
	v_add_u32_e32 v66, -4, v0
	v_add_u32_e32 v67, -3, v0
	v_cmp_lt_u32_e32 vcc, 6, v66
	v_mov_b32_e32 v66, 3
	s_and_saveexec_b64 s[2:3], vcc
	s_cbranch_execz .LBB78_171
; %bb.168:
	v_and_b32_e32 v66, -8, v67
	v_sub_u32_e32 v68, 0, v66
	s_mov_b64 s[8:9], 10
	s_movk_i32 s12, 0x4c
	s_mov_b64 s[10:11], 0
.LBB78_169:                             ; =>This Inner Loop Header: Depth=1
	s_add_i32 s13, s8, -7
	v_mov_b32_e32 v66, s12
	s_add_i32 s14, s8, -6
	s_set_gpr_idx_on s13, gpr_idx(SRC0)
	v_mov_b32_e32 v75, v18
	s_set_gpr_idx_off
	ds_read2_b32 v[69:70], v66 offset1:1
	s_add_i32 s15, s8, -5
	s_set_gpr_idx_on s14, gpr_idx(SRC0)
	v_mov_b32_e32 v76, v18
	s_set_gpr_idx_off
	s_add_i32 s16, s8, -4
	s_set_gpr_idx_on s15, gpr_idx(SRC0)
	v_mov_b32_e32 v77, v18
	s_set_gpr_idx_off
	ds_read2_b32 v[71:72], v66 offset0:2 offset1:3
	s_add_i32 s17, s8, -3
	s_set_gpr_idx_on s16, gpr_idx(SRC0)
	v_mov_b32_e32 v78, v18
	s_set_gpr_idx_off
	s_add_i32 s18, s8, -2
	s_set_gpr_idx_on s17, gpr_idx(SRC0)
	v_mov_b32_e32 v79, v18
	s_set_gpr_idx_off
	ds_read2_b32 v[73:74], v66 offset0:4 offset1:5
	s_add_i32 s19, s8, -1
	s_waitcnt lgkmcnt(2)
	v_fmac_f32_e32 v65, v75, v69
	s_set_gpr_idx_on s18, gpr_idx(SRC0)
	v_mov_b32_e32 v75, v18
	s_set_gpr_idx_off
	v_fmac_f32_e32 v65, v76, v70
	s_set_gpr_idx_on s19, gpr_idx(SRC0)
	v_mov_b32_e32 v76, v18
	s_set_gpr_idx_off
	ds_read2_b32 v[69:70], v66 offset0:6 offset1:7
	s_waitcnt lgkmcnt(2)
	v_fmac_f32_e32 v65, v77, v71
	s_set_gpr_idx_on s8, gpr_idx(SRC0)
	v_mov_b32_e32 v71, v18
	s_set_gpr_idx_off
	v_fmac_f32_e32 v65, v78, v72
	s_add_u32 s8, s8, 8
	s_waitcnt lgkmcnt(1)
	v_fmac_f32_e32 v65, v79, v73
	v_add_u32_e32 v66, s8, v68
	v_fmac_f32_e32 v65, v75, v74
	s_addc_u32 s9, s9, 0
	s_add_i32 s12, s12, 32
	s_add_i32 s13, s8, -7
	v_cmp_eq_u32_e32 vcc, 10, v66
	s_waitcnt lgkmcnt(0)
	v_fmac_f32_e32 v65, v76, v69
	v_mov_b32_e32 v66, s13
	s_or_b64 s[10:11], vcc, s[10:11]
	v_fmac_f32_e32 v65, v71, v70
	s_andn2_b64 exec, exec, s[10:11]
	s_cbranch_execnz .LBB78_169
; %bb.170:
	s_or_b64 exec, exec, s[10:11]
.LBB78_171:
	s_or_b64 exec, exec, s[2:3]
	v_and_b32_e32 v33, 7, v67
	v_cmp_ne_u32_e32 vcc, 0, v33
	s_and_saveexec_b64 s[8:9], vcc
	s_cbranch_execz .LBB78_175
; %bb.172:
	v_lshl_add_u32 v67, v66, 2, 64
	v_mov_b32_e32 v68, 0
	s_mov_b64 s[10:11], 0
.LBB78_173:                             ; =>This Inner Loop Header: Depth=1
	v_cmp_eq_u32_e32 vcc, 1, v66
	v_cndmask_b32_e32 v69, v18, v19, vcc
	v_add_u32_e32 v33, -1, v33
	v_cmp_eq_u32_e32 vcc, 2, v66
	v_cndmask_b32_e32 v69, v69, v20, vcc
	v_cmp_eq_u32_e32 vcc, 0, v33
	v_cmp_eq_u32_e64 s[2:3], 3, v66
	v_cndmask_b32_e64 v69, v69, v21, s[2:3]
	s_or_b64 s[10:11], vcc, s[10:11]
	v_cmp_eq_u32_e32 vcc, 4, v66
	v_cndmask_b32_e32 v69, v69, v22, vcc
	v_cmp_eq_u32_e32 vcc, 5, v66
	v_cndmask_b32_e32 v69, v69, v23, vcc
	;; [unrolled: 2-line block ×6, first 2 shown]
	v_cmp_eq_u32_e32 vcc, 10, v66
	ds_read_b32 v70, v67
	v_cndmask_b32_e32 v69, v69, v28, vcc
	v_cmp_eq_u32_e32 vcc, 11, v66
	v_cndmask_b32_e32 v69, v69, v29, vcc
	v_cmp_eq_u32_e32 vcc, 12, v66
	;; [unrolled: 2-line block ×4, first 2 shown]
	v_add_co_u32_e64 v66, s[2:3], 1, v66
	v_cndmask_b32_e32 v69, v69, v32, vcc
	v_add_u32_e32 v67, 4, v67
	v_addc_co_u32_e64 v68, s[2:3], 0, v68, s[2:3]
	s_waitcnt lgkmcnt(0)
	v_fmac_f32_e32 v65, v69, v70
	s_andn2_b64 exec, exec, s[10:11]
	s_cbranch_execnz .LBB78_173
; %bb.174:
	s_or_b64 exec, exec, s[10:11]
.LBB78_175:
	s_or_b64 exec, exec, s[8:9]
.LBB78_176:
	s_or_b64 exec, exec, s[6:7]
	v_mov_b32_e32 v20, 0
	ds_read_b32 v20, v20 offset:8
	s_waitcnt lgkmcnt(0)
	v_mul_f32_e32 v20, v65, v20
.LBB78_177:
	s_or_b64 exec, exec, s[4:5]
	v_cmp_lt_u32_e64 s[2:3], 1, v0
	ds_write_b32 v64, v19
	s_waitcnt lgkmcnt(0)
	; wave barrier
	s_and_saveexec_b64 s[4:5], s[2:3]
	s_cbranch_execz .LBB78_193
; %bb.178:
	s_andn2_b64 vcc, exec, s[30:31]
	s_cbranch_vccnz .LBB78_180
; %bb.179:
	v_cmp_eq_u32_e32 vcc, 1, v0
	v_cndmask_b32_e32 v65, v18, v19, vcc
	v_cmp_eq_u32_e32 vcc, 2, v0
	v_cndmask_b32_e32 v65, v65, v20, vcc
	;; [unrolled: 2-line block ×10, first 2 shown]
	v_cmp_eq_u32_e32 vcc, 11, v0
	ds_read_b32 v66, v64
	v_cndmask_b32_e32 v65, v65, v29, vcc
	v_cmp_eq_u32_e32 vcc, 12, v0
	v_cndmask_b32_e32 v65, v65, v30, vcc
	v_cmp_eq_u32_e32 vcc, 13, v0
	;; [unrolled: 2-line block ×3, first 2 shown]
	v_cndmask_b32_e32 v65, v65, v32, vcc
	s_waitcnt lgkmcnt(0)
	v_mul_f32_e32 v65, v65, v66
	s_cbranch_execz .LBB78_181
	s_branch .LBB78_182
.LBB78_180:
                                        ; implicit-def: $vgpr65
.LBB78_181:
	ds_read_b32 v65, v64
.LBB78_182:
	s_and_saveexec_b64 s[6:7], s[0:1]
	s_cbranch_execz .LBB78_192
; %bb.183:
	v_add_u32_e32 v66, -3, v0
	v_add_u32_e32 v67, -2, v0
	v_cmp_lt_u32_e32 vcc, 6, v66
	v_mov_b32_e32 v66, 2
	s_and_saveexec_b64 s[0:1], vcc
	s_cbranch_execz .LBB78_187
; %bb.184:
	v_and_b32_e32 v66, -8, v67
	v_sub_u32_e32 v68, 0, v66
	s_mov_b64 s[8:9], 9
	s_movk_i32 s12, 0x48
	s_mov_b64 s[10:11], 0
.LBB78_185:                             ; =>This Inner Loop Header: Depth=1
	s_add_i32 s13, s8, -7
	v_mov_b32_e32 v66, s12
	s_add_i32 s14, s8, -6
	s_set_gpr_idx_on s13, gpr_idx(SRC0)
	v_mov_b32_e32 v77, v18
	s_set_gpr_idx_off
	ds_read2_b64 v[69:72], v66 offset1:1
	s_add_i32 s15, s8, -5
	s_set_gpr_idx_on s14, gpr_idx(SRC0)
	v_mov_b32_e32 v78, v18
	s_set_gpr_idx_off
	s_add_i32 s16, s8, -4
	s_set_gpr_idx_on s15, gpr_idx(SRC0)
	v_mov_b32_e32 v79, v18
	s_set_gpr_idx_off
	;; [unrolled: 4-line block ×4, first 2 shown]
	ds_read2_b64 v[73:76], v66 offset0:2 offset1:3
	s_add_i32 s19, s8, -1
	s_waitcnt lgkmcnt(1)
	v_fmac_f32_e32 v65, v77, v69
	s_set_gpr_idx_on s18, gpr_idx(SRC0)
	v_mov_b32_e32 v69, v18
	s_set_gpr_idx_off
	v_fmac_f32_e32 v65, v78, v70
	s_set_gpr_idx_on s19, gpr_idx(SRC0)
	v_mov_b32_e32 v70, v18
	s_set_gpr_idx_off
	;; [unrolled: 4-line block ×3, first 2 shown]
	v_fmac_f32_e32 v65, v80, v72
	s_add_u32 s8, s8, 8
	s_waitcnt lgkmcnt(0)
	v_fmac_f32_e32 v65, v81, v73
	v_add_u32_e32 v66, s8, v68
	v_fmac_f32_e32 v65, v69, v74
	s_addc_u32 s9, s9, 0
	s_add_i32 s12, s12, 32
	s_add_i32 s13, s8, -7
	v_cmp_eq_u32_e32 vcc, 9, v66
	v_fmac_f32_e32 v65, v70, v75
	v_mov_b32_e32 v66, s13
	s_or_b64 s[10:11], vcc, s[10:11]
	v_fmac_f32_e32 v65, v71, v76
	s_andn2_b64 exec, exec, s[10:11]
	s_cbranch_execnz .LBB78_185
; %bb.186:
	s_or_b64 exec, exec, s[10:11]
.LBB78_187:
	s_or_b64 exec, exec, s[0:1]
	v_and_b32_e32 v33, 7, v67
	v_cmp_ne_u32_e32 vcc, 0, v33
	s_and_saveexec_b64 s[8:9], vcc
	s_cbranch_execz .LBB78_191
; %bb.188:
	v_lshl_add_u32 v67, v66, 2, 64
	v_mov_b32_e32 v68, 0
	s_mov_b64 s[10:11], 0
.LBB78_189:                             ; =>This Inner Loop Header: Depth=1
	v_cmp_eq_u32_e32 vcc, 1, v66
	v_cndmask_b32_e32 v69, v18, v19, vcc
	v_add_u32_e32 v33, -1, v33
	v_cmp_eq_u32_e32 vcc, 2, v66
	v_cndmask_b32_e32 v69, v69, v20, vcc
	v_cmp_eq_u32_e32 vcc, 0, v33
	v_cmp_eq_u32_e64 s[0:1], 3, v66
	v_cndmask_b32_e64 v69, v69, v21, s[0:1]
	s_or_b64 s[10:11], vcc, s[10:11]
	v_cmp_eq_u32_e32 vcc, 4, v66
	v_cndmask_b32_e32 v69, v69, v22, vcc
	v_cmp_eq_u32_e32 vcc, 5, v66
	v_cndmask_b32_e32 v69, v69, v23, vcc
	;; [unrolled: 2-line block ×6, first 2 shown]
	v_cmp_eq_u32_e32 vcc, 10, v66
	ds_read_b32 v70, v67
	v_cndmask_b32_e32 v69, v69, v28, vcc
	v_cmp_eq_u32_e32 vcc, 11, v66
	v_cndmask_b32_e32 v69, v69, v29, vcc
	v_cmp_eq_u32_e32 vcc, 12, v66
	;; [unrolled: 2-line block ×4, first 2 shown]
	v_add_co_u32_e64 v66, s[0:1], 1, v66
	v_cndmask_b32_e32 v69, v69, v32, vcc
	v_add_u32_e32 v67, 4, v67
	v_addc_co_u32_e64 v68, s[0:1], 0, v68, s[0:1]
	s_waitcnt lgkmcnt(0)
	v_fmac_f32_e32 v65, v69, v70
	s_andn2_b64 exec, exec, s[10:11]
	s_cbranch_execnz .LBB78_189
; %bb.190:
	s_or_b64 exec, exec, s[10:11]
.LBB78_191:
	s_or_b64 exec, exec, s[8:9]
.LBB78_192:
	s_or_b64 exec, exec, s[6:7]
	v_mov_b32_e32 v19, 0
	ds_read_b32 v19, v19 offset:4
	s_waitcnt lgkmcnt(0)
	v_mul_f32_e32 v19, v65, v19
.LBB78_193:
	s_or_b64 exec, exec, s[4:5]
	v_cmp_ne_u32_e32 vcc, 0, v0
	ds_write_b32 v64, v18
	s_waitcnt lgkmcnt(0)
	; wave barrier
	s_and_saveexec_b64 s[4:5], vcc
	s_cbranch_execz .LBB78_209
; %bb.194:
	s_andn2_b64 vcc, exec, s[30:31]
	s_cbranch_vccnz .LBB78_196
; %bb.195:
	v_cmp_eq_u32_e32 vcc, 1, v0
	v_cndmask_b32_e32 v65, v18, v19, vcc
	v_cmp_eq_u32_e32 vcc, 2, v0
	v_cndmask_b32_e32 v65, v65, v20, vcc
	;; [unrolled: 2-line block ×10, first 2 shown]
	v_cmp_eq_u32_e32 vcc, 11, v0
	ds_read_b32 v66, v64
	v_cndmask_b32_e32 v65, v65, v29, vcc
	v_cmp_eq_u32_e32 vcc, 12, v0
	v_cndmask_b32_e32 v65, v65, v30, vcc
	v_cmp_eq_u32_e32 vcc, 13, v0
	;; [unrolled: 2-line block ×3, first 2 shown]
	v_cndmask_b32_e32 v65, v65, v32, vcc
	s_waitcnt lgkmcnt(0)
	v_mul_f32_e32 v65, v65, v66
	s_cbranch_execz .LBB78_197
	s_branch .LBB78_198
.LBB78_196:
                                        ; implicit-def: $vgpr65
.LBB78_197:
	ds_read_b32 v65, v64
.LBB78_198:
	s_and_saveexec_b64 s[6:7], s[2:3]
	s_cbranch_execz .LBB78_208
; %bb.199:
	v_add_u32_e32 v66, -2, v0
	v_add_u32_e32 v67, -1, v0
	v_cmp_lt_u32_e32 vcc, 6, v66
	v_mov_b32_e32 v66, 1
	s_and_saveexec_b64 s[0:1], vcc
	s_cbranch_execz .LBB78_203
; %bb.200:
	v_and_b32_e32 v66, -8, v67
	v_sub_u32_e32 v68, 0, v66
	s_mov_b64 s[2:3], 8
	s_movk_i32 s10, 0x44
	s_mov_b64 s[8:9], 0
.LBB78_201:                             ; =>This Inner Loop Header: Depth=1
	s_add_i32 s11, s2, -7
	v_mov_b32_e32 v66, s10
	s_add_i32 s12, s2, -6
	s_set_gpr_idx_on s11, gpr_idx(SRC0)
	v_mov_b32_e32 v75, v18
	s_set_gpr_idx_off
	ds_read2_b32 v[69:70], v66 offset1:1
	s_add_i32 s13, s2, -5
	s_set_gpr_idx_on s12, gpr_idx(SRC0)
	v_mov_b32_e32 v76, v18
	s_set_gpr_idx_off
	s_add_i32 s14, s2, -4
	s_set_gpr_idx_on s13, gpr_idx(SRC0)
	v_mov_b32_e32 v77, v18
	s_set_gpr_idx_off
	ds_read2_b32 v[71:72], v66 offset0:2 offset1:3
	s_add_i32 s15, s2, -3
	s_set_gpr_idx_on s14, gpr_idx(SRC0)
	v_mov_b32_e32 v78, v18
	s_set_gpr_idx_off
	s_add_i32 s16, s2, -2
	s_set_gpr_idx_on s15, gpr_idx(SRC0)
	v_mov_b32_e32 v79, v18
	s_set_gpr_idx_off
	ds_read2_b32 v[73:74], v66 offset0:4 offset1:5
	s_add_i32 s17, s2, -1
	s_waitcnt lgkmcnt(2)
	v_fmac_f32_e32 v65, v75, v69
	s_set_gpr_idx_on s16, gpr_idx(SRC0)
	v_mov_b32_e32 v75, v18
	s_set_gpr_idx_off
	v_fmac_f32_e32 v65, v76, v70
	s_set_gpr_idx_on s17, gpr_idx(SRC0)
	v_mov_b32_e32 v76, v18
	s_set_gpr_idx_off
	ds_read2_b32 v[69:70], v66 offset0:6 offset1:7
	s_waitcnt lgkmcnt(2)
	v_fmac_f32_e32 v65, v77, v71
	s_set_gpr_idx_on s2, gpr_idx(SRC0)
	v_mov_b32_e32 v71, v18
	s_set_gpr_idx_off
	v_fmac_f32_e32 v65, v78, v72
	s_add_u32 s2, s2, 8
	s_waitcnt lgkmcnt(1)
	v_fmac_f32_e32 v65, v79, v73
	v_add_u32_e32 v66, s2, v68
	v_fmac_f32_e32 v65, v75, v74
	s_addc_u32 s3, s3, 0
	s_add_i32 s10, s10, 32
	s_add_i32 s11, s2, -7
	v_cmp_eq_u32_e32 vcc, 8, v66
	s_waitcnt lgkmcnt(0)
	v_fmac_f32_e32 v65, v76, v69
	v_mov_b32_e32 v66, s11
	s_or_b64 s[8:9], vcc, s[8:9]
	v_fmac_f32_e32 v65, v71, v70
	s_andn2_b64 exec, exec, s[8:9]
	s_cbranch_execnz .LBB78_201
; %bb.202:
	s_or_b64 exec, exec, s[8:9]
.LBB78_203:
	s_or_b64 exec, exec, s[0:1]
	v_and_b32_e32 v33, 7, v67
	v_cmp_ne_u32_e32 vcc, 0, v33
	s_and_saveexec_b64 s[2:3], vcc
	s_cbranch_execz .LBB78_207
; %bb.204:
	v_lshl_add_u32 v67, v66, 2, 64
	v_mov_b32_e32 v68, 0
	s_mov_b64 s[8:9], 0
.LBB78_205:                             ; =>This Inner Loop Header: Depth=1
	v_cmp_eq_u32_e32 vcc, 1, v66
	v_cndmask_b32_e32 v69, v18, v19, vcc
	v_add_u32_e32 v33, -1, v33
	v_cmp_eq_u32_e32 vcc, 2, v66
	v_cndmask_b32_e32 v69, v69, v20, vcc
	v_cmp_eq_u32_e32 vcc, 0, v33
	v_cmp_eq_u32_e64 s[0:1], 3, v66
	v_cndmask_b32_e64 v69, v69, v21, s[0:1]
	s_or_b64 s[8:9], vcc, s[8:9]
	v_cmp_eq_u32_e32 vcc, 4, v66
	v_cndmask_b32_e32 v69, v69, v22, vcc
	v_cmp_eq_u32_e32 vcc, 5, v66
	v_cndmask_b32_e32 v69, v69, v23, vcc
	;; [unrolled: 2-line block ×6, first 2 shown]
	v_cmp_eq_u32_e32 vcc, 10, v66
	ds_read_b32 v70, v67
	v_cndmask_b32_e32 v69, v69, v28, vcc
	v_cmp_eq_u32_e32 vcc, 11, v66
	v_cndmask_b32_e32 v69, v69, v29, vcc
	v_cmp_eq_u32_e32 vcc, 12, v66
	v_cndmask_b32_e32 v69, v69, v30, vcc
	v_cmp_eq_u32_e32 vcc, 13, v66
	v_cndmask_b32_e32 v69, v69, v31, vcc
	v_cmp_eq_u32_e32 vcc, 14, v66
	v_add_co_u32_e64 v66, s[0:1], 1, v66
	v_cndmask_b32_e32 v69, v69, v32, vcc
	v_add_u32_e32 v67, 4, v67
	v_addc_co_u32_e64 v68, s[0:1], 0, v68, s[0:1]
	s_waitcnt lgkmcnt(0)
	v_fmac_f32_e32 v65, v69, v70
	s_andn2_b64 exec, exec, s[8:9]
	s_cbranch_execnz .LBB78_205
; %bb.206:
	s_or_b64 exec, exec, s[8:9]
.LBB78_207:
	s_or_b64 exec, exec, s[2:3]
.LBB78_208:
	s_or_b64 exec, exec, s[6:7]
	v_mov_b32_e32 v18, 0
	ds_read_b32 v18, v18
	s_waitcnt lgkmcnt(0)
	v_mul_f32_e32 v18, v65, v18
.LBB78_209:
	s_or_b64 exec, exec, s[4:5]
	s_branch .LBB78_353
.LBB78_210:
	v_cmp_eq_u32_e64 s[2:3], 0, v0
	s_waitcnt vmcnt(0) lgkmcnt(0)
	ds_write_b32 v64, v3
	s_waitcnt lgkmcnt(0)
	; wave barrier
	s_and_saveexec_b64 s[0:1], s[2:3]
	s_cbranch_execz .LBB78_216
; %bb.211:
	s_and_b64 vcc, exec, s[30:31]
	s_cbranch_vccz .LBB78_213
; %bb.212:
	v_cmp_eq_u32_e32 vcc, 1, v0
	v_cndmask_b32_e32 v3, v2, v3, vcc
	v_cmp_eq_u32_e32 vcc, 2, v0
	v_cndmask_b32_e32 v3, v3, v4, vcc
	;; [unrolled: 2-line block ×10, first 2 shown]
	v_cmp_eq_u32_e32 vcc, 11, v0
	ds_read_b32 v17, v64
	v_cndmask_b32_e32 v3, v3, v13, vcc
	v_cmp_eq_u32_e32 vcc, 12, v0
	v_cndmask_b32_e32 v3, v3, v14, vcc
	v_cmp_eq_u32_e32 vcc, 13, v0
	;; [unrolled: 2-line block ×3, first 2 shown]
	v_cndmask_b32_e32 v3, v3, v16, vcc
	s_waitcnt lgkmcnt(0)
	v_mul_f32_e32 v3, v3, v17
	s_cbranch_execz .LBB78_214
	s_branch .LBB78_215
.LBB78_213:
                                        ; implicit-def: $vgpr3
.LBB78_214:
	ds_read_b32 v3, v64
.LBB78_215:
	v_mov_b32_e32 v17, 0
	ds_read_b32 v17, v17 offset:4
	s_waitcnt lgkmcnt(0)
	v_mul_f32_e32 v3, v3, v17
.LBB78_216:
	s_or_b64 exec, exec, s[0:1]
	v_cndmask_b32_e64 v18, 0, 1, s[30:31]
	v_cmp_gt_u32_e32 vcc, 2, v0
	v_cmp_ne_u32_e64 s[0:1], 1, v18
	ds_write_b32 v64, v4
	s_waitcnt lgkmcnt(0)
	; wave barrier
	s_and_saveexec_b64 s[4:5], vcc
	s_cbranch_execz .LBB78_222
; %bb.217:
	s_and_b64 vcc, exec, s[0:1]
	s_cbranch_vccnz .LBB78_219
; %bb.218:
	v_cmp_eq_u32_e32 vcc, 1, v0
	v_cndmask_b32_e32 v17, v2, v3, vcc
	v_cmp_eq_u32_e32 vcc, 2, v0
	v_cndmask_b32_e32 v4, v17, v4, vcc
	;; [unrolled: 2-line block ×10, first 2 shown]
	v_cmp_eq_u32_e32 vcc, 11, v0
	ds_read_b32 v17, v64
	v_cndmask_b32_e32 v4, v4, v13, vcc
	v_cmp_eq_u32_e32 vcc, 12, v0
	v_cndmask_b32_e32 v4, v4, v14, vcc
	v_cmp_eq_u32_e32 vcc, 13, v0
	;; [unrolled: 2-line block ×3, first 2 shown]
	v_cndmask_b32_e32 v4, v4, v16, vcc
	s_waitcnt lgkmcnt(0)
	v_mul_f32_e32 v4, v4, v17
	s_cbranch_execz .LBB78_220
	s_branch .LBB78_221
.LBB78_219:
                                        ; implicit-def: $vgpr4
.LBB78_220:
	ds_read_b32 v4, v64
.LBB78_221:
	v_mov_b32_e32 v17, 0
	ds_read2_b32 v[17:18], v17 offset0:2 offset1:17
	s_waitcnt lgkmcnt(0)
	v_fma_f32 v18, v3, v18, v4
	v_cndmask_b32_e64 v4, v4, v18, s[2:3]
	v_mul_f32_e32 v4, v4, v17
.LBB78_222:
	s_or_b64 exec, exec, s[4:5]
	v_add_u32_e32 v19, 1, v0
	v_cmp_gt_u32_e64 s[4:5], 3, v0
	ds_write_b32 v64, v5
	s_waitcnt lgkmcnt(0)
	; wave barrier
	s_and_saveexec_b64 s[6:7], s[4:5]
	s_cbranch_execz .LBB78_230
; %bb.223:
	s_and_b64 vcc, exec, s[0:1]
	s_cbranch_vccnz .LBB78_225
; %bb.224:
	v_cmp_eq_u32_e32 vcc, 1, v0
	v_cndmask_b32_e32 v17, v2, v3, vcc
	v_cmp_eq_u32_e32 vcc, 2, v0
	v_cndmask_b32_e32 v17, v17, v4, vcc
	;; [unrolled: 2-line block ×10, first 2 shown]
	v_cmp_eq_u32_e32 vcc, 11, v0
	ds_read_b32 v18, v64
	v_cndmask_b32_e32 v17, v17, v13, vcc
	v_cmp_eq_u32_e32 vcc, 12, v0
	v_cndmask_b32_e32 v17, v17, v14, vcc
	v_cmp_eq_u32_e32 vcc, 13, v0
	;; [unrolled: 2-line block ×3, first 2 shown]
	v_cndmask_b32_e32 v17, v17, v16, vcc
	s_waitcnt lgkmcnt(0)
	v_mul_f32_e32 v17, v17, v18
	s_cbranch_execz .LBB78_226
	s_branch .LBB78_227
.LBB78_225:
                                        ; implicit-def: $vgpr17
.LBB78_226:
	ds_read_b32 v17, v64
.LBB78_227:
	v_cmp_ne_u32_e32 vcc, 2, v0
	s_and_saveexec_b64 s[8:9], vcc
	s_cbranch_execz .LBB78_229
; %bb.228:
	v_cmp_eq_u32_e32 vcc, 1, v19
	v_cndmask_b32_e32 v18, v2, v3, vcc
	v_cmp_eq_u32_e32 vcc, 2, v19
	v_cndmask_b32_e32 v18, v18, v4, vcc
	;; [unrolled: 2-line block ×10, first 2 shown]
	v_cmp_eq_u32_e32 vcc, 11, v19
	v_mov_b32_e32 v18, 0
	v_cndmask_b32_e32 v5, v5, v13, vcc
	v_cmp_eq_u32_e32 vcc, 12, v19
	ds_read_b32 v20, v64 offset:4
	ds_read_b32 v18, v18 offset:72
	v_cndmask_b32_e32 v5, v5, v14, vcc
	v_cmp_eq_u32_e32 vcc, 13, v19
	v_cndmask_b32_e32 v5, v5, v15, vcc
	v_cmp_eq_u32_e32 vcc, 14, v19
	v_cndmask_b32_e32 v5, v5, v16, vcc
	s_waitcnt lgkmcnt(1)
	v_fmac_f32_e32 v17, v5, v20
	s_waitcnt lgkmcnt(0)
	v_fma_f32 v5, v4, v18, v17
	v_cndmask_b32_e64 v17, v17, v5, s[2:3]
.LBB78_229:
	s_or_b64 exec, exec, s[8:9]
	v_mov_b32_e32 v5, 0
	ds_read_b32 v5, v5 offset:12
	s_waitcnt lgkmcnt(0)
	v_mul_f32_e32 v5, v17, v5
.LBB78_230:
	s_or_b64 exec, exec, s[6:7]
	v_cmp_gt_u32_e32 vcc, 4, v0
	ds_write_b32 v64, v6
	s_waitcnt lgkmcnt(0)
	; wave barrier
	s_and_saveexec_b64 s[8:9], vcc
	s_cbranch_execz .LBB78_240
; %bb.231:
	s_and_b64 vcc, exec, s[0:1]
	s_cbranch_vccnz .LBB78_233
; %bb.232:
	v_cmp_eq_u32_e32 vcc, 1, v0
	v_cndmask_b32_e32 v17, v2, v3, vcc
	v_cmp_eq_u32_e32 vcc, 2, v0
	v_cndmask_b32_e32 v17, v17, v4, vcc
	;; [unrolled: 2-line block ×10, first 2 shown]
	v_cmp_eq_u32_e32 vcc, 11, v0
	ds_read_b32 v18, v64
	v_cndmask_b32_e32 v17, v17, v13, vcc
	v_cmp_eq_u32_e32 vcc, 12, v0
	v_cndmask_b32_e32 v17, v17, v14, vcc
	v_cmp_eq_u32_e32 vcc, 13, v0
	;; [unrolled: 2-line block ×3, first 2 shown]
	v_cndmask_b32_e32 v17, v17, v16, vcc
	s_waitcnt lgkmcnt(0)
	v_mul_f32_e32 v20, v17, v18
	s_cbranch_execz .LBB78_234
	s_branch .LBB78_235
.LBB78_233:
                                        ; implicit-def: $vgpr20
.LBB78_234:
	ds_read_b32 v20, v64
.LBB78_235:
	v_cmp_ne_u32_e32 vcc, 3, v0
	s_and_saveexec_b64 s[10:11], vcc
	s_cbranch_execz .LBB78_239
; %bb.236:
	v_mov_b32_e32 v17, 0x44
	v_lshl_add_u32 v21, v0, 2, v17
	v_mov_b32_e32 v18, v1
	s_mov_b64 s[12:13], 0
	v_mov_b32_e32 v17, v0
.LBB78_237:                             ; =>This Inner Loop Header: Depth=1
	v_add_co_u32_e32 v17, vcc, 1, v17
	v_addc_co_u32_e32 v18, vcc, 0, v18, vcc
	v_cmp_eq_u32_e32 vcc, 1, v17
	v_cndmask_b32_e32 v23, v2, v3, vcc
	v_cmp_lt_u32_e32 vcc, 2, v17
	v_cmp_eq_u32_e64 s[6:7], 2, v17
	v_cndmask_b32_e64 v23, v23, v4, s[6:7]
	s_or_b64 s[12:13], vcc, s[12:13]
	v_cmp_eq_u32_e32 vcc, 3, v17
	v_cndmask_b32_e32 v23, v23, v5, vcc
	v_cmp_eq_u32_e32 vcc, 4, v17
	v_cndmask_b32_e32 v23, v23, v6, vcc
	;; [unrolled: 2-line block ×7, first 2 shown]
	v_cmp_eq_u32_e32 vcc, 10, v17
	ds_read_b32 v22, v21
	v_cndmask_b32_e32 v23, v23, v12, vcc
	v_cmp_eq_u32_e32 vcc, 11, v17
	v_cndmask_b32_e32 v23, v23, v13, vcc
	v_cmp_eq_u32_e32 vcc, 12, v17
	;; [unrolled: 2-line block ×4, first 2 shown]
	v_cndmask_b32_e32 v23, v23, v16, vcc
	v_add_u32_e32 v21, 4, v21
	s_waitcnt lgkmcnt(0)
	v_fmac_f32_e32 v20, v23, v22
	s_andn2_b64 exec, exec, s[12:13]
	s_cbranch_execnz .LBB78_237
; %bb.238:
	s_or_b64 exec, exec, s[12:13]
.LBB78_239:
	s_or_b64 exec, exec, s[10:11]
	v_mov_b32_e32 v6, 0
	ds_read_b32 v6, v6 offset:16
	s_waitcnt lgkmcnt(0)
	v_mul_f32_e32 v6, v20, v6
.LBB78_240:
	s_or_b64 exec, exec, s[8:9]
	v_cmp_gt_u32_e64 s[6:7], 5, v0
	ds_write_b32 v64, v7
	s_waitcnt lgkmcnt(0)
	; wave barrier
	s_and_saveexec_b64 s[10:11], s[6:7]
	s_cbranch_execz .LBB78_250
; %bb.241:
	s_and_b64 vcc, exec, s[0:1]
	s_cbranch_vccnz .LBB78_243
; %bb.242:
	v_cmp_eq_u32_e32 vcc, 1, v0
	v_cndmask_b32_e32 v17, v2, v3, vcc
	v_cmp_eq_u32_e32 vcc, 2, v0
	v_cndmask_b32_e32 v17, v17, v4, vcc
	;; [unrolled: 2-line block ×10, first 2 shown]
	v_cmp_eq_u32_e32 vcc, 11, v0
	ds_read_b32 v18, v64
	v_cndmask_b32_e32 v17, v17, v13, vcc
	v_cmp_eq_u32_e32 vcc, 12, v0
	v_cndmask_b32_e32 v17, v17, v14, vcc
	v_cmp_eq_u32_e32 vcc, 13, v0
	;; [unrolled: 2-line block ×3, first 2 shown]
	v_cndmask_b32_e32 v17, v17, v16, vcc
	s_waitcnt lgkmcnt(0)
	v_mul_f32_e32 v20, v17, v18
	s_cbranch_execz .LBB78_244
	s_branch .LBB78_245
.LBB78_243:
                                        ; implicit-def: $vgpr20
.LBB78_244:
	ds_read_b32 v20, v64
.LBB78_245:
	v_cmp_ne_u32_e32 vcc, 4, v0
	s_and_saveexec_b64 s[12:13], vcc
	s_cbranch_execz .LBB78_249
; %bb.246:
	v_mov_b32_e32 v17, 0x44
	v_lshl_add_u32 v21, v0, 2, v17
	v_mov_b32_e32 v18, v1
	s_mov_b64 s[14:15], 0
	v_mov_b32_e32 v17, v0
.LBB78_247:                             ; =>This Inner Loop Header: Depth=1
	v_add_co_u32_e32 v17, vcc, 1, v17
	v_addc_co_u32_e32 v18, vcc, 0, v18, vcc
	v_cmp_eq_u32_e32 vcc, 1, v17
	v_cndmask_b32_e32 v23, v2, v3, vcc
	v_cmp_lt_u32_e32 vcc, 3, v17
	v_cmp_eq_u32_e64 s[8:9], 2, v17
	v_cndmask_b32_e64 v23, v23, v4, s[8:9]
	s_or_b64 s[14:15], vcc, s[14:15]
	v_cmp_eq_u32_e32 vcc, 3, v17
	v_cndmask_b32_e32 v23, v23, v5, vcc
	v_cmp_eq_u32_e32 vcc, 4, v17
	v_cndmask_b32_e32 v23, v23, v6, vcc
	;; [unrolled: 2-line block ×7, first 2 shown]
	v_cmp_eq_u32_e32 vcc, 10, v17
	ds_read_b32 v22, v21
	v_cndmask_b32_e32 v23, v23, v12, vcc
	v_cmp_eq_u32_e32 vcc, 11, v17
	v_cndmask_b32_e32 v23, v23, v13, vcc
	v_cmp_eq_u32_e32 vcc, 12, v17
	;; [unrolled: 2-line block ×4, first 2 shown]
	v_cndmask_b32_e32 v23, v23, v16, vcc
	v_add_u32_e32 v21, 4, v21
	s_waitcnt lgkmcnt(0)
	v_fmac_f32_e32 v20, v23, v22
	s_andn2_b64 exec, exec, s[14:15]
	s_cbranch_execnz .LBB78_247
; %bb.248:
	s_or_b64 exec, exec, s[14:15]
.LBB78_249:
	s_or_b64 exec, exec, s[12:13]
	v_mov_b32_e32 v7, 0
	ds_read_b32 v7, v7 offset:20
	s_waitcnt lgkmcnt(0)
	v_mul_f32_e32 v7, v20, v7
.LBB78_250:
	s_or_b64 exec, exec, s[10:11]
	v_cmp_gt_u32_e32 vcc, 6, v0
	ds_write_b32 v64, v8
	s_waitcnt lgkmcnt(0)
	; wave barrier
	s_and_saveexec_b64 s[10:11], vcc
	s_cbranch_execz .LBB78_260
; %bb.251:
	s_and_b64 vcc, exec, s[0:1]
	s_cbranch_vccnz .LBB78_253
; %bb.252:
	v_cmp_eq_u32_e32 vcc, 1, v0
	v_cndmask_b32_e32 v17, v2, v3, vcc
	v_cmp_eq_u32_e32 vcc, 2, v0
	v_cndmask_b32_e32 v17, v17, v4, vcc
	;; [unrolled: 2-line block ×10, first 2 shown]
	v_cmp_eq_u32_e32 vcc, 11, v0
	ds_read_b32 v18, v64
	v_cndmask_b32_e32 v17, v17, v13, vcc
	v_cmp_eq_u32_e32 vcc, 12, v0
	v_cndmask_b32_e32 v17, v17, v14, vcc
	v_cmp_eq_u32_e32 vcc, 13, v0
	;; [unrolled: 2-line block ×3, first 2 shown]
	v_cndmask_b32_e32 v17, v17, v16, vcc
	s_waitcnt lgkmcnt(0)
	v_mul_f32_e32 v20, v17, v18
	s_cbranch_execz .LBB78_254
	s_branch .LBB78_255
.LBB78_253:
                                        ; implicit-def: $vgpr20
.LBB78_254:
	ds_read_b32 v20, v64
.LBB78_255:
	v_cmp_ne_u32_e32 vcc, 5, v0
	s_and_saveexec_b64 s[12:13], vcc
	s_cbranch_execz .LBB78_259
; %bb.256:
	v_mov_b32_e32 v17, 0x44
	v_lshl_add_u32 v21, v0, 2, v17
	v_mov_b32_e32 v18, v1
	s_mov_b64 s[14:15], 0
	v_mov_b32_e32 v17, v0
.LBB78_257:                             ; =>This Inner Loop Header: Depth=1
	v_add_co_u32_e32 v17, vcc, 1, v17
	v_addc_co_u32_e32 v18, vcc, 0, v18, vcc
	v_cmp_eq_u32_e32 vcc, 1, v17
	v_cndmask_b32_e32 v23, v2, v3, vcc
	v_cmp_lt_u32_e32 vcc, 4, v17
	v_cmp_eq_u32_e64 s[8:9], 2, v17
	v_cndmask_b32_e64 v23, v23, v4, s[8:9]
	s_or_b64 s[14:15], vcc, s[14:15]
	v_cmp_eq_u32_e32 vcc, 3, v17
	v_cndmask_b32_e32 v23, v23, v5, vcc
	v_cmp_eq_u32_e32 vcc, 4, v17
	v_cndmask_b32_e32 v23, v23, v6, vcc
	;; [unrolled: 2-line block ×7, first 2 shown]
	v_cmp_eq_u32_e32 vcc, 10, v17
	ds_read_b32 v22, v21
	v_cndmask_b32_e32 v23, v23, v12, vcc
	v_cmp_eq_u32_e32 vcc, 11, v17
	v_cndmask_b32_e32 v23, v23, v13, vcc
	v_cmp_eq_u32_e32 vcc, 12, v17
	;; [unrolled: 2-line block ×4, first 2 shown]
	v_cndmask_b32_e32 v23, v23, v16, vcc
	v_add_u32_e32 v21, 4, v21
	s_waitcnt lgkmcnt(0)
	v_fmac_f32_e32 v20, v23, v22
	s_andn2_b64 exec, exec, s[14:15]
	s_cbranch_execnz .LBB78_257
; %bb.258:
	s_or_b64 exec, exec, s[14:15]
.LBB78_259:
	s_or_b64 exec, exec, s[12:13]
	v_mov_b32_e32 v8, 0
	ds_read_b32 v8, v8 offset:24
	s_waitcnt lgkmcnt(0)
	v_mul_f32_e32 v8, v20, v8
.LBB78_260:
	s_or_b64 exec, exec, s[10:11]
	v_cmp_gt_u32_e64 s[8:9], 7, v0
	ds_write_b32 v64, v9
	s_waitcnt lgkmcnt(0)
	; wave barrier
	s_and_saveexec_b64 s[12:13], s[8:9]
	s_cbranch_execz .LBB78_270
; %bb.261:
	s_and_b64 vcc, exec, s[0:1]
	s_cbranch_vccnz .LBB78_263
; %bb.262:
	v_cmp_eq_u32_e32 vcc, 1, v0
	v_cndmask_b32_e32 v17, v2, v3, vcc
	v_cmp_eq_u32_e32 vcc, 2, v0
	v_cndmask_b32_e32 v17, v17, v4, vcc
	;; [unrolled: 2-line block ×10, first 2 shown]
	v_cmp_eq_u32_e32 vcc, 11, v0
	ds_read_b32 v18, v64
	v_cndmask_b32_e32 v17, v17, v13, vcc
	v_cmp_eq_u32_e32 vcc, 12, v0
	v_cndmask_b32_e32 v17, v17, v14, vcc
	v_cmp_eq_u32_e32 vcc, 13, v0
	v_cndmask_b32_e32 v17, v17, v15, vcc
	v_cmp_eq_u32_e32 vcc, 14, v0
	v_cndmask_b32_e32 v17, v17, v16, vcc
	s_waitcnt lgkmcnt(0)
	v_mul_f32_e32 v20, v17, v18
	s_cbranch_execz .LBB78_264
	s_branch .LBB78_265
.LBB78_263:
                                        ; implicit-def: $vgpr20
.LBB78_264:
	ds_read_b32 v20, v64
.LBB78_265:
	v_cmp_ne_u32_e32 vcc, 6, v0
	s_and_saveexec_b64 s[14:15], vcc
	s_cbranch_execz .LBB78_269
; %bb.266:
	v_mov_b32_e32 v17, 0x44
	v_lshl_add_u32 v21, v0, 2, v17
	v_mov_b32_e32 v18, v1
	s_mov_b64 s[16:17], 0
	v_mov_b32_e32 v17, v0
.LBB78_267:                             ; =>This Inner Loop Header: Depth=1
	v_add_co_u32_e32 v17, vcc, 1, v17
	v_addc_co_u32_e32 v18, vcc, 0, v18, vcc
	v_cmp_eq_u32_e32 vcc, 1, v17
	v_cndmask_b32_e32 v23, v2, v3, vcc
	v_cmp_lt_u32_e32 vcc, 5, v17
	v_cmp_eq_u32_e64 s[10:11], 2, v17
	v_cndmask_b32_e64 v23, v23, v4, s[10:11]
	s_or_b64 s[16:17], vcc, s[16:17]
	v_cmp_eq_u32_e32 vcc, 3, v17
	v_cndmask_b32_e32 v23, v23, v5, vcc
	v_cmp_eq_u32_e32 vcc, 4, v17
	v_cndmask_b32_e32 v23, v23, v6, vcc
	;; [unrolled: 2-line block ×7, first 2 shown]
	v_cmp_eq_u32_e32 vcc, 10, v17
	ds_read_b32 v22, v21
	v_cndmask_b32_e32 v23, v23, v12, vcc
	v_cmp_eq_u32_e32 vcc, 11, v17
	v_cndmask_b32_e32 v23, v23, v13, vcc
	v_cmp_eq_u32_e32 vcc, 12, v17
	;; [unrolled: 2-line block ×4, first 2 shown]
	v_cndmask_b32_e32 v23, v23, v16, vcc
	v_add_u32_e32 v21, 4, v21
	s_waitcnt lgkmcnt(0)
	v_fmac_f32_e32 v20, v23, v22
	s_andn2_b64 exec, exec, s[16:17]
	s_cbranch_execnz .LBB78_267
; %bb.268:
	s_or_b64 exec, exec, s[16:17]
.LBB78_269:
	s_or_b64 exec, exec, s[14:15]
	v_mov_b32_e32 v9, 0
	ds_read_b32 v9, v9 offset:28
	s_waitcnt lgkmcnt(0)
	v_mul_f32_e32 v9, v20, v9
.LBB78_270:
	s_or_b64 exec, exec, s[12:13]
	v_cmp_gt_u32_e32 vcc, 8, v0
	ds_write_b32 v64, v10
	s_waitcnt lgkmcnt(0)
	; wave barrier
	s_and_saveexec_b64 s[12:13], vcc
	s_cbranch_execz .LBB78_280
; %bb.271:
	s_and_b64 vcc, exec, s[0:1]
	s_cbranch_vccnz .LBB78_273
; %bb.272:
	v_cmp_eq_u32_e32 vcc, 1, v0
	v_cndmask_b32_e32 v17, v2, v3, vcc
	v_cmp_eq_u32_e32 vcc, 2, v0
	v_cndmask_b32_e32 v17, v17, v4, vcc
	;; [unrolled: 2-line block ×10, first 2 shown]
	v_cmp_eq_u32_e32 vcc, 11, v0
	ds_read_b32 v18, v64
	v_cndmask_b32_e32 v17, v17, v13, vcc
	v_cmp_eq_u32_e32 vcc, 12, v0
	v_cndmask_b32_e32 v17, v17, v14, vcc
	v_cmp_eq_u32_e32 vcc, 13, v0
	;; [unrolled: 2-line block ×3, first 2 shown]
	v_cndmask_b32_e32 v17, v17, v16, vcc
	s_waitcnt lgkmcnt(0)
	v_mul_f32_e32 v20, v17, v18
	s_cbranch_execz .LBB78_274
	s_branch .LBB78_275
.LBB78_273:
                                        ; implicit-def: $vgpr20
.LBB78_274:
	ds_read_b32 v20, v64
.LBB78_275:
	v_cmp_ne_u32_e32 vcc, 7, v0
	s_and_saveexec_b64 s[14:15], vcc
	s_cbranch_execz .LBB78_279
; %bb.276:
	v_mov_b32_e32 v17, 0x44
	v_lshl_add_u32 v21, v0, 2, v17
	v_mov_b32_e32 v18, v1
	s_mov_b64 s[16:17], 0
	v_mov_b32_e32 v17, v0
.LBB78_277:                             ; =>This Inner Loop Header: Depth=1
	v_add_co_u32_e32 v17, vcc, 1, v17
	v_addc_co_u32_e32 v18, vcc, 0, v18, vcc
	v_cmp_eq_u32_e32 vcc, 1, v17
	v_cndmask_b32_e32 v23, v2, v3, vcc
	v_cmp_lt_u32_e32 vcc, 6, v17
	v_cmp_eq_u32_e64 s[10:11], 2, v17
	v_cndmask_b32_e64 v23, v23, v4, s[10:11]
	s_or_b64 s[16:17], vcc, s[16:17]
	v_cmp_eq_u32_e32 vcc, 3, v17
	v_cndmask_b32_e32 v23, v23, v5, vcc
	v_cmp_eq_u32_e32 vcc, 4, v17
	v_cndmask_b32_e32 v23, v23, v6, vcc
	;; [unrolled: 2-line block ×7, first 2 shown]
	v_cmp_eq_u32_e32 vcc, 10, v17
	ds_read_b32 v22, v21
	v_cndmask_b32_e32 v23, v23, v12, vcc
	v_cmp_eq_u32_e32 vcc, 11, v17
	v_cndmask_b32_e32 v23, v23, v13, vcc
	v_cmp_eq_u32_e32 vcc, 12, v17
	;; [unrolled: 2-line block ×4, first 2 shown]
	v_cndmask_b32_e32 v23, v23, v16, vcc
	v_add_u32_e32 v21, 4, v21
	s_waitcnt lgkmcnt(0)
	v_fmac_f32_e32 v20, v23, v22
	s_andn2_b64 exec, exec, s[16:17]
	s_cbranch_execnz .LBB78_277
; %bb.278:
	s_or_b64 exec, exec, s[16:17]
.LBB78_279:
	s_or_b64 exec, exec, s[14:15]
	v_mov_b32_e32 v10, 0
	ds_read_b32 v10, v10 offset:32
	s_waitcnt lgkmcnt(0)
	v_mul_f32_e32 v10, v20, v10
.LBB78_280:
	s_or_b64 exec, exec, s[12:13]
	v_cmp_gt_u32_e32 vcc, 9, v0
	ds_write_b32 v64, v11
	s_waitcnt lgkmcnt(0)
	; wave barrier
	s_and_saveexec_b64 s[10:11], vcc
	s_cbranch_execz .LBB78_302
; %bb.281:
	s_and_b64 vcc, exec, s[0:1]
	s_cbranch_vccnz .LBB78_283
; %bb.282:
	v_cmp_eq_u32_e32 vcc, 1, v0
	v_cndmask_b32_e32 v17, v2, v3, vcc
	v_cmp_eq_u32_e32 vcc, 2, v0
	v_cndmask_b32_e32 v17, v17, v4, vcc
	;; [unrolled: 2-line block ×10, first 2 shown]
	v_cmp_eq_u32_e32 vcc, 11, v0
	ds_read_b32 v18, v64
	v_cndmask_b32_e32 v17, v17, v13, vcc
	v_cmp_eq_u32_e32 vcc, 12, v0
	v_cndmask_b32_e32 v17, v17, v14, vcc
	v_cmp_eq_u32_e32 vcc, 13, v0
	v_cndmask_b32_e32 v17, v17, v15, vcc
	v_cmp_eq_u32_e32 vcc, 14, v0
	v_cndmask_b32_e32 v17, v17, v16, vcc
	s_waitcnt lgkmcnt(0)
	v_mul_f32_e32 v17, v17, v18
	s_cbranch_execz .LBB78_284
	s_branch .LBB78_285
.LBB78_283:
                                        ; implicit-def: $vgpr17
.LBB78_284:
	ds_read_b32 v17, v64
.LBB78_285:
	v_cmp_ne_u32_e32 vcc, 8, v0
	s_and_saveexec_b64 s[12:13], vcc
	s_cbranch_execz .LBB78_301
; %bb.286:
	v_cmp_eq_u32_e32 vcc, 1, v19
	v_cndmask_b32_e32 v18, v2, v3, vcc
	v_cmp_eq_u32_e32 vcc, 2, v19
	v_cndmask_b32_e32 v18, v18, v4, vcc
	;; [unrolled: 2-line block ×10, first 2 shown]
	v_cmp_eq_u32_e32 vcc, 11, v19
	ds_read_b32 v20, v64 offset:4
	v_cndmask_b32_e32 v18, v18, v13, vcc
	v_cmp_eq_u32_e32 vcc, 12, v19
	v_cndmask_b32_e32 v18, v18, v14, vcc
	v_cmp_eq_u32_e32 vcc, 13, v19
	;; [unrolled: 2-line block ×3, first 2 shown]
	v_cndmask_b32_e32 v18, v18, v16, vcc
	s_waitcnt lgkmcnt(0)
	v_fmac_f32_e32 v17, v18, v20
	s_and_saveexec_b64 s[14:15], s[8:9]
	s_cbranch_execz .LBB78_300
; %bb.287:
	v_add_u32_e32 v18, 2, v0
	v_cmp_eq_u32_e32 vcc, 1, v18
	v_cndmask_b32_e32 v19, v2, v3, vcc
	v_cmp_eq_u32_e32 vcc, 2, v18
	v_cndmask_b32_e32 v19, v19, v4, vcc
	;; [unrolled: 2-line block ×10, first 2 shown]
	v_cmp_eq_u32_e32 vcc, 11, v18
	ds_read_b32 v20, v64 offset:8
	v_cndmask_b32_e32 v19, v19, v13, vcc
	v_cmp_eq_u32_e32 vcc, 12, v18
	v_cndmask_b32_e32 v19, v19, v14, vcc
	v_cmp_eq_u32_e32 vcc, 13, v18
	;; [unrolled: 2-line block ×3, first 2 shown]
	v_cndmask_b32_e32 v18, v19, v16, vcc
	s_waitcnt lgkmcnt(0)
	v_fmac_f32_e32 v17, v18, v20
	v_cmp_ne_u32_e32 vcc, 6, v0
	s_and_saveexec_b64 s[8:9], vcc
	s_cbranch_execz .LBB78_299
; %bb.288:
	v_add_u32_e32 v18, 3, v0
	v_cmp_eq_u32_e32 vcc, 1, v18
	v_cndmask_b32_e32 v19, v2, v3, vcc
	v_cmp_eq_u32_e32 vcc, 2, v18
	v_cndmask_b32_e32 v19, v19, v4, vcc
	;; [unrolled: 2-line block ×10, first 2 shown]
	v_cmp_eq_u32_e32 vcc, 11, v18
	ds_read_b32 v20, v64 offset:12
	v_cndmask_b32_e32 v19, v19, v13, vcc
	v_cmp_eq_u32_e32 vcc, 12, v18
	v_cndmask_b32_e32 v19, v19, v14, vcc
	v_cmp_eq_u32_e32 vcc, 13, v18
	;; [unrolled: 2-line block ×3, first 2 shown]
	v_cndmask_b32_e32 v18, v19, v16, vcc
	s_waitcnt lgkmcnt(0)
	v_fmac_f32_e32 v17, v18, v20
	s_and_saveexec_b64 s[16:17], s[6:7]
	s_cbranch_execz .LBB78_298
; %bb.289:
	v_add_u32_e32 v18, 4, v0
	v_cmp_eq_u32_e32 vcc, 1, v18
	v_cndmask_b32_e32 v19, v2, v3, vcc
	v_cmp_eq_u32_e32 vcc, 2, v18
	v_cndmask_b32_e32 v19, v19, v4, vcc
	;; [unrolled: 2-line block ×10, first 2 shown]
	v_cmp_eq_u32_e32 vcc, 11, v18
	ds_read_b32 v20, v64 offset:16
	v_cndmask_b32_e32 v19, v19, v13, vcc
	v_cmp_eq_u32_e32 vcc, 12, v18
	v_cndmask_b32_e32 v19, v19, v14, vcc
	v_cmp_eq_u32_e32 vcc, 13, v18
	;; [unrolled: 2-line block ×3, first 2 shown]
	v_cndmask_b32_e32 v18, v19, v16, vcc
	s_waitcnt lgkmcnt(0)
	v_fmac_f32_e32 v17, v18, v20
	v_cmp_ne_u32_e32 vcc, 4, v0
	s_and_saveexec_b64 s[6:7], vcc
	s_cbranch_execz .LBB78_297
; %bb.290:
	v_add_u32_e32 v18, 5, v0
	v_cmp_eq_u32_e32 vcc, 1, v18
	v_cndmask_b32_e32 v19, v2, v3, vcc
	v_cmp_eq_u32_e32 vcc, 2, v18
	v_cndmask_b32_e32 v19, v19, v4, vcc
	;; [unrolled: 2-line block ×10, first 2 shown]
	v_cmp_eq_u32_e32 vcc, 11, v18
	ds_read_b32 v20, v64 offset:20
	v_cndmask_b32_e32 v19, v19, v13, vcc
	v_cmp_eq_u32_e32 vcc, 12, v18
	v_cndmask_b32_e32 v19, v19, v14, vcc
	v_cmp_eq_u32_e32 vcc, 13, v18
	;; [unrolled: 2-line block ×3, first 2 shown]
	v_cndmask_b32_e32 v18, v19, v16, vcc
	s_waitcnt lgkmcnt(0)
	v_fmac_f32_e32 v17, v18, v20
	s_and_saveexec_b64 s[18:19], s[4:5]
	s_cbranch_execz .LBB78_296
; %bb.291:
	v_add_u32_e32 v18, 6, v0
	v_cmp_eq_u32_e32 vcc, 1, v18
	v_cndmask_b32_e32 v19, v2, v3, vcc
	v_cmp_eq_u32_e32 vcc, 2, v18
	v_cndmask_b32_e32 v19, v19, v4, vcc
	;; [unrolled: 2-line block ×10, first 2 shown]
	v_cmp_eq_u32_e32 vcc, 11, v18
	ds_read_b32 v20, v64 offset:24
	v_cndmask_b32_e32 v19, v19, v13, vcc
	v_cmp_eq_u32_e32 vcc, 12, v18
	v_cndmask_b32_e32 v19, v19, v14, vcc
	v_cmp_eq_u32_e32 vcc, 13, v18
	;; [unrolled: 2-line block ×3, first 2 shown]
	v_cndmask_b32_e32 v18, v19, v16, vcc
	s_waitcnt lgkmcnt(0)
	v_fmac_f32_e32 v17, v18, v20
	v_cmp_ne_u32_e32 vcc, 2, v0
	s_and_saveexec_b64 s[4:5], vcc
	s_cbranch_execz .LBB78_295
; %bb.292:
	v_add_u32_e32 v18, 7, v0
	v_cmp_eq_u32_e32 vcc, 1, v18
	v_cndmask_b32_e32 v19, v2, v3, vcc
	v_cmp_eq_u32_e32 vcc, 2, v18
	v_cndmask_b32_e32 v19, v19, v4, vcc
	;; [unrolled: 2-line block ×10, first 2 shown]
	v_cmp_eq_u32_e32 vcc, 11, v18
	ds_read_b32 v19, v64 offset:28
	v_cndmask_b32_e32 v11, v11, v13, vcc
	v_cmp_eq_u32_e32 vcc, 12, v18
	v_cndmask_b32_e32 v11, v11, v14, vcc
	v_cmp_eq_u32_e32 vcc, 13, v18
	;; [unrolled: 2-line block ×3, first 2 shown]
	v_cndmask_b32_e32 v11, v11, v16, vcc
	s_waitcnt lgkmcnt(0)
	v_fmac_f32_e32 v17, v11, v19
	s_and_saveexec_b64 s[20:21], s[2:3]
	s_cbranch_execz .LBB78_294
; %bb.293:
	ds_read_b32 v11, v64 offset:32
	s_waitcnt lgkmcnt(0)
	v_fmac_f32_e32 v17, v10, v11
.LBB78_294:
	s_or_b64 exec, exec, s[20:21]
.LBB78_295:
	s_or_b64 exec, exec, s[4:5]
.LBB78_296:
	s_or_b64 exec, exec, s[18:19]
.LBB78_297:
	s_or_b64 exec, exec, s[6:7]
.LBB78_298:
	s_or_b64 exec, exec, s[16:17]
.LBB78_299:
	s_or_b64 exec, exec, s[8:9]
.LBB78_300:
	s_or_b64 exec, exec, s[14:15]
.LBB78_301:
	s_or_b64 exec, exec, s[12:13]
	v_mov_b32_e32 v11, 0
	ds_read_b32 v11, v11 offset:36
	s_waitcnt lgkmcnt(0)
	v_mul_f32_e32 v11, v17, v11
.LBB78_302:
	s_or_b64 exec, exec, s[10:11]
	v_cmp_gt_u32_e32 vcc, 10, v0
	ds_write_b32 v64, v12
	s_waitcnt lgkmcnt(0)
	; wave barrier
	s_and_saveexec_b64 s[4:5], vcc
	s_cbranch_execz .LBB78_312
; %bb.303:
	s_and_b64 vcc, exec, s[0:1]
	s_cbranch_vccnz .LBB78_305
; %bb.304:
	v_cmp_eq_u32_e32 vcc, 1, v0
	v_cndmask_b32_e32 v17, v2, v3, vcc
	v_cmp_eq_u32_e32 vcc, 2, v0
	v_cndmask_b32_e32 v17, v17, v4, vcc
	;; [unrolled: 2-line block ×10, first 2 shown]
	v_cmp_eq_u32_e32 vcc, 11, v0
	ds_read_b32 v18, v64
	v_cndmask_b32_e32 v17, v17, v13, vcc
	v_cmp_eq_u32_e32 vcc, 12, v0
	v_cndmask_b32_e32 v17, v17, v14, vcc
	v_cmp_eq_u32_e32 vcc, 13, v0
	v_cndmask_b32_e32 v17, v17, v15, vcc
	v_cmp_eq_u32_e32 vcc, 14, v0
	v_cndmask_b32_e32 v17, v17, v16, vcc
	s_waitcnt lgkmcnt(0)
	v_mul_f32_e32 v19, v17, v18
	s_cbranch_execz .LBB78_306
	s_branch .LBB78_307
.LBB78_305:
                                        ; implicit-def: $vgpr19
.LBB78_306:
	ds_read_b32 v19, v64
.LBB78_307:
	v_cmp_ne_u32_e32 vcc, 9, v0
	s_and_saveexec_b64 s[6:7], vcc
	s_cbranch_execz .LBB78_311
; %bb.308:
	v_mov_b32_e32 v17, 0x44
	v_lshl_add_u32 v20, v0, 2, v17
	v_mov_b32_e32 v18, v1
	s_mov_b64 s[8:9], 0
	v_mov_b32_e32 v17, v0
.LBB78_309:                             ; =>This Inner Loop Header: Depth=1
	v_add_co_u32_e32 v17, vcc, 1, v17
	v_addc_co_u32_e32 v18, vcc, 0, v18, vcc
	v_cmp_eq_u32_e32 vcc, 1, v17
	v_cndmask_b32_e32 v22, v2, v3, vcc
	v_cmp_lt_u32_e32 vcc, 8, v17
	v_cmp_eq_u32_e64 s[2:3], 2, v17
	v_cndmask_b32_e64 v22, v22, v4, s[2:3]
	s_or_b64 s[8:9], vcc, s[8:9]
	v_cmp_eq_u32_e32 vcc, 3, v17
	v_cndmask_b32_e32 v22, v22, v5, vcc
	v_cmp_eq_u32_e32 vcc, 4, v17
	v_cndmask_b32_e32 v22, v22, v6, vcc
	;; [unrolled: 2-line block ×7, first 2 shown]
	v_cmp_eq_u32_e32 vcc, 10, v17
	ds_read_b32 v21, v20
	v_cndmask_b32_e32 v22, v22, v12, vcc
	v_cmp_eq_u32_e32 vcc, 11, v17
	v_cndmask_b32_e32 v22, v22, v13, vcc
	v_cmp_eq_u32_e32 vcc, 12, v17
	;; [unrolled: 2-line block ×4, first 2 shown]
	v_cndmask_b32_e32 v22, v22, v16, vcc
	v_add_u32_e32 v20, 4, v20
	s_waitcnt lgkmcnt(0)
	v_fmac_f32_e32 v19, v22, v21
	s_andn2_b64 exec, exec, s[8:9]
	s_cbranch_execnz .LBB78_309
; %bb.310:
	s_or_b64 exec, exec, s[8:9]
.LBB78_311:
	s_or_b64 exec, exec, s[6:7]
	v_mov_b32_e32 v12, 0
	ds_read_b32 v12, v12 offset:40
	s_waitcnt lgkmcnt(0)
	v_mul_f32_e32 v12, v19, v12
.LBB78_312:
	s_or_b64 exec, exec, s[4:5]
	v_cmp_gt_u32_e32 vcc, 11, v0
	ds_write_b32 v64, v13
	s_waitcnt lgkmcnt(0)
	; wave barrier
	s_and_saveexec_b64 s[4:5], vcc
	s_cbranch_execz .LBB78_322
; %bb.313:
	s_and_b64 vcc, exec, s[0:1]
	s_cbranch_vccnz .LBB78_315
; %bb.314:
	v_cmp_eq_u32_e32 vcc, 1, v0
	v_cndmask_b32_e32 v17, v2, v3, vcc
	v_cmp_eq_u32_e32 vcc, 2, v0
	v_cndmask_b32_e32 v17, v17, v4, vcc
	;; [unrolled: 2-line block ×10, first 2 shown]
	v_cmp_eq_u32_e32 vcc, 11, v0
	ds_read_b32 v18, v64
	v_cndmask_b32_e32 v17, v17, v13, vcc
	v_cmp_eq_u32_e32 vcc, 12, v0
	v_cndmask_b32_e32 v17, v17, v14, vcc
	v_cmp_eq_u32_e32 vcc, 13, v0
	;; [unrolled: 2-line block ×3, first 2 shown]
	v_cndmask_b32_e32 v17, v17, v16, vcc
	s_waitcnt lgkmcnt(0)
	v_mul_f32_e32 v19, v17, v18
	s_cbranch_execz .LBB78_316
	s_branch .LBB78_317
.LBB78_315:
                                        ; implicit-def: $vgpr19
.LBB78_316:
	ds_read_b32 v19, v64
.LBB78_317:
	v_cmp_ne_u32_e32 vcc, 10, v0
	s_and_saveexec_b64 s[6:7], vcc
	s_cbranch_execz .LBB78_321
; %bb.318:
	v_mov_b32_e32 v17, 0x44
	v_lshl_add_u32 v20, v0, 2, v17
	v_mov_b32_e32 v18, v1
	s_mov_b64 s[8:9], 0
	v_mov_b32_e32 v17, v0
.LBB78_319:                             ; =>This Inner Loop Header: Depth=1
	v_add_co_u32_e32 v17, vcc, 1, v17
	v_addc_co_u32_e32 v18, vcc, 0, v18, vcc
	v_cmp_eq_u32_e32 vcc, 1, v17
	v_cndmask_b32_e32 v22, v2, v3, vcc
	v_cmp_lt_u32_e32 vcc, 9, v17
	v_cmp_eq_u32_e64 s[2:3], 2, v17
	v_cndmask_b32_e64 v22, v22, v4, s[2:3]
	s_or_b64 s[8:9], vcc, s[8:9]
	v_cmp_eq_u32_e32 vcc, 3, v17
	v_cndmask_b32_e32 v22, v22, v5, vcc
	v_cmp_eq_u32_e32 vcc, 4, v17
	v_cndmask_b32_e32 v22, v22, v6, vcc
	;; [unrolled: 2-line block ×7, first 2 shown]
	v_cmp_eq_u32_e32 vcc, 10, v17
	ds_read_b32 v21, v20
	v_cndmask_b32_e32 v22, v22, v12, vcc
	v_cmp_eq_u32_e32 vcc, 11, v17
	v_cndmask_b32_e32 v22, v22, v13, vcc
	v_cmp_eq_u32_e32 vcc, 12, v17
	;; [unrolled: 2-line block ×4, first 2 shown]
	v_cndmask_b32_e32 v22, v22, v16, vcc
	v_add_u32_e32 v20, 4, v20
	s_waitcnt lgkmcnt(0)
	v_fmac_f32_e32 v19, v22, v21
	s_andn2_b64 exec, exec, s[8:9]
	s_cbranch_execnz .LBB78_319
; %bb.320:
	s_or_b64 exec, exec, s[8:9]
.LBB78_321:
	s_or_b64 exec, exec, s[6:7]
	v_mov_b32_e32 v13, 0
	ds_read_b32 v13, v13 offset:44
	s_waitcnt lgkmcnt(0)
	v_mul_f32_e32 v13, v19, v13
.LBB78_322:
	s_or_b64 exec, exec, s[4:5]
	v_cmp_gt_u32_e32 vcc, 12, v0
	ds_write_b32 v64, v14
	s_waitcnt lgkmcnt(0)
	; wave barrier
	s_and_saveexec_b64 s[4:5], vcc
	s_cbranch_execz .LBB78_332
; %bb.323:
	s_and_b64 vcc, exec, s[0:1]
	s_cbranch_vccnz .LBB78_325
; %bb.324:
	v_cmp_eq_u32_e32 vcc, 1, v0
	v_cndmask_b32_e32 v17, v2, v3, vcc
	v_cmp_eq_u32_e32 vcc, 2, v0
	v_cndmask_b32_e32 v17, v17, v4, vcc
	;; [unrolled: 2-line block ×10, first 2 shown]
	v_cmp_eq_u32_e32 vcc, 11, v0
	ds_read_b32 v18, v64
	v_cndmask_b32_e32 v17, v17, v13, vcc
	v_cmp_eq_u32_e32 vcc, 12, v0
	v_cndmask_b32_e32 v17, v17, v14, vcc
	v_cmp_eq_u32_e32 vcc, 13, v0
	v_cndmask_b32_e32 v17, v17, v15, vcc
	v_cmp_eq_u32_e32 vcc, 14, v0
	v_cndmask_b32_e32 v17, v17, v16, vcc
	s_waitcnt lgkmcnt(0)
	v_mul_f32_e32 v19, v17, v18
	s_cbranch_execz .LBB78_326
	s_branch .LBB78_327
.LBB78_325:
                                        ; implicit-def: $vgpr19
.LBB78_326:
	ds_read_b32 v19, v64
.LBB78_327:
	v_cmp_ne_u32_e32 vcc, 11, v0
	s_and_saveexec_b64 s[6:7], vcc
	s_cbranch_execz .LBB78_331
; %bb.328:
	v_mov_b32_e32 v17, 0x44
	v_lshl_add_u32 v20, v0, 2, v17
	v_mov_b32_e32 v18, v1
	s_mov_b64 s[8:9], 0
	v_mov_b32_e32 v17, v0
.LBB78_329:                             ; =>This Inner Loop Header: Depth=1
	v_add_co_u32_e32 v17, vcc, 1, v17
	v_addc_co_u32_e32 v18, vcc, 0, v18, vcc
	v_cmp_eq_u32_e32 vcc, 1, v17
	v_cndmask_b32_e32 v22, v2, v3, vcc
	v_cmp_lt_u32_e32 vcc, 10, v17
	v_cmp_eq_u32_e64 s[2:3], 2, v17
	v_cndmask_b32_e64 v22, v22, v4, s[2:3]
	s_or_b64 s[8:9], vcc, s[8:9]
	v_cmp_eq_u32_e32 vcc, 3, v17
	v_cndmask_b32_e32 v22, v22, v5, vcc
	v_cmp_eq_u32_e32 vcc, 4, v17
	v_cndmask_b32_e32 v22, v22, v6, vcc
	;; [unrolled: 2-line block ×7, first 2 shown]
	v_cmp_eq_u32_e32 vcc, 10, v17
	ds_read_b32 v21, v20
	v_cndmask_b32_e32 v22, v22, v12, vcc
	v_cmp_eq_u32_e32 vcc, 11, v17
	v_cndmask_b32_e32 v22, v22, v13, vcc
	v_cmp_eq_u32_e32 vcc, 12, v17
	;; [unrolled: 2-line block ×4, first 2 shown]
	v_cndmask_b32_e32 v22, v22, v16, vcc
	v_add_u32_e32 v20, 4, v20
	s_waitcnt lgkmcnt(0)
	v_fmac_f32_e32 v19, v22, v21
	s_andn2_b64 exec, exec, s[8:9]
	s_cbranch_execnz .LBB78_329
; %bb.330:
	s_or_b64 exec, exec, s[8:9]
.LBB78_331:
	s_or_b64 exec, exec, s[6:7]
	v_mov_b32_e32 v14, 0
	ds_read_b32 v14, v14 offset:48
	s_waitcnt lgkmcnt(0)
	v_mul_f32_e32 v14, v19, v14
.LBB78_332:
	s_or_b64 exec, exec, s[4:5]
	v_cmp_gt_u32_e64 s[2:3], 13, v0
	ds_write_b32 v64, v15
	s_waitcnt lgkmcnt(0)
	; wave barrier
	s_and_saveexec_b64 s[6:7], s[2:3]
	s_cbranch_execz .LBB78_342
; %bb.333:
	s_and_b64 vcc, exec, s[0:1]
	s_cbranch_vccnz .LBB78_335
; %bb.334:
	v_cmp_eq_u32_e32 vcc, 1, v0
	v_cndmask_b32_e32 v17, v2, v3, vcc
	v_cmp_eq_u32_e32 vcc, 2, v0
	v_cndmask_b32_e32 v17, v17, v4, vcc
	;; [unrolled: 2-line block ×10, first 2 shown]
	v_cmp_eq_u32_e32 vcc, 11, v0
	ds_read_b32 v18, v64
	v_cndmask_b32_e32 v17, v17, v13, vcc
	v_cmp_eq_u32_e32 vcc, 12, v0
	v_cndmask_b32_e32 v17, v17, v14, vcc
	v_cmp_eq_u32_e32 vcc, 13, v0
	;; [unrolled: 2-line block ×3, first 2 shown]
	v_cndmask_b32_e32 v17, v17, v16, vcc
	s_waitcnt lgkmcnt(0)
	v_mul_f32_e32 v19, v17, v18
	s_cbranch_execz .LBB78_336
	s_branch .LBB78_337
.LBB78_335:
                                        ; implicit-def: $vgpr19
.LBB78_336:
	ds_read_b32 v19, v64
.LBB78_337:
	v_cmp_ne_u32_e32 vcc, 12, v0
	s_and_saveexec_b64 s[8:9], vcc
	s_cbranch_execz .LBB78_341
; %bb.338:
	v_mov_b32_e32 v17, 0x44
	v_lshl_add_u32 v20, v0, 2, v17
	v_mov_b32_e32 v18, v1
	s_mov_b64 s[10:11], 0
	v_mov_b32_e32 v17, v0
.LBB78_339:                             ; =>This Inner Loop Header: Depth=1
	v_add_co_u32_e32 v17, vcc, 1, v17
	v_addc_co_u32_e32 v18, vcc, 0, v18, vcc
	v_cmp_eq_u32_e32 vcc, 1, v17
	v_cndmask_b32_e32 v22, v2, v3, vcc
	v_cmp_lt_u32_e32 vcc, 11, v17
	v_cmp_eq_u32_e64 s[4:5], 2, v17
	v_cndmask_b32_e64 v22, v22, v4, s[4:5]
	s_or_b64 s[10:11], vcc, s[10:11]
	v_cmp_eq_u32_e32 vcc, 3, v17
	v_cndmask_b32_e32 v22, v22, v5, vcc
	v_cmp_eq_u32_e32 vcc, 4, v17
	v_cndmask_b32_e32 v22, v22, v6, vcc
	;; [unrolled: 2-line block ×7, first 2 shown]
	v_cmp_eq_u32_e32 vcc, 10, v17
	ds_read_b32 v21, v20
	v_cndmask_b32_e32 v22, v22, v12, vcc
	v_cmp_eq_u32_e32 vcc, 11, v17
	v_cndmask_b32_e32 v22, v22, v13, vcc
	v_cmp_eq_u32_e32 vcc, 12, v17
	;; [unrolled: 2-line block ×4, first 2 shown]
	v_cndmask_b32_e32 v22, v22, v16, vcc
	v_add_u32_e32 v20, 4, v20
	s_waitcnt lgkmcnt(0)
	v_fmac_f32_e32 v19, v22, v21
	s_andn2_b64 exec, exec, s[10:11]
	s_cbranch_execnz .LBB78_339
; %bb.340:
	s_or_b64 exec, exec, s[10:11]
.LBB78_341:
	s_or_b64 exec, exec, s[8:9]
	v_mov_b32_e32 v15, 0
	ds_read_b32 v15, v15 offset:52
	s_waitcnt lgkmcnt(0)
	v_mul_f32_e32 v15, v19, v15
.LBB78_342:
	s_or_b64 exec, exec, s[6:7]
	v_cmp_ne_u32_e32 vcc, 14, v0
	ds_write_b32 v64, v16
	s_waitcnt lgkmcnt(0)
	; wave barrier
	s_and_saveexec_b64 s[4:5], vcc
	s_cbranch_execz .LBB78_352
; %bb.343:
	s_and_b64 vcc, exec, s[0:1]
	s_cbranch_vccnz .LBB78_345
; %bb.344:
	v_cmp_eq_u32_e32 vcc, 1, v0
	v_cndmask_b32_e32 v17, v2, v3, vcc
	v_cmp_eq_u32_e32 vcc, 2, v0
	v_cndmask_b32_e32 v17, v17, v4, vcc
	;; [unrolled: 2-line block ×10, first 2 shown]
	v_cmp_eq_u32_e32 vcc, 11, v0
	ds_read_b32 v18, v64
	v_cndmask_b32_e32 v17, v17, v13, vcc
	v_cmp_eq_u32_e32 vcc, 12, v0
	v_cndmask_b32_e32 v17, v17, v14, vcc
	v_cmp_eq_u32_e32 vcc, 13, v0
	;; [unrolled: 2-line block ×3, first 2 shown]
	v_cndmask_b32_e32 v17, v17, v16, vcc
	s_waitcnt lgkmcnt(0)
	v_mul_f32_e32 v17, v17, v18
	s_cbranch_execz .LBB78_346
	s_branch .LBB78_347
.LBB78_345:
                                        ; implicit-def: $vgpr17
.LBB78_346:
	ds_read_b32 v17, v64
.LBB78_347:
	s_and_saveexec_b64 s[6:7], s[2:3]
	s_cbranch_execz .LBB78_351
; %bb.348:
	v_mov_b32_e32 v18, 0x44
	v_lshl_add_u32 v18, v0, 2, v18
	s_mov_b64 s[2:3], 0
.LBB78_349:                             ; =>This Inner Loop Header: Depth=1
	v_add_co_u32_e32 v0, vcc, 1, v0
	v_addc_co_u32_e32 v1, vcc, 0, v1, vcc
	v_cmp_eq_u32_e32 vcc, 1, v0
	v_cndmask_b32_e32 v20, v2, v3, vcc
	v_cmp_lt_u32_e32 vcc, 12, v0
	v_cmp_eq_u32_e64 s[0:1], 2, v0
	v_cndmask_b32_e64 v20, v20, v4, s[0:1]
	s_or_b64 s[2:3], vcc, s[2:3]
	v_cmp_eq_u32_e32 vcc, 3, v0
	v_cndmask_b32_e32 v20, v20, v5, vcc
	v_cmp_eq_u32_e32 vcc, 4, v0
	v_cndmask_b32_e32 v20, v20, v6, vcc
	;; [unrolled: 2-line block ×7, first 2 shown]
	v_cmp_eq_u32_e32 vcc, 10, v0
	ds_read_b32 v19, v18
	v_cndmask_b32_e32 v20, v20, v12, vcc
	v_cmp_eq_u32_e32 vcc, 11, v0
	v_cndmask_b32_e32 v20, v20, v13, vcc
	v_cmp_eq_u32_e32 vcc, 12, v0
	;; [unrolled: 2-line block ×4, first 2 shown]
	v_cndmask_b32_e32 v20, v20, v16, vcc
	v_add_u32_e32 v18, 4, v18
	s_waitcnt lgkmcnt(0)
	v_fmac_f32_e32 v17, v20, v19
	s_andn2_b64 exec, exec, s[2:3]
	s_cbranch_execnz .LBB78_349
; %bb.350:
	s_or_b64 exec, exec, s[2:3]
.LBB78_351:
	s_or_b64 exec, exec, s[6:7]
	v_mov_b32_e32 v0, 0
	ds_read_b32 v0, v0 offset:56
	s_waitcnt lgkmcnt(0)
	v_mul_f32_e32 v16, v17, v0
.LBB78_352:
	s_or_b64 exec, exec, s[4:5]
	v_mov_b32_e32 v33, v17
	v_mov_b32_e32 v32, v16
	;; [unrolled: 1-line block ×16, first 2 shown]
.LBB78_353:
	flat_store_dword v[60:61], v18
	flat_store_dword v[62:63], v19
	;; [unrolled: 1-line block ×15, first 2 shown]
.LBB78_354:
	s_endpgm
	.section	.rodata,"a",@progbits
	.p2align	6, 0x0
	.amdhsa_kernel _ZN9rocsolver6v33100L18trti2_kernel_smallILi15EfPKPfEEv13rocblas_fill_17rocblas_diagonal_T1_iil
		.amdhsa_group_segment_fixed_size 124
		.amdhsa_private_segment_fixed_size 0
		.amdhsa_kernarg_size 32
		.amdhsa_user_sgpr_count 6
		.amdhsa_user_sgpr_private_segment_buffer 1
		.amdhsa_user_sgpr_dispatch_ptr 0
		.amdhsa_user_sgpr_queue_ptr 0
		.amdhsa_user_sgpr_kernarg_segment_ptr 1
		.amdhsa_user_sgpr_dispatch_id 0
		.amdhsa_user_sgpr_flat_scratch_init 0
		.amdhsa_user_sgpr_private_segment_size 0
		.amdhsa_uses_dynamic_stack 0
		.amdhsa_system_sgpr_private_segment_wavefront_offset 0
		.amdhsa_system_sgpr_workgroup_id_x 1
		.amdhsa_system_sgpr_workgroup_id_y 0
		.amdhsa_system_sgpr_workgroup_id_z 0
		.amdhsa_system_sgpr_workgroup_info 0
		.amdhsa_system_vgpr_workitem_id 0
		.amdhsa_next_free_vgpr 82
		.amdhsa_next_free_sgpr 40
		.amdhsa_reserve_vcc 1
		.amdhsa_reserve_flat_scratch 0
		.amdhsa_float_round_mode_32 0
		.amdhsa_float_round_mode_16_64 0
		.amdhsa_float_denorm_mode_32 3
		.amdhsa_float_denorm_mode_16_64 3
		.amdhsa_dx10_clamp 1
		.amdhsa_ieee_mode 1
		.amdhsa_fp16_overflow 0
		.amdhsa_exception_fp_ieee_invalid_op 0
		.amdhsa_exception_fp_denorm_src 0
		.amdhsa_exception_fp_ieee_div_zero 0
		.amdhsa_exception_fp_ieee_overflow 0
		.amdhsa_exception_fp_ieee_underflow 0
		.amdhsa_exception_fp_ieee_inexact 0
		.amdhsa_exception_int_div_zero 0
	.end_amdhsa_kernel
	.section	.text._ZN9rocsolver6v33100L18trti2_kernel_smallILi15EfPKPfEEv13rocblas_fill_17rocblas_diagonal_T1_iil,"axG",@progbits,_ZN9rocsolver6v33100L18trti2_kernel_smallILi15EfPKPfEEv13rocblas_fill_17rocblas_diagonal_T1_iil,comdat
.Lfunc_end78:
	.size	_ZN9rocsolver6v33100L18trti2_kernel_smallILi15EfPKPfEEv13rocblas_fill_17rocblas_diagonal_T1_iil, .Lfunc_end78-_ZN9rocsolver6v33100L18trti2_kernel_smallILi15EfPKPfEEv13rocblas_fill_17rocblas_diagonal_T1_iil
                                        ; -- End function
	.set _ZN9rocsolver6v33100L18trti2_kernel_smallILi15EfPKPfEEv13rocblas_fill_17rocblas_diagonal_T1_iil.num_vgpr, 82
	.set _ZN9rocsolver6v33100L18trti2_kernel_smallILi15EfPKPfEEv13rocblas_fill_17rocblas_diagonal_T1_iil.num_agpr, 0
	.set _ZN9rocsolver6v33100L18trti2_kernel_smallILi15EfPKPfEEv13rocblas_fill_17rocblas_diagonal_T1_iil.numbered_sgpr, 40
	.set _ZN9rocsolver6v33100L18trti2_kernel_smallILi15EfPKPfEEv13rocblas_fill_17rocblas_diagonal_T1_iil.num_named_barrier, 0
	.set _ZN9rocsolver6v33100L18trti2_kernel_smallILi15EfPKPfEEv13rocblas_fill_17rocblas_diagonal_T1_iil.private_seg_size, 0
	.set _ZN9rocsolver6v33100L18trti2_kernel_smallILi15EfPKPfEEv13rocblas_fill_17rocblas_diagonal_T1_iil.uses_vcc, 1
	.set _ZN9rocsolver6v33100L18trti2_kernel_smallILi15EfPKPfEEv13rocblas_fill_17rocblas_diagonal_T1_iil.uses_flat_scratch, 0
	.set _ZN9rocsolver6v33100L18trti2_kernel_smallILi15EfPKPfEEv13rocblas_fill_17rocblas_diagonal_T1_iil.has_dyn_sized_stack, 0
	.set _ZN9rocsolver6v33100L18trti2_kernel_smallILi15EfPKPfEEv13rocblas_fill_17rocblas_diagonal_T1_iil.has_recursion, 0
	.set _ZN9rocsolver6v33100L18trti2_kernel_smallILi15EfPKPfEEv13rocblas_fill_17rocblas_diagonal_T1_iil.has_indirect_call, 0
	.section	.AMDGPU.csdata,"",@progbits
; Kernel info:
; codeLenInByte = 16616
; TotalNumSgprs: 44
; NumVgprs: 82
; ScratchSize: 0
; MemoryBound: 0
; FloatMode: 240
; IeeeMode: 1
; LDSByteSize: 124 bytes/workgroup (compile time only)
; SGPRBlocks: 5
; VGPRBlocks: 20
; NumSGPRsForWavesPerEU: 44
; NumVGPRsForWavesPerEU: 82
; Occupancy: 3
; WaveLimiterHint : 1
; COMPUTE_PGM_RSRC2:SCRATCH_EN: 0
; COMPUTE_PGM_RSRC2:USER_SGPR: 6
; COMPUTE_PGM_RSRC2:TRAP_HANDLER: 0
; COMPUTE_PGM_RSRC2:TGID_X_EN: 1
; COMPUTE_PGM_RSRC2:TGID_Y_EN: 0
; COMPUTE_PGM_RSRC2:TGID_Z_EN: 0
; COMPUTE_PGM_RSRC2:TIDIG_COMP_CNT: 0
	.section	.text._ZN9rocsolver6v33100L18trti2_kernel_smallILi16EfPKPfEEv13rocblas_fill_17rocblas_diagonal_T1_iil,"axG",@progbits,_ZN9rocsolver6v33100L18trti2_kernel_smallILi16EfPKPfEEv13rocblas_fill_17rocblas_diagonal_T1_iil,comdat
	.globl	_ZN9rocsolver6v33100L18trti2_kernel_smallILi16EfPKPfEEv13rocblas_fill_17rocblas_diagonal_T1_iil ; -- Begin function _ZN9rocsolver6v33100L18trti2_kernel_smallILi16EfPKPfEEv13rocblas_fill_17rocblas_diagonal_T1_iil
	.p2align	8
	.type	_ZN9rocsolver6v33100L18trti2_kernel_smallILi16EfPKPfEEv13rocblas_fill_17rocblas_diagonal_T1_iil,@function
_ZN9rocsolver6v33100L18trti2_kernel_smallILi16EfPKPfEEv13rocblas_fill_17rocblas_diagonal_T1_iil: ; @_ZN9rocsolver6v33100L18trti2_kernel_smallILi16EfPKPfEEv13rocblas_fill_17rocblas_diagonal_T1_iil
; %bb.0:
	v_cmp_gt_u32_e32 vcc, 16, v0
	s_and_saveexec_b64 s[0:1], vcc
	s_cbranch_execz .LBB79_380
; %bb.1:
	s_load_dwordx2 s[0:1], s[4:5], 0x10
	s_load_dwordx4 s[36:39], s[4:5], 0x0
	s_ashr_i32 s7, s6, 31
	s_lshl_b64 s[2:3], s[6:7], 3
	v_lshlrev_b32_e32 v18, 2, v0
	s_waitcnt lgkmcnt(0)
	s_ashr_i32 s5, s0, 31
	s_add_u32 s2, s38, s2
	s_addc_u32 s3, s39, s3
	s_load_dwordx2 s[2:3], s[2:3], 0x0
	s_mov_b32 s4, s0
	s_lshl_b64 s[4:5], s[4:5], 2
	v_mov_b32_e32 v19, -1.0
	s_waitcnt lgkmcnt(0)
	s_add_u32 s0, s2, s4
	s_addc_u32 s2, s3, s5
	s_add_i32 s3, s1, s1
	v_add_u32_e32 v1, s3, v0
	v_ashrrev_i32_e32 v2, 31, v1
	v_lshlrev_b64 v[2:3], 2, v[1:2]
	v_add_u32_e32 v1, s1, v1
	v_mov_b32_e32 v4, s2
	v_add_co_u32_e32 v34, vcc, s0, v2
	v_ashrrev_i32_e32 v2, 31, v1
	v_addc_co_u32_e32 v35, vcc, v4, v3, vcc
	v_lshlrev_b64 v[2:3], 2, v[1:2]
	v_add_u32_e32 v1, s1, v1
	v_add_co_u32_e32 v36, vcc, s0, v2
	v_ashrrev_i32_e32 v2, 31, v1
	v_addc_co_u32_e32 v37, vcc, v4, v3, vcc
	v_lshlrev_b64 v[2:3], 2, v[1:2]
	v_add_u32_e32 v1, s1, v1
	;; [unrolled: 5-line block ×12, first 2 shown]
	v_add_co_u32_e32 v58, vcc, s0, v2
	v_ashrrev_i32_e32 v2, 31, v1
	v_lshlrev_b64 v[1:2], 2, v[1:2]
	v_addc_co_u32_e32 v59, vcc, v4, v3, vcc
	v_mov_b32_e32 v3, s2
	v_add_co_u32_e32 v60, vcc, s0, v1
	v_addc_co_u32_e32 v61, vcc, v3, v2, vcc
	v_mov_b32_e32 v1, s2
	v_add_co_u32_e32 v62, vcc, s0, v18
	s_ashr_i32 s3, s1, 31
	s_mov_b32 s2, s1
	v_addc_co_u32_e32 v63, vcc, 0, v1, vcc
	s_lshl_b64 s[0:1], s[2:3], 2
	v_mov_b32_e32 v1, s1
	v_add_co_u32_e32 v64, vcc, s0, v62
	v_addc_co_u32_e32 v65, vcc, v63, v1, vcc
	flat_load_dword v2, v[62:63]
	flat_load_dword v3, v[64:65]
	;; [unrolled: 1-line block ×16, first 2 shown]
	s_cmpk_lg_i32 s37, 0x84
	v_mov_b32_e32 v1, 0
	s_cselect_b64 s[34:35], -1, 0
	s_cmpk_eq_i32 s37, 0x84
	v_cmp_eq_u32_e64 s[0:1], 0, v0
	s_cbranch_scc1 .LBB79_3
; %bb.2:
	v_cmp_eq_u32_e64 s[2:3], 1, v0
	s_waitcnt vmcnt(0) lgkmcnt(0)
	v_cndmask_b32_e64 v19, v2, v3, s[2:3]
	v_cmp_eq_u32_e64 s[4:5], 2, v0
	v_cndmask_b32_e64 v19, v19, v4, s[4:5]
	v_cmp_eq_u32_e64 s[6:7], 3, v0
	;; [unrolled: 2-line block ×14, first 2 shown]
	v_cndmask_b32_e64 v19, v19, v17, s[30:31]
	v_div_scale_f32 v20, s[38:39], v19, v19, 1.0
	v_div_scale_f32 v21, vcc, 1.0, v19, 1.0
	v_rcp_f32_e32 v22, v20
	v_fma_f32 v23, -v20, v22, 1.0
	v_fmac_f32_e32 v22, v23, v22
	v_mul_f32_e32 v23, v21, v22
	v_fma_f32 v24, -v20, v23, v21
	v_fmac_f32_e32 v23, v24, v22
	v_fma_f32 v20, -v20, v23, v21
	v_div_fmas_f32 v20, v20, v22, v23
	v_div_fixup_f32 v19, v20, v19, 1.0
	v_cndmask_b32_e64 v17, v17, v19, s[30:31]
	v_cndmask_b32_e64 v16, v16, v19, s[28:29]
	;; [unrolled: 1-line block ×16, first 2 shown]
	v_xor_b32_e32 v19, 0x80000000, v19
.LBB79_3:
	s_cmpk_eq_i32 s36, 0x79
	v_add_u32_e32 v66, 64, v18
	ds_write_b32 v18, v19
	s_cbranch_scc1 .LBB79_7
; %bb.4:
	s_waitcnt vmcnt(0) lgkmcnt(0)
	v_mov_b32_e32 v33, v17
	v_mov_b32_e32 v32, v16
	;; [unrolled: 1-line block ×16, first 2 shown]
	v_cmp_eq_u32_e64 s[0:1], 15, v0
	ds_write_b32 v66, v16
	s_waitcnt lgkmcnt(0)
	; wave barrier
	s_and_saveexec_b64 s[2:3], s[0:1]
	s_cbranch_execz .LBB79_11
; %bb.5:
	s_and_b64 vcc, exec, s[34:35]
	s_cbranch_vccz .LBB79_8
; %bb.6:
	v_cmp_eq_u32_e32 vcc, 1, v0
	v_cndmask_b32_e32 v18, v2, v3, vcc
	v_cmp_eq_u32_e32 vcc, 2, v0
	v_cndmask_b32_e32 v18, v18, v4, vcc
	;; [unrolled: 2-line block ×11, first 2 shown]
	v_cmp_eq_u32_e32 vcc, 12, v0
	ds_read_b32 v19, v66
	v_cndmask_b32_e32 v18, v18, v14, vcc
	v_cmp_eq_u32_e32 vcc, 13, v0
	v_cndmask_b32_e32 v18, v18, v15, vcc
	v_cmp_eq_u32_e32 vcc, 14, v0
	;; [unrolled: 2-line block ×3, first 2 shown]
	v_cndmask_b32_e32 v18, v18, v17, vcc
	s_waitcnt lgkmcnt(0)
	v_mul_f32_e32 v18, v18, v19
	s_cbranch_execz .LBB79_9
	s_branch .LBB79_10
.LBB79_7:
                                        ; implicit-def: $vgpr18_vgpr19_vgpr20_vgpr21_vgpr22_vgpr23_vgpr24_vgpr25_vgpr26_vgpr27_vgpr28_vgpr29_vgpr30_vgpr31_vgpr32_vgpr33
	s_cbranch_execnz .LBB79_226
	s_branch .LBB79_379
.LBB79_8:
                                        ; implicit-def: $vgpr18
.LBB79_9:
	ds_read_b32 v18, v66
.LBB79_10:
	v_mov_b32_e32 v19, 0
	ds_read_b32 v19, v19 offset:56
	s_waitcnt lgkmcnt(0)
	v_mul_f32_e32 v67, v18, v19
	v_mov_b32_e32 v33, v17
	v_mov_b32_e32 v32, v16
	;; [unrolled: 1-line block ×17, first 2 shown]
.LBB79_11:
	s_or_b64 exec, exec, s[2:3]
	v_cmp_lt_u32_e64 s[2:3], 13, v0
	ds_write_b32 v66, v31
	s_waitcnt lgkmcnt(0)
	; wave barrier
	s_and_saveexec_b64 s[4:5], s[2:3]
	s_cbranch_execz .LBB79_17
; %bb.12:
	s_andn2_b64 vcc, exec, s[34:35]
	s_cbranch_vccnz .LBB79_14
; %bb.13:
	v_cmp_eq_u32_e32 vcc, 1, v0
	v_cndmask_b32_e32 v67, v18, v19, vcc
	v_cmp_eq_u32_e32 vcc, 2, v0
	v_cndmask_b32_e32 v67, v67, v20, vcc
	;; [unrolled: 2-line block ×13, first 2 shown]
	ds_read_b32 v67, v66
	v_cmp_eq_u32_e32 vcc, 14, v0
	v_cndmask_b32_e32 v31, v31, v32, vcc
	v_cmp_eq_u32_e32 vcc, 15, v0
	v_cndmask_b32_e32 v31, v31, v33, vcc
	s_waitcnt lgkmcnt(0)
	v_mul_f32_e32 v31, v31, v67
	s_cbranch_execz .LBB79_15
	s_branch .LBB79_16
.LBB79_14:
                                        ; implicit-def: $vgpr31
.LBB79_15:
	ds_read_b32 v31, v66
.LBB79_16:
	v_mov_b32_e32 v67, 0
	ds_read2_b32 v[67:68], v67 offset0:13 offset1:30
	s_waitcnt lgkmcnt(0)
	v_fma_f32 v68, v32, v68, v31
	v_cndmask_b32_e64 v31, v31, v68, s[0:1]
	v_mul_f32_e32 v31, v31, v67
.LBB79_17:
	s_or_b64 exec, exec, s[4:5]
	v_cmp_lt_u32_e64 s[0:1], 12, v0
	ds_write_b32 v66, v30
	s_waitcnt lgkmcnt(0)
	; wave barrier
	s_and_saveexec_b64 s[4:5], s[0:1]
	s_cbranch_execz .LBB79_33
; %bb.18:
	s_andn2_b64 vcc, exec, s[34:35]
	s_cbranch_vccnz .LBB79_20
; %bb.19:
	v_cmp_eq_u32_e32 vcc, 1, v0
	v_cndmask_b32_e32 v67, v18, v19, vcc
	v_cmp_eq_u32_e32 vcc, 2, v0
	v_cndmask_b32_e32 v67, v67, v20, vcc
	;; [unrolled: 2-line block ×11, first 2 shown]
	v_cmp_eq_u32_e32 vcc, 12, v0
	ds_read_b32 v68, v66
	v_cndmask_b32_e32 v67, v67, v30, vcc
	v_cmp_eq_u32_e32 vcc, 13, v0
	v_cndmask_b32_e32 v67, v67, v31, vcc
	v_cmp_eq_u32_e32 vcc, 14, v0
	;; [unrolled: 2-line block ×3, first 2 shown]
	v_cndmask_b32_e32 v67, v67, v33, vcc
	s_waitcnt lgkmcnt(0)
	v_mul_f32_e32 v67, v67, v68
	s_cbranch_execz .LBB79_21
	s_branch .LBB79_22
.LBB79_20:
                                        ; implicit-def: $vgpr67
.LBB79_21:
	ds_read_b32 v67, v66
.LBB79_22:
	s_and_saveexec_b64 s[6:7], s[2:3]
	s_cbranch_execz .LBB79_32
; %bb.23:
	v_add_u32_e32 v68, -14, v0
	v_add_u32_e32 v69, -13, v0
	v_cmp_lt_u32_e32 vcc, 6, v68
	v_mov_b32_e32 v68, 13
	s_and_saveexec_b64 s[2:3], vcc
	s_cbranch_execz .LBB79_27
; %bb.24:
	v_and_b32_e32 v68, -8, v69
	v_sub_u32_e32 v70, 0, v68
	s_mov_b64 s[8:9], 20
	s_movk_i32 s12, 0x74
	s_mov_b64 s[10:11], 0
.LBB79_25:                              ; =>This Inner Loop Header: Depth=1
	s_add_i32 s13, s8, -7
	v_mov_b32_e32 v68, s12
	s_add_i32 s14, s8, -6
	s_set_gpr_idx_on s13, gpr_idx(SRC0)
	v_mov_b32_e32 v77, v18
	s_set_gpr_idx_off
	ds_read2_b32 v[71:72], v68 offset1:1
	s_add_i32 s15, s8, -5
	s_set_gpr_idx_on s14, gpr_idx(SRC0)
	v_mov_b32_e32 v78, v18
	s_set_gpr_idx_off
	s_add_i32 s16, s8, -4
	s_set_gpr_idx_on s15, gpr_idx(SRC0)
	v_mov_b32_e32 v79, v18
	s_set_gpr_idx_off
	ds_read2_b32 v[73:74], v68 offset0:2 offset1:3
	s_add_i32 s17, s8, -3
	s_set_gpr_idx_on s16, gpr_idx(SRC0)
	v_mov_b32_e32 v80, v18
	s_set_gpr_idx_off
	s_add_i32 s18, s8, -2
	s_set_gpr_idx_on s17, gpr_idx(SRC0)
	v_mov_b32_e32 v81, v18
	s_set_gpr_idx_off
	ds_read2_b32 v[75:76], v68 offset0:4 offset1:5
	s_add_i32 s19, s8, -1
	s_waitcnt lgkmcnt(2)
	v_fmac_f32_e32 v67, v77, v71
	s_set_gpr_idx_on s18, gpr_idx(SRC0)
	v_mov_b32_e32 v77, v18
	s_set_gpr_idx_off
	v_fmac_f32_e32 v67, v78, v72
	s_set_gpr_idx_on s19, gpr_idx(SRC0)
	v_mov_b32_e32 v78, v18
	s_set_gpr_idx_off
	ds_read2_b32 v[71:72], v68 offset0:6 offset1:7
	s_waitcnt lgkmcnt(2)
	v_fmac_f32_e32 v67, v79, v73
	s_set_gpr_idx_on s8, gpr_idx(SRC0)
	v_mov_b32_e32 v73, v18
	s_set_gpr_idx_off
	v_fmac_f32_e32 v67, v80, v74
	s_add_u32 s8, s8, 8
	s_waitcnt lgkmcnt(1)
	v_fmac_f32_e32 v67, v81, v75
	v_add_u32_e32 v68, s8, v70
	v_fmac_f32_e32 v67, v77, v76
	s_addc_u32 s9, s9, 0
	s_add_i32 s12, s12, 32
	s_add_i32 s13, s8, -7
	v_cmp_eq_u32_e32 vcc, 20, v68
	s_waitcnt lgkmcnt(0)
	v_fmac_f32_e32 v67, v78, v71
	v_mov_b32_e32 v68, s13
	s_or_b64 s[10:11], vcc, s[10:11]
	v_fmac_f32_e32 v67, v73, v72
	s_andn2_b64 exec, exec, s[10:11]
	s_cbranch_execnz .LBB79_25
; %bb.26:
	s_or_b64 exec, exec, s[10:11]
.LBB79_27:
	s_or_b64 exec, exec, s[2:3]
	v_and_b32_e32 v69, 7, v69
	v_cmp_ne_u32_e32 vcc, 0, v69
	s_and_saveexec_b64 s[8:9], vcc
	s_cbranch_execz .LBB79_31
; %bb.28:
	v_lshl_add_u32 v70, v68, 2, 64
	v_mov_b32_e32 v71, 0
	s_mov_b64 s[10:11], 0
.LBB79_29:                              ; =>This Inner Loop Header: Depth=1
	v_cmp_eq_u32_e32 vcc, 1, v68
	v_cndmask_b32_e32 v72, v18, v19, vcc
	v_add_u32_e32 v69, -1, v69
	v_cmp_eq_u32_e32 vcc, 2, v68
	v_cndmask_b32_e32 v72, v72, v20, vcc
	v_cmp_eq_u32_e32 vcc, 0, v69
	v_cmp_eq_u32_e64 s[2:3], 3, v68
	v_cndmask_b32_e64 v72, v72, v21, s[2:3]
	s_or_b64 s[10:11], vcc, s[10:11]
	v_cmp_eq_u32_e32 vcc, 4, v68
	v_cndmask_b32_e32 v72, v72, v22, vcc
	v_cmp_eq_u32_e32 vcc, 5, v68
	v_cndmask_b32_e32 v72, v72, v23, vcc
	v_cmp_eq_u32_e32 vcc, 6, v68
	v_cndmask_b32_e32 v72, v72, v24, vcc
	v_cmp_eq_u32_e32 vcc, 7, v68
	v_cndmask_b32_e32 v72, v72, v25, vcc
	v_cmp_eq_u32_e32 vcc, 8, v68
	v_cndmask_b32_e32 v72, v72, v26, vcc
	v_cmp_eq_u32_e32 vcc, 9, v68
	v_cndmask_b32_e32 v72, v72, v27, vcc
	v_cmp_eq_u32_e32 vcc, 10, v68
	v_cndmask_b32_e32 v72, v72, v28, vcc
	v_cmp_eq_u32_e32 vcc, 11, v68
	ds_read_b32 v73, v70
	v_cndmask_b32_e32 v72, v72, v29, vcc
	v_cmp_eq_u32_e32 vcc, 12, v68
	v_cndmask_b32_e32 v72, v72, v30, vcc
	v_cmp_eq_u32_e32 vcc, 13, v68
	;; [unrolled: 2-line block ×4, first 2 shown]
	v_add_co_u32_e64 v68, s[2:3], 1, v68
	v_cndmask_b32_e32 v72, v72, v33, vcc
	v_add_u32_e32 v70, 4, v70
	v_addc_co_u32_e64 v71, s[2:3], 0, v71, s[2:3]
	s_waitcnt lgkmcnt(0)
	v_fmac_f32_e32 v67, v72, v73
	s_andn2_b64 exec, exec, s[10:11]
	s_cbranch_execnz .LBB79_29
; %bb.30:
	s_or_b64 exec, exec, s[10:11]
.LBB79_31:
	s_or_b64 exec, exec, s[8:9]
.LBB79_32:
	s_or_b64 exec, exec, s[6:7]
	v_mov_b32_e32 v30, 0
	ds_read_b32 v30, v30 offset:48
	s_waitcnt lgkmcnt(0)
	v_mul_f32_e32 v30, v67, v30
.LBB79_33:
	s_or_b64 exec, exec, s[4:5]
	v_cmp_lt_u32_e64 s[2:3], 11, v0
	ds_write_b32 v66, v29
	s_waitcnt lgkmcnt(0)
	; wave barrier
	s_and_saveexec_b64 s[4:5], s[2:3]
	s_cbranch_execz .LBB79_49
; %bb.34:
	s_andn2_b64 vcc, exec, s[34:35]
	s_cbranch_vccnz .LBB79_36
; %bb.35:
	v_cmp_eq_u32_e32 vcc, 1, v0
	v_cndmask_b32_e32 v67, v18, v19, vcc
	v_cmp_eq_u32_e32 vcc, 2, v0
	v_cndmask_b32_e32 v67, v67, v20, vcc
	;; [unrolled: 2-line block ×11, first 2 shown]
	v_cmp_eq_u32_e32 vcc, 12, v0
	ds_read_b32 v68, v66
	v_cndmask_b32_e32 v67, v67, v30, vcc
	v_cmp_eq_u32_e32 vcc, 13, v0
	v_cndmask_b32_e32 v67, v67, v31, vcc
	v_cmp_eq_u32_e32 vcc, 14, v0
	;; [unrolled: 2-line block ×3, first 2 shown]
	v_cndmask_b32_e32 v67, v67, v33, vcc
	s_waitcnt lgkmcnt(0)
	v_mul_f32_e32 v67, v67, v68
	s_cbranch_execz .LBB79_37
	s_branch .LBB79_38
.LBB79_36:
                                        ; implicit-def: $vgpr67
.LBB79_37:
	ds_read_b32 v67, v66
.LBB79_38:
	s_and_saveexec_b64 s[6:7], s[0:1]
	s_cbranch_execz .LBB79_48
; %bb.39:
	v_add_u32_e32 v68, -13, v0
	v_add_u32_e32 v69, -12, v0
	v_cmp_lt_u32_e32 vcc, 6, v68
	v_mov_b32_e32 v68, 12
	s_and_saveexec_b64 s[0:1], vcc
	s_cbranch_execz .LBB79_43
; %bb.40:
	v_and_b32_e32 v68, -8, v69
	v_sub_u32_e32 v70, 0, v68
	s_mov_b64 s[8:9], 19
	s_movk_i32 s12, 0x70
	s_mov_b64 s[10:11], 0
.LBB79_41:                              ; =>This Inner Loop Header: Depth=1
	s_add_i32 s13, s8, -7
	v_mov_b32_e32 v68, s12
	s_add_i32 s14, s8, -6
	s_set_gpr_idx_on s13, gpr_idx(SRC0)
	v_mov_b32_e32 v79, v18
	s_set_gpr_idx_off
	s_add_i32 s15, s8, -5
	ds_read_b128 v[71:74], v68
	ds_read_b128 v[75:78], v68 offset:16
	s_set_gpr_idx_on s14, gpr_idx(SRC0)
	v_mov_b32_e32 v68, v18
	s_set_gpr_idx_off
	s_add_i32 s16, s8, -4
	s_set_gpr_idx_on s15, gpr_idx(SRC0)
	v_mov_b32_e32 v80, v18
	s_set_gpr_idx_off
	s_add_i32 s17, s8, -3
	;; [unrolled: 4-line block ×4, first 2 shown]
	s_waitcnt lgkmcnt(1)
	v_fmac_f32_e32 v67, v79, v71
	s_set_gpr_idx_on s18, gpr_idx(SRC0)
	v_mov_b32_e32 v71, v18
	s_set_gpr_idx_off
	v_fmac_f32_e32 v67, v68, v72
	s_set_gpr_idx_on s19, gpr_idx(SRC0)
	v_mov_b32_e32 v72, v18
	s_set_gpr_idx_off
	;; [unrolled: 4-line block ×3, first 2 shown]
	v_fmac_f32_e32 v67, v81, v74
	s_add_u32 s8, s8, 8
	s_waitcnt lgkmcnt(0)
	v_fmac_f32_e32 v67, v82, v75
	v_add_u32_e32 v68, s8, v70
	v_fmac_f32_e32 v67, v71, v76
	s_addc_u32 s9, s9, 0
	s_add_i32 s12, s12, 32
	s_add_i32 s13, s8, -7
	v_cmp_eq_u32_e32 vcc, 19, v68
	v_fmac_f32_e32 v67, v72, v77
	v_mov_b32_e32 v68, s13
	s_or_b64 s[10:11], vcc, s[10:11]
	v_fmac_f32_e32 v67, v73, v78
	s_andn2_b64 exec, exec, s[10:11]
	s_cbranch_execnz .LBB79_41
; %bb.42:
	s_or_b64 exec, exec, s[10:11]
.LBB79_43:
	s_or_b64 exec, exec, s[0:1]
	v_and_b32_e32 v69, 7, v69
	v_cmp_ne_u32_e32 vcc, 0, v69
	s_and_saveexec_b64 s[8:9], vcc
	s_cbranch_execz .LBB79_47
; %bb.44:
	v_lshl_add_u32 v70, v68, 2, 64
	v_mov_b32_e32 v71, 0
	s_mov_b64 s[10:11], 0
.LBB79_45:                              ; =>This Inner Loop Header: Depth=1
	v_cmp_eq_u32_e32 vcc, 1, v68
	v_cndmask_b32_e32 v72, v18, v19, vcc
	v_add_u32_e32 v69, -1, v69
	v_cmp_eq_u32_e32 vcc, 2, v68
	v_cndmask_b32_e32 v72, v72, v20, vcc
	v_cmp_eq_u32_e32 vcc, 0, v69
	v_cmp_eq_u32_e64 s[0:1], 3, v68
	v_cndmask_b32_e64 v72, v72, v21, s[0:1]
	s_or_b64 s[10:11], vcc, s[10:11]
	v_cmp_eq_u32_e32 vcc, 4, v68
	v_cndmask_b32_e32 v72, v72, v22, vcc
	v_cmp_eq_u32_e32 vcc, 5, v68
	v_cndmask_b32_e32 v72, v72, v23, vcc
	;; [unrolled: 2-line block ×7, first 2 shown]
	v_cmp_eq_u32_e32 vcc, 11, v68
	ds_read_b32 v73, v70
	v_cndmask_b32_e32 v72, v72, v29, vcc
	v_cmp_eq_u32_e32 vcc, 12, v68
	v_cndmask_b32_e32 v72, v72, v30, vcc
	v_cmp_eq_u32_e32 vcc, 13, v68
	;; [unrolled: 2-line block ×4, first 2 shown]
	v_add_co_u32_e64 v68, s[0:1], 1, v68
	v_cndmask_b32_e32 v72, v72, v33, vcc
	v_add_u32_e32 v70, 4, v70
	v_addc_co_u32_e64 v71, s[0:1], 0, v71, s[0:1]
	s_waitcnt lgkmcnt(0)
	v_fmac_f32_e32 v67, v72, v73
	s_andn2_b64 exec, exec, s[10:11]
	s_cbranch_execnz .LBB79_45
; %bb.46:
	s_or_b64 exec, exec, s[10:11]
.LBB79_47:
	s_or_b64 exec, exec, s[8:9]
.LBB79_48:
	s_or_b64 exec, exec, s[6:7]
	v_mov_b32_e32 v29, 0
	ds_read_b32 v29, v29 offset:44
	s_waitcnt lgkmcnt(0)
	v_mul_f32_e32 v29, v67, v29
.LBB79_49:
	s_or_b64 exec, exec, s[4:5]
	v_cmp_lt_u32_e64 s[0:1], 10, v0
	ds_write_b32 v66, v28
	s_waitcnt lgkmcnt(0)
	; wave barrier
	s_and_saveexec_b64 s[4:5], s[0:1]
	s_cbranch_execz .LBB79_65
; %bb.50:
	s_andn2_b64 vcc, exec, s[34:35]
	s_cbranch_vccnz .LBB79_52
; %bb.51:
	v_cmp_eq_u32_e32 vcc, 1, v0
	v_cndmask_b32_e32 v67, v18, v19, vcc
	v_cmp_eq_u32_e32 vcc, 2, v0
	v_cndmask_b32_e32 v67, v67, v20, vcc
	;; [unrolled: 2-line block ×11, first 2 shown]
	v_cmp_eq_u32_e32 vcc, 12, v0
	ds_read_b32 v68, v66
	v_cndmask_b32_e32 v67, v67, v30, vcc
	v_cmp_eq_u32_e32 vcc, 13, v0
	v_cndmask_b32_e32 v67, v67, v31, vcc
	v_cmp_eq_u32_e32 vcc, 14, v0
	;; [unrolled: 2-line block ×3, first 2 shown]
	v_cndmask_b32_e32 v67, v67, v33, vcc
	s_waitcnt lgkmcnt(0)
	v_mul_f32_e32 v67, v67, v68
	s_cbranch_execz .LBB79_53
	s_branch .LBB79_54
.LBB79_52:
                                        ; implicit-def: $vgpr67
.LBB79_53:
	ds_read_b32 v67, v66
.LBB79_54:
	s_and_saveexec_b64 s[6:7], s[2:3]
	s_cbranch_execz .LBB79_64
; %bb.55:
	v_add_u32_e32 v68, -12, v0
	v_add_u32_e32 v69, -11, v0
	v_cmp_lt_u32_e32 vcc, 6, v68
	v_mov_b32_e32 v68, 11
	s_and_saveexec_b64 s[2:3], vcc
	s_cbranch_execz .LBB79_59
; %bb.56:
	v_and_b32_e32 v68, -8, v69
	v_sub_u32_e32 v70, 0, v68
	s_mov_b64 s[8:9], 18
	s_movk_i32 s12, 0x6c
	s_mov_b64 s[10:11], 0
.LBB79_57:                              ; =>This Inner Loop Header: Depth=1
	s_add_i32 s13, s8, -7
	v_mov_b32_e32 v68, s12
	s_add_i32 s14, s8, -6
	s_set_gpr_idx_on s13, gpr_idx(SRC0)
	v_mov_b32_e32 v77, v18
	s_set_gpr_idx_off
	ds_read2_b32 v[71:72], v68 offset1:1
	s_add_i32 s15, s8, -5
	s_set_gpr_idx_on s14, gpr_idx(SRC0)
	v_mov_b32_e32 v78, v18
	s_set_gpr_idx_off
	s_add_i32 s16, s8, -4
	s_set_gpr_idx_on s15, gpr_idx(SRC0)
	v_mov_b32_e32 v79, v18
	s_set_gpr_idx_off
	ds_read2_b32 v[73:74], v68 offset0:2 offset1:3
	s_add_i32 s17, s8, -3
	s_set_gpr_idx_on s16, gpr_idx(SRC0)
	v_mov_b32_e32 v80, v18
	s_set_gpr_idx_off
	s_add_i32 s18, s8, -2
	s_set_gpr_idx_on s17, gpr_idx(SRC0)
	v_mov_b32_e32 v81, v18
	s_set_gpr_idx_off
	ds_read2_b32 v[75:76], v68 offset0:4 offset1:5
	s_add_i32 s19, s8, -1
	s_waitcnt lgkmcnt(2)
	v_fmac_f32_e32 v67, v77, v71
	s_set_gpr_idx_on s18, gpr_idx(SRC0)
	v_mov_b32_e32 v77, v18
	s_set_gpr_idx_off
	v_fmac_f32_e32 v67, v78, v72
	s_set_gpr_idx_on s19, gpr_idx(SRC0)
	v_mov_b32_e32 v78, v18
	s_set_gpr_idx_off
	ds_read2_b32 v[71:72], v68 offset0:6 offset1:7
	s_waitcnt lgkmcnt(2)
	v_fmac_f32_e32 v67, v79, v73
	s_set_gpr_idx_on s8, gpr_idx(SRC0)
	v_mov_b32_e32 v73, v18
	s_set_gpr_idx_off
	v_fmac_f32_e32 v67, v80, v74
	s_add_u32 s8, s8, 8
	s_waitcnt lgkmcnt(1)
	v_fmac_f32_e32 v67, v81, v75
	v_add_u32_e32 v68, s8, v70
	v_fmac_f32_e32 v67, v77, v76
	s_addc_u32 s9, s9, 0
	s_add_i32 s12, s12, 32
	s_add_i32 s13, s8, -7
	v_cmp_eq_u32_e32 vcc, 18, v68
	s_waitcnt lgkmcnt(0)
	v_fmac_f32_e32 v67, v78, v71
	v_mov_b32_e32 v68, s13
	s_or_b64 s[10:11], vcc, s[10:11]
	v_fmac_f32_e32 v67, v73, v72
	s_andn2_b64 exec, exec, s[10:11]
	s_cbranch_execnz .LBB79_57
; %bb.58:
	s_or_b64 exec, exec, s[10:11]
.LBB79_59:
	s_or_b64 exec, exec, s[2:3]
	v_and_b32_e32 v69, 7, v69
	v_cmp_ne_u32_e32 vcc, 0, v69
	s_and_saveexec_b64 s[8:9], vcc
	s_cbranch_execz .LBB79_63
; %bb.60:
	v_lshl_add_u32 v70, v68, 2, 64
	v_mov_b32_e32 v71, 0
	s_mov_b64 s[10:11], 0
.LBB79_61:                              ; =>This Inner Loop Header: Depth=1
	v_cmp_eq_u32_e32 vcc, 1, v68
	v_cndmask_b32_e32 v72, v18, v19, vcc
	v_add_u32_e32 v69, -1, v69
	v_cmp_eq_u32_e32 vcc, 2, v68
	v_cndmask_b32_e32 v72, v72, v20, vcc
	v_cmp_eq_u32_e32 vcc, 0, v69
	v_cmp_eq_u32_e64 s[2:3], 3, v68
	v_cndmask_b32_e64 v72, v72, v21, s[2:3]
	s_or_b64 s[10:11], vcc, s[10:11]
	v_cmp_eq_u32_e32 vcc, 4, v68
	v_cndmask_b32_e32 v72, v72, v22, vcc
	v_cmp_eq_u32_e32 vcc, 5, v68
	v_cndmask_b32_e32 v72, v72, v23, vcc
	;; [unrolled: 2-line block ×7, first 2 shown]
	v_cmp_eq_u32_e32 vcc, 11, v68
	ds_read_b32 v73, v70
	v_cndmask_b32_e32 v72, v72, v29, vcc
	v_cmp_eq_u32_e32 vcc, 12, v68
	v_cndmask_b32_e32 v72, v72, v30, vcc
	v_cmp_eq_u32_e32 vcc, 13, v68
	;; [unrolled: 2-line block ×4, first 2 shown]
	v_add_co_u32_e64 v68, s[2:3], 1, v68
	v_cndmask_b32_e32 v72, v72, v33, vcc
	v_add_u32_e32 v70, 4, v70
	v_addc_co_u32_e64 v71, s[2:3], 0, v71, s[2:3]
	s_waitcnt lgkmcnt(0)
	v_fmac_f32_e32 v67, v72, v73
	s_andn2_b64 exec, exec, s[10:11]
	s_cbranch_execnz .LBB79_61
; %bb.62:
	s_or_b64 exec, exec, s[10:11]
.LBB79_63:
	s_or_b64 exec, exec, s[8:9]
.LBB79_64:
	s_or_b64 exec, exec, s[6:7]
	v_mov_b32_e32 v28, 0
	ds_read_b32 v28, v28 offset:40
	s_waitcnt lgkmcnt(0)
	v_mul_f32_e32 v28, v67, v28
.LBB79_65:
	s_or_b64 exec, exec, s[4:5]
	v_cmp_lt_u32_e64 s[2:3], 9, v0
	ds_write_b32 v66, v27
	s_waitcnt lgkmcnt(0)
	; wave barrier
	s_and_saveexec_b64 s[4:5], s[2:3]
	s_cbranch_execz .LBB79_81
; %bb.66:
	s_andn2_b64 vcc, exec, s[34:35]
	s_cbranch_vccnz .LBB79_68
; %bb.67:
	v_cmp_eq_u32_e32 vcc, 1, v0
	v_cndmask_b32_e32 v67, v18, v19, vcc
	v_cmp_eq_u32_e32 vcc, 2, v0
	v_cndmask_b32_e32 v67, v67, v20, vcc
	;; [unrolled: 2-line block ×11, first 2 shown]
	v_cmp_eq_u32_e32 vcc, 12, v0
	ds_read_b32 v68, v66
	v_cndmask_b32_e32 v67, v67, v30, vcc
	v_cmp_eq_u32_e32 vcc, 13, v0
	v_cndmask_b32_e32 v67, v67, v31, vcc
	v_cmp_eq_u32_e32 vcc, 14, v0
	;; [unrolled: 2-line block ×3, first 2 shown]
	v_cndmask_b32_e32 v67, v67, v33, vcc
	s_waitcnt lgkmcnt(0)
	v_mul_f32_e32 v67, v67, v68
	s_cbranch_execz .LBB79_69
	s_branch .LBB79_70
.LBB79_68:
                                        ; implicit-def: $vgpr67
.LBB79_69:
	ds_read_b32 v67, v66
.LBB79_70:
	s_and_saveexec_b64 s[6:7], s[0:1]
	s_cbranch_execz .LBB79_80
; %bb.71:
	v_add_u32_e32 v68, -11, v0
	v_add_u32_e32 v69, -10, v0
	v_cmp_lt_u32_e32 vcc, 6, v68
	v_mov_b32_e32 v68, 10
	s_and_saveexec_b64 s[0:1], vcc
	s_cbranch_execz .LBB79_75
; %bb.72:
	v_and_b32_e32 v68, -8, v69
	v_sub_u32_e32 v70, 0, v68
	s_mov_b64 s[8:9], 17
	s_movk_i32 s12, 0x68
	s_mov_b64 s[10:11], 0
.LBB79_73:                              ; =>This Inner Loop Header: Depth=1
	s_add_i32 s13, s8, -7
	v_mov_b32_e32 v68, s12
	s_add_i32 s14, s8, -6
	s_set_gpr_idx_on s13, gpr_idx(SRC0)
	v_mov_b32_e32 v79, v18
	s_set_gpr_idx_off
	ds_read2_b64 v[71:74], v68 offset1:1
	s_add_i32 s15, s8, -5
	s_set_gpr_idx_on s14, gpr_idx(SRC0)
	v_mov_b32_e32 v80, v18
	s_set_gpr_idx_off
	s_add_i32 s16, s8, -4
	s_set_gpr_idx_on s15, gpr_idx(SRC0)
	v_mov_b32_e32 v81, v18
	s_set_gpr_idx_off
	;; [unrolled: 4-line block ×4, first 2 shown]
	ds_read2_b64 v[75:78], v68 offset0:2 offset1:3
	s_add_i32 s19, s8, -1
	s_waitcnt lgkmcnt(1)
	v_fmac_f32_e32 v67, v79, v71
	s_set_gpr_idx_on s18, gpr_idx(SRC0)
	v_mov_b32_e32 v71, v18
	s_set_gpr_idx_off
	v_fmac_f32_e32 v67, v80, v72
	s_set_gpr_idx_on s19, gpr_idx(SRC0)
	v_mov_b32_e32 v72, v18
	s_set_gpr_idx_off
	;; [unrolled: 4-line block ×3, first 2 shown]
	v_fmac_f32_e32 v67, v82, v74
	s_add_u32 s8, s8, 8
	s_waitcnt lgkmcnt(0)
	v_fmac_f32_e32 v67, v83, v75
	v_add_u32_e32 v68, s8, v70
	v_fmac_f32_e32 v67, v71, v76
	s_addc_u32 s9, s9, 0
	s_add_i32 s12, s12, 32
	s_add_i32 s13, s8, -7
	v_cmp_eq_u32_e32 vcc, 17, v68
	v_fmac_f32_e32 v67, v72, v77
	v_mov_b32_e32 v68, s13
	s_or_b64 s[10:11], vcc, s[10:11]
	v_fmac_f32_e32 v67, v73, v78
	s_andn2_b64 exec, exec, s[10:11]
	s_cbranch_execnz .LBB79_73
; %bb.74:
	s_or_b64 exec, exec, s[10:11]
.LBB79_75:
	s_or_b64 exec, exec, s[0:1]
	v_and_b32_e32 v69, 7, v69
	v_cmp_ne_u32_e32 vcc, 0, v69
	s_and_saveexec_b64 s[8:9], vcc
	s_cbranch_execz .LBB79_79
; %bb.76:
	v_lshl_add_u32 v70, v68, 2, 64
	v_mov_b32_e32 v71, 0
	s_mov_b64 s[10:11], 0
.LBB79_77:                              ; =>This Inner Loop Header: Depth=1
	v_cmp_eq_u32_e32 vcc, 1, v68
	v_cndmask_b32_e32 v72, v18, v19, vcc
	v_add_u32_e32 v69, -1, v69
	v_cmp_eq_u32_e32 vcc, 2, v68
	v_cndmask_b32_e32 v72, v72, v20, vcc
	v_cmp_eq_u32_e32 vcc, 0, v69
	v_cmp_eq_u32_e64 s[0:1], 3, v68
	v_cndmask_b32_e64 v72, v72, v21, s[0:1]
	s_or_b64 s[10:11], vcc, s[10:11]
	v_cmp_eq_u32_e32 vcc, 4, v68
	v_cndmask_b32_e32 v72, v72, v22, vcc
	v_cmp_eq_u32_e32 vcc, 5, v68
	v_cndmask_b32_e32 v72, v72, v23, vcc
	;; [unrolled: 2-line block ×7, first 2 shown]
	v_cmp_eq_u32_e32 vcc, 11, v68
	ds_read_b32 v73, v70
	v_cndmask_b32_e32 v72, v72, v29, vcc
	v_cmp_eq_u32_e32 vcc, 12, v68
	v_cndmask_b32_e32 v72, v72, v30, vcc
	v_cmp_eq_u32_e32 vcc, 13, v68
	v_cndmask_b32_e32 v72, v72, v31, vcc
	v_cmp_eq_u32_e32 vcc, 14, v68
	v_cndmask_b32_e32 v72, v72, v32, vcc
	v_cmp_eq_u32_e32 vcc, 15, v68
	v_add_co_u32_e64 v68, s[0:1], 1, v68
	v_cndmask_b32_e32 v72, v72, v33, vcc
	v_add_u32_e32 v70, 4, v70
	v_addc_co_u32_e64 v71, s[0:1], 0, v71, s[0:1]
	s_waitcnt lgkmcnt(0)
	v_fmac_f32_e32 v67, v72, v73
	s_andn2_b64 exec, exec, s[10:11]
	s_cbranch_execnz .LBB79_77
; %bb.78:
	s_or_b64 exec, exec, s[10:11]
.LBB79_79:
	s_or_b64 exec, exec, s[8:9]
.LBB79_80:
	s_or_b64 exec, exec, s[6:7]
	v_mov_b32_e32 v27, 0
	ds_read_b32 v27, v27 offset:36
	s_waitcnt lgkmcnt(0)
	v_mul_f32_e32 v27, v67, v27
.LBB79_81:
	s_or_b64 exec, exec, s[4:5]
	v_cmp_lt_u32_e64 s[0:1], 8, v0
	ds_write_b32 v66, v26
	s_waitcnt lgkmcnt(0)
	; wave barrier
	s_and_saveexec_b64 s[4:5], s[0:1]
	s_cbranch_execz .LBB79_97
; %bb.82:
	s_andn2_b64 vcc, exec, s[34:35]
	s_cbranch_vccnz .LBB79_84
; %bb.83:
	v_cmp_eq_u32_e32 vcc, 1, v0
	v_cndmask_b32_e32 v67, v18, v19, vcc
	v_cmp_eq_u32_e32 vcc, 2, v0
	v_cndmask_b32_e32 v67, v67, v20, vcc
	;; [unrolled: 2-line block ×11, first 2 shown]
	v_cmp_eq_u32_e32 vcc, 12, v0
	ds_read_b32 v68, v66
	v_cndmask_b32_e32 v67, v67, v30, vcc
	v_cmp_eq_u32_e32 vcc, 13, v0
	v_cndmask_b32_e32 v67, v67, v31, vcc
	v_cmp_eq_u32_e32 vcc, 14, v0
	;; [unrolled: 2-line block ×3, first 2 shown]
	v_cndmask_b32_e32 v67, v67, v33, vcc
	s_waitcnt lgkmcnt(0)
	v_mul_f32_e32 v67, v67, v68
	s_cbranch_execz .LBB79_85
	s_branch .LBB79_86
.LBB79_84:
                                        ; implicit-def: $vgpr67
.LBB79_85:
	ds_read_b32 v67, v66
.LBB79_86:
	s_and_saveexec_b64 s[6:7], s[2:3]
	s_cbranch_execz .LBB79_96
; %bb.87:
	v_add_u32_e32 v68, -10, v0
	v_add_u32_e32 v69, -9, v0
	v_cmp_lt_u32_e32 vcc, 6, v68
	v_mov_b32_e32 v68, 9
	s_and_saveexec_b64 s[2:3], vcc
	s_cbranch_execz .LBB79_91
; %bb.88:
	v_and_b32_e32 v68, -8, v69
	v_sub_u32_e32 v70, 0, v68
	s_mov_b64 s[8:9], 16
	s_movk_i32 s12, 0x64
	s_mov_b64 s[10:11], 0
.LBB79_89:                              ; =>This Inner Loop Header: Depth=1
	s_add_i32 s13, s8, -7
	v_mov_b32_e32 v68, s12
	s_add_i32 s14, s8, -6
	s_set_gpr_idx_on s13, gpr_idx(SRC0)
	v_mov_b32_e32 v77, v18
	s_set_gpr_idx_off
	ds_read2_b32 v[71:72], v68 offset1:1
	s_add_i32 s15, s8, -5
	s_set_gpr_idx_on s14, gpr_idx(SRC0)
	v_mov_b32_e32 v78, v18
	s_set_gpr_idx_off
	s_add_i32 s16, s8, -4
	s_set_gpr_idx_on s15, gpr_idx(SRC0)
	v_mov_b32_e32 v79, v18
	s_set_gpr_idx_off
	ds_read2_b32 v[73:74], v68 offset0:2 offset1:3
	s_add_i32 s17, s8, -3
	s_set_gpr_idx_on s16, gpr_idx(SRC0)
	v_mov_b32_e32 v80, v18
	s_set_gpr_idx_off
	s_add_i32 s18, s8, -2
	s_set_gpr_idx_on s17, gpr_idx(SRC0)
	v_mov_b32_e32 v81, v18
	s_set_gpr_idx_off
	ds_read2_b32 v[75:76], v68 offset0:4 offset1:5
	s_add_i32 s19, s8, -1
	s_waitcnt lgkmcnt(2)
	v_fmac_f32_e32 v67, v77, v71
	s_set_gpr_idx_on s18, gpr_idx(SRC0)
	v_mov_b32_e32 v77, v18
	s_set_gpr_idx_off
	v_fmac_f32_e32 v67, v78, v72
	s_set_gpr_idx_on s19, gpr_idx(SRC0)
	v_mov_b32_e32 v78, v18
	s_set_gpr_idx_off
	ds_read2_b32 v[71:72], v68 offset0:6 offset1:7
	s_waitcnt lgkmcnt(2)
	v_fmac_f32_e32 v67, v79, v73
	s_set_gpr_idx_on s8, gpr_idx(SRC0)
	v_mov_b32_e32 v73, v18
	s_set_gpr_idx_off
	v_fmac_f32_e32 v67, v80, v74
	s_add_u32 s8, s8, 8
	s_waitcnt lgkmcnt(1)
	v_fmac_f32_e32 v67, v81, v75
	v_add_u32_e32 v68, s8, v70
	v_fmac_f32_e32 v67, v77, v76
	s_addc_u32 s9, s9, 0
	s_add_i32 s12, s12, 32
	s_add_i32 s13, s8, -7
	v_cmp_eq_u32_e32 vcc, 16, v68
	s_waitcnt lgkmcnt(0)
	v_fmac_f32_e32 v67, v78, v71
	v_mov_b32_e32 v68, s13
	s_or_b64 s[10:11], vcc, s[10:11]
	v_fmac_f32_e32 v67, v73, v72
	s_andn2_b64 exec, exec, s[10:11]
	s_cbranch_execnz .LBB79_89
; %bb.90:
	s_or_b64 exec, exec, s[10:11]
.LBB79_91:
	s_or_b64 exec, exec, s[2:3]
	v_and_b32_e32 v69, 7, v69
	v_cmp_ne_u32_e32 vcc, 0, v69
	s_and_saveexec_b64 s[8:9], vcc
	s_cbranch_execz .LBB79_95
; %bb.92:
	v_lshl_add_u32 v70, v68, 2, 64
	v_mov_b32_e32 v71, 0
	s_mov_b64 s[10:11], 0
.LBB79_93:                              ; =>This Inner Loop Header: Depth=1
	v_cmp_eq_u32_e32 vcc, 1, v68
	v_cndmask_b32_e32 v72, v18, v19, vcc
	v_add_u32_e32 v69, -1, v69
	v_cmp_eq_u32_e32 vcc, 2, v68
	v_cndmask_b32_e32 v72, v72, v20, vcc
	v_cmp_eq_u32_e32 vcc, 0, v69
	v_cmp_eq_u32_e64 s[2:3], 3, v68
	v_cndmask_b32_e64 v72, v72, v21, s[2:3]
	s_or_b64 s[10:11], vcc, s[10:11]
	v_cmp_eq_u32_e32 vcc, 4, v68
	v_cndmask_b32_e32 v72, v72, v22, vcc
	v_cmp_eq_u32_e32 vcc, 5, v68
	v_cndmask_b32_e32 v72, v72, v23, vcc
	;; [unrolled: 2-line block ×7, first 2 shown]
	v_cmp_eq_u32_e32 vcc, 11, v68
	ds_read_b32 v73, v70
	v_cndmask_b32_e32 v72, v72, v29, vcc
	v_cmp_eq_u32_e32 vcc, 12, v68
	v_cndmask_b32_e32 v72, v72, v30, vcc
	v_cmp_eq_u32_e32 vcc, 13, v68
	;; [unrolled: 2-line block ×4, first 2 shown]
	v_add_co_u32_e64 v68, s[2:3], 1, v68
	v_cndmask_b32_e32 v72, v72, v33, vcc
	v_add_u32_e32 v70, 4, v70
	v_addc_co_u32_e64 v71, s[2:3], 0, v71, s[2:3]
	s_waitcnt lgkmcnt(0)
	v_fmac_f32_e32 v67, v72, v73
	s_andn2_b64 exec, exec, s[10:11]
	s_cbranch_execnz .LBB79_93
; %bb.94:
	s_or_b64 exec, exec, s[10:11]
.LBB79_95:
	s_or_b64 exec, exec, s[8:9]
.LBB79_96:
	s_or_b64 exec, exec, s[6:7]
	v_mov_b32_e32 v26, 0
	ds_read_b32 v26, v26 offset:32
	s_waitcnt lgkmcnt(0)
	v_mul_f32_e32 v26, v67, v26
.LBB79_97:
	s_or_b64 exec, exec, s[4:5]
	v_cmp_lt_u32_e64 s[2:3], 7, v0
	ds_write_b32 v66, v25
	s_waitcnt lgkmcnt(0)
	; wave barrier
	s_and_saveexec_b64 s[4:5], s[2:3]
	s_cbranch_execz .LBB79_113
; %bb.98:
	s_andn2_b64 vcc, exec, s[34:35]
	s_cbranch_vccnz .LBB79_100
; %bb.99:
	v_cmp_eq_u32_e32 vcc, 1, v0
	v_cndmask_b32_e32 v67, v18, v19, vcc
	v_cmp_eq_u32_e32 vcc, 2, v0
	v_cndmask_b32_e32 v67, v67, v20, vcc
	;; [unrolled: 2-line block ×11, first 2 shown]
	v_cmp_eq_u32_e32 vcc, 12, v0
	ds_read_b32 v68, v66
	v_cndmask_b32_e32 v67, v67, v30, vcc
	v_cmp_eq_u32_e32 vcc, 13, v0
	v_cndmask_b32_e32 v67, v67, v31, vcc
	v_cmp_eq_u32_e32 vcc, 14, v0
	;; [unrolled: 2-line block ×3, first 2 shown]
	v_cndmask_b32_e32 v67, v67, v33, vcc
	s_waitcnt lgkmcnt(0)
	v_mul_f32_e32 v67, v67, v68
	s_cbranch_execz .LBB79_101
	s_branch .LBB79_102
.LBB79_100:
                                        ; implicit-def: $vgpr67
.LBB79_101:
	ds_read_b32 v67, v66
.LBB79_102:
	s_and_saveexec_b64 s[6:7], s[0:1]
	s_cbranch_execz .LBB79_112
; %bb.103:
	v_add_u32_e32 v68, -9, v0
	v_cmp_lt_u32_e32 vcc, 6, v68
	v_mov_b32_e32 v68, 8
	s_and_saveexec_b64 s[0:1], vcc
	s_cbranch_execz .LBB79_107
; %bb.104:
	v_and_b32_e32 v68, 8, v0
	v_sub_u32_e32 v69, 0, v68
	s_mov_b64 s[8:9], 15
	s_movk_i32 s12, 0x60
	s_mov_b64 s[10:11], 0
.LBB79_105:                             ; =>This Inner Loop Header: Depth=1
	s_add_i32 s13, s8, -7
	v_mov_b32_e32 v68, s12
	s_add_i32 s14, s8, -6
	s_set_gpr_idx_on s13, gpr_idx(SRC0)
	v_mov_b32_e32 v78, v18
	s_set_gpr_idx_off
	s_add_i32 s15, s8, -5
	ds_read_b128 v[70:73], v68
	ds_read_b128 v[74:77], v68 offset:16
	s_set_gpr_idx_on s14, gpr_idx(SRC0)
	v_mov_b32_e32 v68, v18
	s_set_gpr_idx_off
	s_add_i32 s16, s8, -4
	s_set_gpr_idx_on s15, gpr_idx(SRC0)
	v_mov_b32_e32 v79, v18
	s_set_gpr_idx_off
	s_add_i32 s17, s8, -3
	;; [unrolled: 4-line block ×4, first 2 shown]
	s_waitcnt lgkmcnt(1)
	v_fmac_f32_e32 v67, v78, v70
	s_set_gpr_idx_on s18, gpr_idx(SRC0)
	v_mov_b32_e32 v70, v18
	s_set_gpr_idx_off
	v_fmac_f32_e32 v67, v68, v71
	s_set_gpr_idx_on s19, gpr_idx(SRC0)
	v_mov_b32_e32 v71, v18
	s_set_gpr_idx_off
	;; [unrolled: 4-line block ×3, first 2 shown]
	v_fmac_f32_e32 v67, v80, v73
	s_add_u32 s8, s8, 8
	s_waitcnt lgkmcnt(0)
	v_fmac_f32_e32 v67, v81, v74
	v_add_u32_e32 v68, s8, v69
	v_fmac_f32_e32 v67, v70, v75
	s_addc_u32 s9, s9, 0
	s_add_i32 s12, s12, 32
	s_add_i32 s13, s8, -7
	v_cmp_eq_u32_e32 vcc, 7, v68
	v_fmac_f32_e32 v67, v71, v76
	v_mov_b32_e32 v68, s13
	s_or_b64 s[10:11], vcc, s[10:11]
	v_fmac_f32_e32 v67, v72, v77
	s_andn2_b64 exec, exec, s[10:11]
	s_cbranch_execnz .LBB79_105
; %bb.106:
	s_or_b64 exec, exec, s[10:11]
.LBB79_107:
	s_or_b64 exec, exec, s[0:1]
	v_and_b32_e32 v69, 7, v0
	v_cmp_ne_u32_e32 vcc, 0, v69
	s_and_saveexec_b64 s[8:9], vcc
	s_cbranch_execz .LBB79_111
; %bb.108:
	v_lshl_add_u32 v70, v68, 2, 64
	v_mov_b32_e32 v71, 0
	s_mov_b64 s[10:11], 0
.LBB79_109:                             ; =>This Inner Loop Header: Depth=1
	v_cmp_eq_u32_e32 vcc, 1, v68
	v_cndmask_b32_e32 v72, v18, v19, vcc
	v_add_u32_e32 v69, -1, v69
	v_cmp_eq_u32_e32 vcc, 2, v68
	v_cndmask_b32_e32 v72, v72, v20, vcc
	v_cmp_eq_u32_e32 vcc, 0, v69
	v_cmp_eq_u32_e64 s[0:1], 3, v68
	v_cndmask_b32_e64 v72, v72, v21, s[0:1]
	s_or_b64 s[10:11], vcc, s[10:11]
	v_cmp_eq_u32_e32 vcc, 4, v68
	v_cndmask_b32_e32 v72, v72, v22, vcc
	v_cmp_eq_u32_e32 vcc, 5, v68
	v_cndmask_b32_e32 v72, v72, v23, vcc
	;; [unrolled: 2-line block ×7, first 2 shown]
	v_cmp_eq_u32_e32 vcc, 11, v68
	ds_read_b32 v73, v70
	v_cndmask_b32_e32 v72, v72, v29, vcc
	v_cmp_eq_u32_e32 vcc, 12, v68
	v_cndmask_b32_e32 v72, v72, v30, vcc
	v_cmp_eq_u32_e32 vcc, 13, v68
	;; [unrolled: 2-line block ×4, first 2 shown]
	v_add_co_u32_e64 v68, s[0:1], 1, v68
	v_cndmask_b32_e32 v72, v72, v33, vcc
	v_add_u32_e32 v70, 4, v70
	v_addc_co_u32_e64 v71, s[0:1], 0, v71, s[0:1]
	s_waitcnt lgkmcnt(0)
	v_fmac_f32_e32 v67, v72, v73
	s_andn2_b64 exec, exec, s[10:11]
	s_cbranch_execnz .LBB79_109
; %bb.110:
	s_or_b64 exec, exec, s[10:11]
.LBB79_111:
	s_or_b64 exec, exec, s[8:9]
.LBB79_112:
	s_or_b64 exec, exec, s[6:7]
	v_mov_b32_e32 v25, 0
	ds_read_b32 v25, v25 offset:28
	s_waitcnt lgkmcnt(0)
	v_mul_f32_e32 v25, v67, v25
.LBB79_113:
	s_or_b64 exec, exec, s[4:5]
	v_cmp_lt_u32_e64 s[0:1], 6, v0
	ds_write_b32 v66, v24
	s_waitcnt lgkmcnt(0)
	; wave barrier
	s_and_saveexec_b64 s[4:5], s[0:1]
	s_cbranch_execz .LBB79_129
; %bb.114:
	s_andn2_b64 vcc, exec, s[34:35]
	s_cbranch_vccnz .LBB79_116
; %bb.115:
	v_cmp_eq_u32_e32 vcc, 1, v0
	v_cndmask_b32_e32 v67, v18, v19, vcc
	v_cmp_eq_u32_e32 vcc, 2, v0
	v_cndmask_b32_e32 v67, v67, v20, vcc
	;; [unrolled: 2-line block ×11, first 2 shown]
	v_cmp_eq_u32_e32 vcc, 12, v0
	ds_read_b32 v68, v66
	v_cndmask_b32_e32 v67, v67, v30, vcc
	v_cmp_eq_u32_e32 vcc, 13, v0
	v_cndmask_b32_e32 v67, v67, v31, vcc
	v_cmp_eq_u32_e32 vcc, 14, v0
	;; [unrolled: 2-line block ×3, first 2 shown]
	v_cndmask_b32_e32 v67, v67, v33, vcc
	s_waitcnt lgkmcnt(0)
	v_mul_f32_e32 v67, v67, v68
	s_cbranch_execz .LBB79_117
	s_branch .LBB79_118
.LBB79_116:
                                        ; implicit-def: $vgpr67
.LBB79_117:
	ds_read_b32 v67, v66
.LBB79_118:
	s_and_saveexec_b64 s[6:7], s[2:3]
	s_cbranch_execz .LBB79_128
; %bb.119:
	v_add_u32_e32 v68, -8, v0
	v_add_u32_e32 v69, -7, v0
	v_cmp_lt_u32_e32 vcc, 6, v68
	v_mov_b32_e32 v68, 7
	s_and_saveexec_b64 s[2:3], vcc
	s_cbranch_execz .LBB79_123
; %bb.120:
	v_and_b32_e32 v68, -8, v69
	v_sub_u32_e32 v70, 0, v68
	s_mov_b64 s[8:9], 14
	s_movk_i32 s12, 0x5c
	s_mov_b64 s[10:11], 0
.LBB79_121:                             ; =>This Inner Loop Header: Depth=1
	s_add_i32 s13, s8, -7
	v_mov_b32_e32 v68, s12
	s_add_i32 s14, s8, -6
	s_set_gpr_idx_on s13, gpr_idx(SRC0)
	v_mov_b32_e32 v77, v18
	s_set_gpr_idx_off
	ds_read2_b32 v[71:72], v68 offset1:1
	s_add_i32 s15, s8, -5
	s_set_gpr_idx_on s14, gpr_idx(SRC0)
	v_mov_b32_e32 v78, v18
	s_set_gpr_idx_off
	s_add_i32 s16, s8, -4
	s_set_gpr_idx_on s15, gpr_idx(SRC0)
	v_mov_b32_e32 v79, v18
	s_set_gpr_idx_off
	ds_read2_b32 v[73:74], v68 offset0:2 offset1:3
	s_add_i32 s17, s8, -3
	s_set_gpr_idx_on s16, gpr_idx(SRC0)
	v_mov_b32_e32 v80, v18
	s_set_gpr_idx_off
	s_add_i32 s18, s8, -2
	s_set_gpr_idx_on s17, gpr_idx(SRC0)
	v_mov_b32_e32 v81, v18
	s_set_gpr_idx_off
	ds_read2_b32 v[75:76], v68 offset0:4 offset1:5
	s_add_i32 s19, s8, -1
	s_waitcnt lgkmcnt(2)
	v_fmac_f32_e32 v67, v77, v71
	s_set_gpr_idx_on s18, gpr_idx(SRC0)
	v_mov_b32_e32 v77, v18
	s_set_gpr_idx_off
	v_fmac_f32_e32 v67, v78, v72
	s_set_gpr_idx_on s19, gpr_idx(SRC0)
	v_mov_b32_e32 v78, v18
	s_set_gpr_idx_off
	ds_read2_b32 v[71:72], v68 offset0:6 offset1:7
	s_waitcnt lgkmcnt(2)
	v_fmac_f32_e32 v67, v79, v73
	s_set_gpr_idx_on s8, gpr_idx(SRC0)
	v_mov_b32_e32 v73, v18
	s_set_gpr_idx_off
	v_fmac_f32_e32 v67, v80, v74
	s_add_u32 s8, s8, 8
	s_waitcnt lgkmcnt(1)
	v_fmac_f32_e32 v67, v81, v75
	v_add_u32_e32 v68, s8, v70
	v_fmac_f32_e32 v67, v77, v76
	s_addc_u32 s9, s9, 0
	s_add_i32 s12, s12, 32
	s_add_i32 s13, s8, -7
	v_cmp_eq_u32_e32 vcc, 14, v68
	s_waitcnt lgkmcnt(0)
	v_fmac_f32_e32 v67, v78, v71
	v_mov_b32_e32 v68, s13
	s_or_b64 s[10:11], vcc, s[10:11]
	v_fmac_f32_e32 v67, v73, v72
	s_andn2_b64 exec, exec, s[10:11]
	s_cbranch_execnz .LBB79_121
; %bb.122:
	s_or_b64 exec, exec, s[10:11]
.LBB79_123:
	s_or_b64 exec, exec, s[2:3]
	v_and_b32_e32 v69, 7, v69
	v_cmp_ne_u32_e32 vcc, 0, v69
	s_and_saveexec_b64 s[8:9], vcc
	s_cbranch_execz .LBB79_127
; %bb.124:
	v_lshl_add_u32 v70, v68, 2, 64
	v_mov_b32_e32 v71, 0
	s_mov_b64 s[10:11], 0
.LBB79_125:                             ; =>This Inner Loop Header: Depth=1
	v_cmp_eq_u32_e32 vcc, 1, v68
	v_cndmask_b32_e32 v72, v18, v19, vcc
	v_add_u32_e32 v69, -1, v69
	v_cmp_eq_u32_e32 vcc, 2, v68
	v_cndmask_b32_e32 v72, v72, v20, vcc
	v_cmp_eq_u32_e32 vcc, 0, v69
	v_cmp_eq_u32_e64 s[2:3], 3, v68
	v_cndmask_b32_e64 v72, v72, v21, s[2:3]
	s_or_b64 s[10:11], vcc, s[10:11]
	v_cmp_eq_u32_e32 vcc, 4, v68
	v_cndmask_b32_e32 v72, v72, v22, vcc
	v_cmp_eq_u32_e32 vcc, 5, v68
	v_cndmask_b32_e32 v72, v72, v23, vcc
	;; [unrolled: 2-line block ×7, first 2 shown]
	v_cmp_eq_u32_e32 vcc, 11, v68
	ds_read_b32 v73, v70
	v_cndmask_b32_e32 v72, v72, v29, vcc
	v_cmp_eq_u32_e32 vcc, 12, v68
	v_cndmask_b32_e32 v72, v72, v30, vcc
	v_cmp_eq_u32_e32 vcc, 13, v68
	;; [unrolled: 2-line block ×4, first 2 shown]
	v_add_co_u32_e64 v68, s[2:3], 1, v68
	v_cndmask_b32_e32 v72, v72, v33, vcc
	v_add_u32_e32 v70, 4, v70
	v_addc_co_u32_e64 v71, s[2:3], 0, v71, s[2:3]
	s_waitcnt lgkmcnt(0)
	v_fmac_f32_e32 v67, v72, v73
	s_andn2_b64 exec, exec, s[10:11]
	s_cbranch_execnz .LBB79_125
; %bb.126:
	s_or_b64 exec, exec, s[10:11]
.LBB79_127:
	s_or_b64 exec, exec, s[8:9]
.LBB79_128:
	s_or_b64 exec, exec, s[6:7]
	v_mov_b32_e32 v24, 0
	ds_read_b32 v24, v24 offset:24
	s_waitcnt lgkmcnt(0)
	v_mul_f32_e32 v24, v67, v24
.LBB79_129:
	s_or_b64 exec, exec, s[4:5]
	v_cmp_lt_u32_e64 s[2:3], 5, v0
	ds_write_b32 v66, v23
	s_waitcnt lgkmcnt(0)
	; wave barrier
	s_and_saveexec_b64 s[4:5], s[2:3]
	s_cbranch_execz .LBB79_145
; %bb.130:
	s_andn2_b64 vcc, exec, s[34:35]
	s_cbranch_vccnz .LBB79_132
; %bb.131:
	v_cmp_eq_u32_e32 vcc, 1, v0
	v_cndmask_b32_e32 v67, v18, v19, vcc
	v_cmp_eq_u32_e32 vcc, 2, v0
	v_cndmask_b32_e32 v67, v67, v20, vcc
	v_cmp_eq_u32_e32 vcc, 3, v0
	v_cndmask_b32_e32 v67, v67, v21, vcc
	v_cmp_eq_u32_e32 vcc, 4, v0
	v_cndmask_b32_e32 v67, v67, v22, vcc
	v_cmp_eq_u32_e32 vcc, 5, v0
	v_cndmask_b32_e32 v67, v67, v23, vcc
	v_cmp_eq_u32_e32 vcc, 6, v0
	v_cndmask_b32_e32 v67, v67, v24, vcc
	v_cmp_eq_u32_e32 vcc, 7, v0
	v_cndmask_b32_e32 v67, v67, v25, vcc
	v_cmp_eq_u32_e32 vcc, 8, v0
	v_cndmask_b32_e32 v67, v67, v26, vcc
	v_cmp_eq_u32_e32 vcc, 9, v0
	v_cndmask_b32_e32 v67, v67, v27, vcc
	v_cmp_eq_u32_e32 vcc, 10, v0
	v_cndmask_b32_e32 v67, v67, v28, vcc
	v_cmp_eq_u32_e32 vcc, 11, v0
	v_cndmask_b32_e32 v67, v67, v29, vcc
	v_cmp_eq_u32_e32 vcc, 12, v0
	ds_read_b32 v68, v66
	v_cndmask_b32_e32 v67, v67, v30, vcc
	v_cmp_eq_u32_e32 vcc, 13, v0
	v_cndmask_b32_e32 v67, v67, v31, vcc
	v_cmp_eq_u32_e32 vcc, 14, v0
	;; [unrolled: 2-line block ×3, first 2 shown]
	v_cndmask_b32_e32 v67, v67, v33, vcc
	s_waitcnt lgkmcnt(0)
	v_mul_f32_e32 v67, v67, v68
	s_cbranch_execz .LBB79_133
	s_branch .LBB79_134
.LBB79_132:
                                        ; implicit-def: $vgpr67
.LBB79_133:
	ds_read_b32 v67, v66
.LBB79_134:
	s_and_saveexec_b64 s[6:7], s[0:1]
	s_cbranch_execz .LBB79_144
; %bb.135:
	v_add_u32_e32 v70, -7, v0
	v_add_u32_e32 v69, -6, v0
	v_mov_b32_e32 v68, 6
	v_cmp_lt_u32_e32 vcc, 6, v70
	s_and_saveexec_b64 s[0:1], vcc
	s_cbranch_execz .LBB79_139
; %bb.136:
	v_and_b32_e32 v68, -8, v69
	v_sub_u32_e32 v70, 0, v68
	s_mov_b64 s[8:9], 13
	s_movk_i32 s12, 0x58
	s_mov_b64 s[10:11], 0
.LBB79_137:                             ; =>This Inner Loop Header: Depth=1
	s_add_i32 s13, s8, -7
	v_mov_b32_e32 v68, s12
	s_add_i32 s14, s8, -6
	s_set_gpr_idx_on s13, gpr_idx(SRC0)
	v_mov_b32_e32 v79, v18
	s_set_gpr_idx_off
	ds_read2_b64 v[71:74], v68 offset1:1
	s_add_i32 s15, s8, -5
	s_set_gpr_idx_on s14, gpr_idx(SRC0)
	v_mov_b32_e32 v80, v18
	s_set_gpr_idx_off
	s_add_i32 s16, s8, -4
	s_set_gpr_idx_on s15, gpr_idx(SRC0)
	v_mov_b32_e32 v81, v18
	s_set_gpr_idx_off
	;; [unrolled: 4-line block ×4, first 2 shown]
	ds_read2_b64 v[75:78], v68 offset0:2 offset1:3
	s_add_i32 s19, s8, -1
	s_waitcnt lgkmcnt(1)
	v_fmac_f32_e32 v67, v79, v71
	s_set_gpr_idx_on s18, gpr_idx(SRC0)
	v_mov_b32_e32 v71, v18
	s_set_gpr_idx_off
	v_fmac_f32_e32 v67, v80, v72
	s_set_gpr_idx_on s19, gpr_idx(SRC0)
	v_mov_b32_e32 v72, v18
	s_set_gpr_idx_off
	;; [unrolled: 4-line block ×3, first 2 shown]
	v_fmac_f32_e32 v67, v82, v74
	s_add_u32 s8, s8, 8
	s_waitcnt lgkmcnt(0)
	v_fmac_f32_e32 v67, v83, v75
	v_add_u32_e32 v68, s8, v70
	v_fmac_f32_e32 v67, v71, v76
	s_addc_u32 s9, s9, 0
	s_add_i32 s12, s12, 32
	s_add_i32 s13, s8, -7
	v_cmp_eq_u32_e32 vcc, 13, v68
	v_fmac_f32_e32 v67, v72, v77
	v_mov_b32_e32 v68, s13
	s_or_b64 s[10:11], vcc, s[10:11]
	v_fmac_f32_e32 v67, v73, v78
	s_andn2_b64 exec, exec, s[10:11]
	s_cbranch_execnz .LBB79_137
; %bb.138:
	s_or_b64 exec, exec, s[10:11]
.LBB79_139:
	s_or_b64 exec, exec, s[0:1]
	v_and_b32_e32 v69, 7, v69
	v_cmp_ne_u32_e32 vcc, 0, v69
	s_and_saveexec_b64 s[8:9], vcc
	s_cbranch_execz .LBB79_143
; %bb.140:
	v_lshl_add_u32 v70, v68, 2, 64
	v_mov_b32_e32 v71, 0
	s_mov_b64 s[10:11], 0
.LBB79_141:                             ; =>This Inner Loop Header: Depth=1
	v_cmp_eq_u32_e32 vcc, 1, v68
	v_cndmask_b32_e32 v72, v18, v19, vcc
	v_add_u32_e32 v69, -1, v69
	v_cmp_eq_u32_e32 vcc, 2, v68
	v_cndmask_b32_e32 v72, v72, v20, vcc
	v_cmp_eq_u32_e32 vcc, 0, v69
	v_cmp_eq_u32_e64 s[0:1], 3, v68
	v_cndmask_b32_e64 v72, v72, v21, s[0:1]
	s_or_b64 s[10:11], vcc, s[10:11]
	v_cmp_eq_u32_e32 vcc, 4, v68
	v_cndmask_b32_e32 v72, v72, v22, vcc
	v_cmp_eq_u32_e32 vcc, 5, v68
	v_cndmask_b32_e32 v72, v72, v23, vcc
	;; [unrolled: 2-line block ×7, first 2 shown]
	v_cmp_eq_u32_e32 vcc, 11, v68
	ds_read_b32 v73, v70
	v_cndmask_b32_e32 v72, v72, v29, vcc
	v_cmp_eq_u32_e32 vcc, 12, v68
	v_cndmask_b32_e32 v72, v72, v30, vcc
	v_cmp_eq_u32_e32 vcc, 13, v68
	;; [unrolled: 2-line block ×4, first 2 shown]
	v_add_co_u32_e64 v68, s[0:1], 1, v68
	v_cndmask_b32_e32 v72, v72, v33, vcc
	v_add_u32_e32 v70, 4, v70
	v_addc_co_u32_e64 v71, s[0:1], 0, v71, s[0:1]
	s_waitcnt lgkmcnt(0)
	v_fmac_f32_e32 v67, v72, v73
	s_andn2_b64 exec, exec, s[10:11]
	s_cbranch_execnz .LBB79_141
; %bb.142:
	s_or_b64 exec, exec, s[10:11]
.LBB79_143:
	s_or_b64 exec, exec, s[8:9]
.LBB79_144:
	s_or_b64 exec, exec, s[6:7]
	v_mov_b32_e32 v23, 0
	ds_read_b32 v23, v23 offset:20
	s_waitcnt lgkmcnt(0)
	v_mul_f32_e32 v23, v67, v23
.LBB79_145:
	s_or_b64 exec, exec, s[4:5]
	v_cmp_lt_u32_e64 s[0:1], 4, v0
	ds_write_b32 v66, v22
	s_waitcnt lgkmcnt(0)
	; wave barrier
	s_and_saveexec_b64 s[4:5], s[0:1]
	s_cbranch_execz .LBB79_161
; %bb.146:
	s_andn2_b64 vcc, exec, s[34:35]
	s_cbranch_vccnz .LBB79_148
; %bb.147:
	v_cmp_eq_u32_e32 vcc, 1, v0
	v_cndmask_b32_e32 v67, v18, v19, vcc
	v_cmp_eq_u32_e32 vcc, 2, v0
	v_cndmask_b32_e32 v67, v67, v20, vcc
	;; [unrolled: 2-line block ×11, first 2 shown]
	v_cmp_eq_u32_e32 vcc, 12, v0
	ds_read_b32 v68, v66
	v_cndmask_b32_e32 v67, v67, v30, vcc
	v_cmp_eq_u32_e32 vcc, 13, v0
	v_cndmask_b32_e32 v67, v67, v31, vcc
	v_cmp_eq_u32_e32 vcc, 14, v0
	;; [unrolled: 2-line block ×3, first 2 shown]
	v_cndmask_b32_e32 v67, v67, v33, vcc
	s_waitcnt lgkmcnt(0)
	v_mul_f32_e32 v67, v67, v68
	s_cbranch_execz .LBB79_149
	s_branch .LBB79_150
.LBB79_148:
                                        ; implicit-def: $vgpr67
.LBB79_149:
	ds_read_b32 v67, v66
.LBB79_150:
	s_and_saveexec_b64 s[6:7], s[2:3]
	s_cbranch_execz .LBB79_160
; %bb.151:
	v_add_u32_e32 v68, -6, v0
	v_add_u32_e32 v69, -5, v0
	v_cmp_lt_u32_e32 vcc, 6, v68
	v_mov_b32_e32 v68, 5
	s_and_saveexec_b64 s[2:3], vcc
	s_cbranch_execz .LBB79_155
; %bb.152:
	v_and_b32_e32 v68, -8, v69
	v_sub_u32_e32 v70, 0, v68
	s_mov_b64 s[8:9], 12
	s_movk_i32 s12, 0x54
	s_mov_b64 s[10:11], 0
.LBB79_153:                             ; =>This Inner Loop Header: Depth=1
	s_add_i32 s13, s8, -7
	v_mov_b32_e32 v68, s12
	s_add_i32 s14, s8, -6
	s_set_gpr_idx_on s13, gpr_idx(SRC0)
	v_mov_b32_e32 v77, v18
	s_set_gpr_idx_off
	ds_read2_b32 v[71:72], v68 offset1:1
	s_add_i32 s15, s8, -5
	s_set_gpr_idx_on s14, gpr_idx(SRC0)
	v_mov_b32_e32 v78, v18
	s_set_gpr_idx_off
	s_add_i32 s16, s8, -4
	s_set_gpr_idx_on s15, gpr_idx(SRC0)
	v_mov_b32_e32 v79, v18
	s_set_gpr_idx_off
	ds_read2_b32 v[73:74], v68 offset0:2 offset1:3
	s_add_i32 s17, s8, -3
	s_set_gpr_idx_on s16, gpr_idx(SRC0)
	v_mov_b32_e32 v80, v18
	s_set_gpr_idx_off
	s_add_i32 s18, s8, -2
	s_set_gpr_idx_on s17, gpr_idx(SRC0)
	v_mov_b32_e32 v81, v18
	s_set_gpr_idx_off
	ds_read2_b32 v[75:76], v68 offset0:4 offset1:5
	s_add_i32 s19, s8, -1
	s_waitcnt lgkmcnt(2)
	v_fmac_f32_e32 v67, v77, v71
	s_set_gpr_idx_on s18, gpr_idx(SRC0)
	v_mov_b32_e32 v77, v18
	s_set_gpr_idx_off
	v_fmac_f32_e32 v67, v78, v72
	s_set_gpr_idx_on s19, gpr_idx(SRC0)
	v_mov_b32_e32 v78, v18
	s_set_gpr_idx_off
	ds_read2_b32 v[71:72], v68 offset0:6 offset1:7
	s_waitcnt lgkmcnt(2)
	v_fmac_f32_e32 v67, v79, v73
	s_set_gpr_idx_on s8, gpr_idx(SRC0)
	v_mov_b32_e32 v73, v18
	s_set_gpr_idx_off
	v_fmac_f32_e32 v67, v80, v74
	s_add_u32 s8, s8, 8
	s_waitcnt lgkmcnt(1)
	v_fmac_f32_e32 v67, v81, v75
	v_add_u32_e32 v68, s8, v70
	v_fmac_f32_e32 v67, v77, v76
	s_addc_u32 s9, s9, 0
	s_add_i32 s12, s12, 32
	s_add_i32 s13, s8, -7
	v_cmp_eq_u32_e32 vcc, 12, v68
	s_waitcnt lgkmcnt(0)
	v_fmac_f32_e32 v67, v78, v71
	v_mov_b32_e32 v68, s13
	s_or_b64 s[10:11], vcc, s[10:11]
	v_fmac_f32_e32 v67, v73, v72
	s_andn2_b64 exec, exec, s[10:11]
	s_cbranch_execnz .LBB79_153
; %bb.154:
	s_or_b64 exec, exec, s[10:11]
.LBB79_155:
	s_or_b64 exec, exec, s[2:3]
	v_and_b32_e32 v69, 7, v69
	v_cmp_ne_u32_e32 vcc, 0, v69
	s_and_saveexec_b64 s[8:9], vcc
	s_cbranch_execz .LBB79_159
; %bb.156:
	v_lshl_add_u32 v70, v68, 2, 64
	v_mov_b32_e32 v71, 0
	s_mov_b64 s[10:11], 0
.LBB79_157:                             ; =>This Inner Loop Header: Depth=1
	v_cmp_eq_u32_e32 vcc, 1, v68
	v_cndmask_b32_e32 v72, v18, v19, vcc
	v_add_u32_e32 v69, -1, v69
	v_cmp_eq_u32_e32 vcc, 2, v68
	v_cndmask_b32_e32 v72, v72, v20, vcc
	v_cmp_eq_u32_e32 vcc, 0, v69
	v_cmp_eq_u32_e64 s[2:3], 3, v68
	v_cndmask_b32_e64 v72, v72, v21, s[2:3]
	s_or_b64 s[10:11], vcc, s[10:11]
	v_cmp_eq_u32_e32 vcc, 4, v68
	v_cndmask_b32_e32 v72, v72, v22, vcc
	v_cmp_eq_u32_e32 vcc, 5, v68
	v_cndmask_b32_e32 v72, v72, v23, vcc
	;; [unrolled: 2-line block ×7, first 2 shown]
	v_cmp_eq_u32_e32 vcc, 11, v68
	ds_read_b32 v73, v70
	v_cndmask_b32_e32 v72, v72, v29, vcc
	v_cmp_eq_u32_e32 vcc, 12, v68
	v_cndmask_b32_e32 v72, v72, v30, vcc
	v_cmp_eq_u32_e32 vcc, 13, v68
	;; [unrolled: 2-line block ×4, first 2 shown]
	v_add_co_u32_e64 v68, s[2:3], 1, v68
	v_cndmask_b32_e32 v72, v72, v33, vcc
	v_add_u32_e32 v70, 4, v70
	v_addc_co_u32_e64 v71, s[2:3], 0, v71, s[2:3]
	s_waitcnt lgkmcnt(0)
	v_fmac_f32_e32 v67, v72, v73
	s_andn2_b64 exec, exec, s[10:11]
	s_cbranch_execnz .LBB79_157
; %bb.158:
	s_or_b64 exec, exec, s[10:11]
.LBB79_159:
	s_or_b64 exec, exec, s[8:9]
.LBB79_160:
	s_or_b64 exec, exec, s[6:7]
	v_mov_b32_e32 v22, 0
	ds_read_b32 v22, v22 offset:16
	s_waitcnt lgkmcnt(0)
	v_mul_f32_e32 v22, v67, v22
.LBB79_161:
	s_or_b64 exec, exec, s[4:5]
	v_cmp_lt_u32_e64 s[2:3], 3, v0
	ds_write_b32 v66, v21
	s_waitcnt lgkmcnt(0)
	; wave barrier
	s_and_saveexec_b64 s[4:5], s[2:3]
	s_cbranch_execz .LBB79_177
; %bb.162:
	s_andn2_b64 vcc, exec, s[34:35]
	s_cbranch_vccnz .LBB79_164
; %bb.163:
	v_cmp_eq_u32_e32 vcc, 1, v0
	v_cndmask_b32_e32 v67, v18, v19, vcc
	v_cmp_eq_u32_e32 vcc, 2, v0
	v_cndmask_b32_e32 v67, v67, v20, vcc
	;; [unrolled: 2-line block ×11, first 2 shown]
	v_cmp_eq_u32_e32 vcc, 12, v0
	ds_read_b32 v68, v66
	v_cndmask_b32_e32 v67, v67, v30, vcc
	v_cmp_eq_u32_e32 vcc, 13, v0
	v_cndmask_b32_e32 v67, v67, v31, vcc
	v_cmp_eq_u32_e32 vcc, 14, v0
	v_cndmask_b32_e32 v67, v67, v32, vcc
	v_cmp_eq_u32_e32 vcc, 15, v0
	v_cndmask_b32_e32 v67, v67, v33, vcc
	s_waitcnt lgkmcnt(0)
	v_mul_f32_e32 v67, v67, v68
	s_cbranch_execz .LBB79_165
	s_branch .LBB79_166
.LBB79_164:
                                        ; implicit-def: $vgpr67
.LBB79_165:
	ds_read_b32 v67, v66
.LBB79_166:
	s_and_saveexec_b64 s[6:7], s[0:1]
	s_cbranch_execz .LBB79_176
; %bb.167:
	v_add_u32_e32 v68, -5, v0
	v_add_u32_e32 v69, -4, v0
	v_cmp_lt_u32_e32 vcc, 6, v68
	v_mov_b32_e32 v68, 4
	s_and_saveexec_b64 s[0:1], vcc
	s_cbranch_execz .LBB79_171
; %bb.168:
	v_and_b32_e32 v68, -8, v69
	v_sub_u32_e32 v70, 0, v68
	s_mov_b64 s[8:9], 5
	s_movk_i32 s12, 0x50
	s_mov_b64 s[10:11], 0
.LBB79_169:                             ; =>This Inner Loop Header: Depth=1
	s_add_i32 s13, s8, -1
	v_mov_b32_e32 v68, s12
	s_set_gpr_idx_on s13, gpr_idx(SRC0)
	v_mov_b32_e32 v79, v18
	s_set_gpr_idx_off
	s_add_i32 s14, s8, 1
	ds_read_b128 v[71:74], v68
	ds_read_b128 v[75:78], v68 offset:16
	s_set_gpr_idx_on s8, gpr_idx(SRC0)
	v_mov_b32_e32 v80, v18
	s_set_gpr_idx_off
	s_add_i32 s15, s8, 2
	s_set_gpr_idx_on s14, gpr_idx(SRC0)
	v_mov_b32_e32 v81, v18
	s_set_gpr_idx_off
	s_add_i32 s16, s8, 3
	;; [unrolled: 4-line block ×4, first 2 shown]
	s_waitcnt lgkmcnt(1)
	v_fmac_f32_e32 v67, v79, v71
	s_set_gpr_idx_on s17, gpr_idx(SRC0)
	v_mov_b32_e32 v71, v18
	s_set_gpr_idx_off
	s_add_i32 s19, s8, 6
	v_fmac_f32_e32 v67, v80, v72
	s_set_gpr_idx_on s18, gpr_idx(SRC0)
	v_mov_b32_e32 v72, v18
	s_set_gpr_idx_off
	v_fmac_f32_e32 v67, v81, v73
	s_set_gpr_idx_on s19, gpr_idx(SRC0)
	v_mov_b32_e32 v73, v18
	s_set_gpr_idx_off
	v_fmac_f32_e32 v67, v82, v74
	s_add_u32 s8, s8, 8
	s_waitcnt lgkmcnt(0)
	v_fmac_f32_e32 v67, v83, v75
	v_add_u32_e32 v68, s8, v70
	v_fmac_f32_e32 v67, v71, v76
	s_addc_u32 s9, s9, 0
	s_add_i32 s12, s12, 32
	s_add_i32 s13, s8, -1
	v_cmp_eq_u32_e32 vcc, 5, v68
	v_fmac_f32_e32 v67, v72, v77
	v_mov_b32_e32 v68, s13
	s_or_b64 s[10:11], vcc, s[10:11]
	v_fmac_f32_e32 v67, v73, v78
	s_andn2_b64 exec, exec, s[10:11]
	s_cbranch_execnz .LBB79_169
; %bb.170:
	s_or_b64 exec, exec, s[10:11]
.LBB79_171:
	s_or_b64 exec, exec, s[0:1]
	v_and_b32_e32 v69, 7, v69
	v_cmp_ne_u32_e32 vcc, 0, v69
	s_and_saveexec_b64 s[8:9], vcc
	s_cbranch_execz .LBB79_175
; %bb.172:
	v_lshl_add_u32 v70, v68, 2, 64
	v_mov_b32_e32 v71, 0
	s_mov_b64 s[10:11], 0
.LBB79_173:                             ; =>This Inner Loop Header: Depth=1
	v_cmp_eq_u32_e32 vcc, 1, v68
	v_cndmask_b32_e32 v72, v18, v19, vcc
	v_add_u32_e32 v69, -1, v69
	v_cmp_eq_u32_e32 vcc, 2, v68
	v_cndmask_b32_e32 v72, v72, v20, vcc
	v_cmp_eq_u32_e32 vcc, 0, v69
	v_cmp_eq_u32_e64 s[0:1], 3, v68
	v_cndmask_b32_e64 v72, v72, v21, s[0:1]
	s_or_b64 s[10:11], vcc, s[10:11]
	v_cmp_eq_u32_e32 vcc, 4, v68
	v_cndmask_b32_e32 v72, v72, v22, vcc
	v_cmp_eq_u32_e32 vcc, 5, v68
	v_cndmask_b32_e32 v72, v72, v23, vcc
	;; [unrolled: 2-line block ×7, first 2 shown]
	v_cmp_eq_u32_e32 vcc, 11, v68
	ds_read_b32 v73, v70
	v_cndmask_b32_e32 v72, v72, v29, vcc
	v_cmp_eq_u32_e32 vcc, 12, v68
	v_cndmask_b32_e32 v72, v72, v30, vcc
	v_cmp_eq_u32_e32 vcc, 13, v68
	v_cndmask_b32_e32 v72, v72, v31, vcc
	v_cmp_eq_u32_e32 vcc, 14, v68
	v_cndmask_b32_e32 v72, v72, v32, vcc
	v_cmp_eq_u32_e32 vcc, 15, v68
	v_add_co_u32_e64 v68, s[0:1], 1, v68
	v_cndmask_b32_e32 v72, v72, v33, vcc
	v_add_u32_e32 v70, 4, v70
	v_addc_co_u32_e64 v71, s[0:1], 0, v71, s[0:1]
	s_waitcnt lgkmcnt(0)
	v_fmac_f32_e32 v67, v72, v73
	s_andn2_b64 exec, exec, s[10:11]
	s_cbranch_execnz .LBB79_173
; %bb.174:
	s_or_b64 exec, exec, s[10:11]
.LBB79_175:
	s_or_b64 exec, exec, s[8:9]
.LBB79_176:
	s_or_b64 exec, exec, s[6:7]
	v_mov_b32_e32 v21, 0
	ds_read_b32 v21, v21 offset:12
	s_waitcnt lgkmcnt(0)
	v_mul_f32_e32 v21, v67, v21
.LBB79_177:
	s_or_b64 exec, exec, s[4:5]
	v_cmp_lt_u32_e64 s[0:1], 2, v0
	ds_write_b32 v66, v20
	s_waitcnt lgkmcnt(0)
	; wave barrier
	s_and_saveexec_b64 s[4:5], s[0:1]
	s_cbranch_execz .LBB79_193
; %bb.178:
	s_andn2_b64 vcc, exec, s[34:35]
	s_cbranch_vccnz .LBB79_180
; %bb.179:
	v_cmp_eq_u32_e32 vcc, 1, v0
	v_cndmask_b32_e32 v67, v18, v19, vcc
	v_cmp_eq_u32_e32 vcc, 2, v0
	v_cndmask_b32_e32 v67, v67, v20, vcc
	;; [unrolled: 2-line block ×11, first 2 shown]
	v_cmp_eq_u32_e32 vcc, 12, v0
	ds_read_b32 v68, v66
	v_cndmask_b32_e32 v67, v67, v30, vcc
	v_cmp_eq_u32_e32 vcc, 13, v0
	v_cndmask_b32_e32 v67, v67, v31, vcc
	v_cmp_eq_u32_e32 vcc, 14, v0
	;; [unrolled: 2-line block ×3, first 2 shown]
	v_cndmask_b32_e32 v67, v67, v33, vcc
	s_waitcnt lgkmcnt(0)
	v_mul_f32_e32 v67, v67, v68
	s_cbranch_execz .LBB79_181
	s_branch .LBB79_182
.LBB79_180:
                                        ; implicit-def: $vgpr67
.LBB79_181:
	ds_read_b32 v67, v66
.LBB79_182:
	s_and_saveexec_b64 s[6:7], s[2:3]
	s_cbranch_execz .LBB79_192
; %bb.183:
	v_add_u32_e32 v68, -4, v0
	v_add_u32_e32 v69, -3, v0
	v_cmp_lt_u32_e32 vcc, 6, v68
	v_mov_b32_e32 v68, 3
	s_and_saveexec_b64 s[2:3], vcc
	s_cbranch_execz .LBB79_187
; %bb.184:
	v_and_b32_e32 v68, -8, v69
	v_sub_u32_e32 v70, 0, v68
	s_mov_b64 s[8:9], 10
	s_movk_i32 s12, 0x4c
	s_mov_b64 s[10:11], 0
.LBB79_185:                             ; =>This Inner Loop Header: Depth=1
	s_add_i32 s13, s8, -7
	v_mov_b32_e32 v68, s12
	s_add_i32 s14, s8, -6
	s_set_gpr_idx_on s13, gpr_idx(SRC0)
	v_mov_b32_e32 v77, v18
	s_set_gpr_idx_off
	ds_read2_b32 v[71:72], v68 offset1:1
	s_add_i32 s15, s8, -5
	s_set_gpr_idx_on s14, gpr_idx(SRC0)
	v_mov_b32_e32 v78, v18
	s_set_gpr_idx_off
	s_add_i32 s16, s8, -4
	s_set_gpr_idx_on s15, gpr_idx(SRC0)
	v_mov_b32_e32 v79, v18
	s_set_gpr_idx_off
	ds_read2_b32 v[73:74], v68 offset0:2 offset1:3
	s_add_i32 s17, s8, -3
	s_set_gpr_idx_on s16, gpr_idx(SRC0)
	v_mov_b32_e32 v80, v18
	s_set_gpr_idx_off
	s_add_i32 s18, s8, -2
	s_set_gpr_idx_on s17, gpr_idx(SRC0)
	v_mov_b32_e32 v81, v18
	s_set_gpr_idx_off
	ds_read2_b32 v[75:76], v68 offset0:4 offset1:5
	s_add_i32 s19, s8, -1
	s_waitcnt lgkmcnt(2)
	v_fmac_f32_e32 v67, v77, v71
	s_set_gpr_idx_on s18, gpr_idx(SRC0)
	v_mov_b32_e32 v77, v18
	s_set_gpr_idx_off
	v_fmac_f32_e32 v67, v78, v72
	s_set_gpr_idx_on s19, gpr_idx(SRC0)
	v_mov_b32_e32 v78, v18
	s_set_gpr_idx_off
	ds_read2_b32 v[71:72], v68 offset0:6 offset1:7
	s_waitcnt lgkmcnt(2)
	v_fmac_f32_e32 v67, v79, v73
	s_set_gpr_idx_on s8, gpr_idx(SRC0)
	v_mov_b32_e32 v73, v18
	s_set_gpr_idx_off
	v_fmac_f32_e32 v67, v80, v74
	s_add_u32 s8, s8, 8
	s_waitcnt lgkmcnt(1)
	v_fmac_f32_e32 v67, v81, v75
	v_add_u32_e32 v68, s8, v70
	v_fmac_f32_e32 v67, v77, v76
	s_addc_u32 s9, s9, 0
	s_add_i32 s12, s12, 32
	s_add_i32 s13, s8, -7
	v_cmp_eq_u32_e32 vcc, 10, v68
	s_waitcnt lgkmcnt(0)
	v_fmac_f32_e32 v67, v78, v71
	v_mov_b32_e32 v68, s13
	s_or_b64 s[10:11], vcc, s[10:11]
	v_fmac_f32_e32 v67, v73, v72
	s_andn2_b64 exec, exec, s[10:11]
	s_cbranch_execnz .LBB79_185
; %bb.186:
	s_or_b64 exec, exec, s[10:11]
.LBB79_187:
	s_or_b64 exec, exec, s[2:3]
	v_and_b32_e32 v69, 7, v69
	v_cmp_ne_u32_e32 vcc, 0, v69
	s_and_saveexec_b64 s[8:9], vcc
	s_cbranch_execz .LBB79_191
; %bb.188:
	v_lshl_add_u32 v70, v68, 2, 64
	v_mov_b32_e32 v71, 0
	s_mov_b64 s[10:11], 0
.LBB79_189:                             ; =>This Inner Loop Header: Depth=1
	v_cmp_eq_u32_e32 vcc, 1, v68
	v_cndmask_b32_e32 v72, v18, v19, vcc
	v_add_u32_e32 v69, -1, v69
	v_cmp_eq_u32_e32 vcc, 2, v68
	v_cndmask_b32_e32 v72, v72, v20, vcc
	v_cmp_eq_u32_e32 vcc, 0, v69
	v_cmp_eq_u32_e64 s[2:3], 3, v68
	v_cndmask_b32_e64 v72, v72, v21, s[2:3]
	s_or_b64 s[10:11], vcc, s[10:11]
	v_cmp_eq_u32_e32 vcc, 4, v68
	v_cndmask_b32_e32 v72, v72, v22, vcc
	v_cmp_eq_u32_e32 vcc, 5, v68
	v_cndmask_b32_e32 v72, v72, v23, vcc
	;; [unrolled: 2-line block ×7, first 2 shown]
	v_cmp_eq_u32_e32 vcc, 11, v68
	ds_read_b32 v73, v70
	v_cndmask_b32_e32 v72, v72, v29, vcc
	v_cmp_eq_u32_e32 vcc, 12, v68
	v_cndmask_b32_e32 v72, v72, v30, vcc
	v_cmp_eq_u32_e32 vcc, 13, v68
	v_cndmask_b32_e32 v72, v72, v31, vcc
	v_cmp_eq_u32_e32 vcc, 14, v68
	v_cndmask_b32_e32 v72, v72, v32, vcc
	v_cmp_eq_u32_e32 vcc, 15, v68
	v_add_co_u32_e64 v68, s[2:3], 1, v68
	v_cndmask_b32_e32 v72, v72, v33, vcc
	v_add_u32_e32 v70, 4, v70
	v_addc_co_u32_e64 v71, s[2:3], 0, v71, s[2:3]
	s_waitcnt lgkmcnt(0)
	v_fmac_f32_e32 v67, v72, v73
	s_andn2_b64 exec, exec, s[10:11]
	s_cbranch_execnz .LBB79_189
; %bb.190:
	s_or_b64 exec, exec, s[10:11]
.LBB79_191:
	s_or_b64 exec, exec, s[8:9]
.LBB79_192:
	s_or_b64 exec, exec, s[6:7]
	v_mov_b32_e32 v20, 0
	ds_read_b32 v20, v20 offset:8
	s_waitcnt lgkmcnt(0)
	v_mul_f32_e32 v20, v67, v20
.LBB79_193:
	s_or_b64 exec, exec, s[4:5]
	v_cmp_lt_u32_e64 s[2:3], 1, v0
	ds_write_b32 v66, v19
	s_waitcnt lgkmcnt(0)
	; wave barrier
	s_and_saveexec_b64 s[4:5], s[2:3]
	s_cbranch_execz .LBB79_209
; %bb.194:
	s_andn2_b64 vcc, exec, s[34:35]
	s_cbranch_vccnz .LBB79_196
; %bb.195:
	v_cmp_eq_u32_e32 vcc, 1, v0
	v_cndmask_b32_e32 v67, v18, v19, vcc
	v_cmp_eq_u32_e32 vcc, 2, v0
	v_cndmask_b32_e32 v67, v67, v20, vcc
	v_cmp_eq_u32_e32 vcc, 3, v0
	v_cndmask_b32_e32 v67, v67, v21, vcc
	v_cmp_eq_u32_e32 vcc, 4, v0
	v_cndmask_b32_e32 v67, v67, v22, vcc
	v_cmp_eq_u32_e32 vcc, 5, v0
	v_cndmask_b32_e32 v67, v67, v23, vcc
	v_cmp_eq_u32_e32 vcc, 6, v0
	v_cndmask_b32_e32 v67, v67, v24, vcc
	v_cmp_eq_u32_e32 vcc, 7, v0
	v_cndmask_b32_e32 v67, v67, v25, vcc
	v_cmp_eq_u32_e32 vcc, 8, v0
	v_cndmask_b32_e32 v67, v67, v26, vcc
	v_cmp_eq_u32_e32 vcc, 9, v0
	v_cndmask_b32_e32 v67, v67, v27, vcc
	v_cmp_eq_u32_e32 vcc, 10, v0
	v_cndmask_b32_e32 v67, v67, v28, vcc
	v_cmp_eq_u32_e32 vcc, 11, v0
	v_cndmask_b32_e32 v67, v67, v29, vcc
	v_cmp_eq_u32_e32 vcc, 12, v0
	ds_read_b32 v68, v66
	v_cndmask_b32_e32 v67, v67, v30, vcc
	v_cmp_eq_u32_e32 vcc, 13, v0
	v_cndmask_b32_e32 v67, v67, v31, vcc
	v_cmp_eq_u32_e32 vcc, 14, v0
	;; [unrolled: 2-line block ×3, first 2 shown]
	v_cndmask_b32_e32 v67, v67, v33, vcc
	s_waitcnt lgkmcnt(0)
	v_mul_f32_e32 v67, v67, v68
	s_cbranch_execz .LBB79_197
	s_branch .LBB79_198
.LBB79_196:
                                        ; implicit-def: $vgpr67
.LBB79_197:
	ds_read_b32 v67, v66
.LBB79_198:
	s_and_saveexec_b64 s[6:7], s[0:1]
	s_cbranch_execz .LBB79_208
; %bb.199:
	v_add_u32_e32 v68, -3, v0
	v_add_u32_e32 v69, -2, v0
	v_cmp_lt_u32_e32 vcc, 6, v68
	v_mov_b32_e32 v68, 2
	s_and_saveexec_b64 s[0:1], vcc
	s_cbranch_execz .LBB79_203
; %bb.200:
	v_and_b32_e32 v68, -8, v69
	v_sub_u32_e32 v70, 0, v68
	s_mov_b64 s[8:9], 9
	s_movk_i32 s12, 0x48
	s_mov_b64 s[10:11], 0
.LBB79_201:                             ; =>This Inner Loop Header: Depth=1
	s_add_i32 s13, s8, -7
	v_mov_b32_e32 v68, s12
	s_add_i32 s14, s8, -6
	s_set_gpr_idx_on s13, gpr_idx(SRC0)
	v_mov_b32_e32 v79, v18
	s_set_gpr_idx_off
	ds_read2_b64 v[71:74], v68 offset1:1
	s_add_i32 s15, s8, -5
	s_set_gpr_idx_on s14, gpr_idx(SRC0)
	v_mov_b32_e32 v80, v18
	s_set_gpr_idx_off
	s_add_i32 s16, s8, -4
	s_set_gpr_idx_on s15, gpr_idx(SRC0)
	v_mov_b32_e32 v81, v18
	s_set_gpr_idx_off
	;; [unrolled: 4-line block ×4, first 2 shown]
	ds_read2_b64 v[75:78], v68 offset0:2 offset1:3
	s_add_i32 s19, s8, -1
	s_waitcnt lgkmcnt(1)
	v_fmac_f32_e32 v67, v79, v71
	s_set_gpr_idx_on s18, gpr_idx(SRC0)
	v_mov_b32_e32 v71, v18
	s_set_gpr_idx_off
	v_fmac_f32_e32 v67, v80, v72
	s_set_gpr_idx_on s19, gpr_idx(SRC0)
	v_mov_b32_e32 v72, v18
	s_set_gpr_idx_off
	;; [unrolled: 4-line block ×3, first 2 shown]
	v_fmac_f32_e32 v67, v82, v74
	s_add_u32 s8, s8, 8
	s_waitcnt lgkmcnt(0)
	v_fmac_f32_e32 v67, v83, v75
	v_add_u32_e32 v68, s8, v70
	v_fmac_f32_e32 v67, v71, v76
	s_addc_u32 s9, s9, 0
	s_add_i32 s12, s12, 32
	s_add_i32 s13, s8, -7
	v_cmp_eq_u32_e32 vcc, 9, v68
	v_fmac_f32_e32 v67, v72, v77
	v_mov_b32_e32 v68, s13
	s_or_b64 s[10:11], vcc, s[10:11]
	v_fmac_f32_e32 v67, v73, v78
	s_andn2_b64 exec, exec, s[10:11]
	s_cbranch_execnz .LBB79_201
; %bb.202:
	s_or_b64 exec, exec, s[10:11]
.LBB79_203:
	s_or_b64 exec, exec, s[0:1]
	v_and_b32_e32 v69, 7, v69
	v_cmp_ne_u32_e32 vcc, 0, v69
	s_and_saveexec_b64 s[8:9], vcc
	s_cbranch_execz .LBB79_207
; %bb.204:
	v_lshl_add_u32 v70, v68, 2, 64
	v_mov_b32_e32 v71, 0
	s_mov_b64 s[10:11], 0
.LBB79_205:                             ; =>This Inner Loop Header: Depth=1
	v_cmp_eq_u32_e32 vcc, 1, v68
	v_cndmask_b32_e32 v72, v18, v19, vcc
	v_add_u32_e32 v69, -1, v69
	v_cmp_eq_u32_e32 vcc, 2, v68
	v_cndmask_b32_e32 v72, v72, v20, vcc
	v_cmp_eq_u32_e32 vcc, 0, v69
	v_cmp_eq_u32_e64 s[0:1], 3, v68
	v_cndmask_b32_e64 v72, v72, v21, s[0:1]
	s_or_b64 s[10:11], vcc, s[10:11]
	v_cmp_eq_u32_e32 vcc, 4, v68
	v_cndmask_b32_e32 v72, v72, v22, vcc
	v_cmp_eq_u32_e32 vcc, 5, v68
	v_cndmask_b32_e32 v72, v72, v23, vcc
	;; [unrolled: 2-line block ×7, first 2 shown]
	v_cmp_eq_u32_e32 vcc, 11, v68
	ds_read_b32 v73, v70
	v_cndmask_b32_e32 v72, v72, v29, vcc
	v_cmp_eq_u32_e32 vcc, 12, v68
	v_cndmask_b32_e32 v72, v72, v30, vcc
	v_cmp_eq_u32_e32 vcc, 13, v68
	;; [unrolled: 2-line block ×4, first 2 shown]
	v_add_co_u32_e64 v68, s[0:1], 1, v68
	v_cndmask_b32_e32 v72, v72, v33, vcc
	v_add_u32_e32 v70, 4, v70
	v_addc_co_u32_e64 v71, s[0:1], 0, v71, s[0:1]
	s_waitcnt lgkmcnt(0)
	v_fmac_f32_e32 v67, v72, v73
	s_andn2_b64 exec, exec, s[10:11]
	s_cbranch_execnz .LBB79_205
; %bb.206:
	s_or_b64 exec, exec, s[10:11]
.LBB79_207:
	s_or_b64 exec, exec, s[8:9]
.LBB79_208:
	s_or_b64 exec, exec, s[6:7]
	v_mov_b32_e32 v19, 0
	ds_read_b32 v19, v19 offset:4
	s_waitcnt lgkmcnt(0)
	v_mul_f32_e32 v19, v67, v19
.LBB79_209:
	s_or_b64 exec, exec, s[4:5]
	v_cmp_ne_u32_e32 vcc, 0, v0
	ds_write_b32 v66, v18
	s_waitcnt lgkmcnt(0)
	; wave barrier
	s_and_saveexec_b64 s[4:5], vcc
	s_cbranch_execz .LBB79_225
; %bb.210:
	s_andn2_b64 vcc, exec, s[34:35]
	s_cbranch_vccnz .LBB79_212
; %bb.211:
	v_cmp_eq_u32_e32 vcc, 1, v0
	v_cndmask_b32_e32 v67, v18, v19, vcc
	v_cmp_eq_u32_e32 vcc, 2, v0
	v_cndmask_b32_e32 v67, v67, v20, vcc
	;; [unrolled: 2-line block ×11, first 2 shown]
	v_cmp_eq_u32_e32 vcc, 12, v0
	ds_read_b32 v68, v66
	v_cndmask_b32_e32 v67, v67, v30, vcc
	v_cmp_eq_u32_e32 vcc, 13, v0
	v_cndmask_b32_e32 v67, v67, v31, vcc
	v_cmp_eq_u32_e32 vcc, 14, v0
	;; [unrolled: 2-line block ×3, first 2 shown]
	v_cndmask_b32_e32 v67, v67, v33, vcc
	s_waitcnt lgkmcnt(0)
	v_mul_f32_e32 v67, v67, v68
	s_cbranch_execz .LBB79_213
	s_branch .LBB79_214
.LBB79_212:
                                        ; implicit-def: $vgpr67
.LBB79_213:
	ds_read_b32 v67, v66
.LBB79_214:
	s_and_saveexec_b64 s[6:7], s[2:3]
	s_cbranch_execz .LBB79_224
; %bb.215:
	v_add_u32_e32 v68, -2, v0
	v_add_u32_e32 v69, -1, v0
	v_cmp_lt_u32_e32 vcc, 6, v68
	v_mov_b32_e32 v68, 1
	s_and_saveexec_b64 s[0:1], vcc
	s_cbranch_execz .LBB79_219
; %bb.216:
	v_and_b32_e32 v68, -8, v69
	v_sub_u32_e32 v70, 0, v68
	s_mov_b64 s[2:3], 8
	s_movk_i32 s10, 0x44
	s_mov_b64 s[8:9], 0
.LBB79_217:                             ; =>This Inner Loop Header: Depth=1
	s_add_i32 s11, s2, -7
	v_mov_b32_e32 v68, s10
	s_add_i32 s12, s2, -6
	s_set_gpr_idx_on s11, gpr_idx(SRC0)
	v_mov_b32_e32 v77, v18
	s_set_gpr_idx_off
	ds_read2_b32 v[71:72], v68 offset1:1
	s_add_i32 s13, s2, -5
	s_set_gpr_idx_on s12, gpr_idx(SRC0)
	v_mov_b32_e32 v78, v18
	s_set_gpr_idx_off
	s_add_i32 s14, s2, -4
	s_set_gpr_idx_on s13, gpr_idx(SRC0)
	v_mov_b32_e32 v79, v18
	s_set_gpr_idx_off
	ds_read2_b32 v[73:74], v68 offset0:2 offset1:3
	s_add_i32 s15, s2, -3
	s_set_gpr_idx_on s14, gpr_idx(SRC0)
	v_mov_b32_e32 v80, v18
	s_set_gpr_idx_off
	s_add_i32 s16, s2, -2
	s_set_gpr_idx_on s15, gpr_idx(SRC0)
	v_mov_b32_e32 v81, v18
	s_set_gpr_idx_off
	ds_read2_b32 v[75:76], v68 offset0:4 offset1:5
	s_add_i32 s17, s2, -1
	s_waitcnt lgkmcnt(2)
	v_fmac_f32_e32 v67, v77, v71
	s_set_gpr_idx_on s16, gpr_idx(SRC0)
	v_mov_b32_e32 v77, v18
	s_set_gpr_idx_off
	v_fmac_f32_e32 v67, v78, v72
	s_set_gpr_idx_on s17, gpr_idx(SRC0)
	v_mov_b32_e32 v78, v18
	s_set_gpr_idx_off
	ds_read2_b32 v[71:72], v68 offset0:6 offset1:7
	s_waitcnt lgkmcnt(2)
	v_fmac_f32_e32 v67, v79, v73
	s_set_gpr_idx_on s2, gpr_idx(SRC0)
	v_mov_b32_e32 v73, v18
	s_set_gpr_idx_off
	v_fmac_f32_e32 v67, v80, v74
	s_add_u32 s2, s2, 8
	s_waitcnt lgkmcnt(1)
	v_fmac_f32_e32 v67, v81, v75
	v_add_u32_e32 v68, s2, v70
	v_fmac_f32_e32 v67, v77, v76
	s_addc_u32 s3, s3, 0
	s_add_i32 s10, s10, 32
	s_add_i32 s11, s2, -7
	v_cmp_eq_u32_e32 vcc, 8, v68
	s_waitcnt lgkmcnt(0)
	v_fmac_f32_e32 v67, v78, v71
	v_mov_b32_e32 v68, s11
	s_or_b64 s[8:9], vcc, s[8:9]
	v_fmac_f32_e32 v67, v73, v72
	s_andn2_b64 exec, exec, s[8:9]
	s_cbranch_execnz .LBB79_217
; %bb.218:
	s_or_b64 exec, exec, s[8:9]
.LBB79_219:
	s_or_b64 exec, exec, s[0:1]
	v_and_b32_e32 v69, 7, v69
	v_cmp_ne_u32_e32 vcc, 0, v69
	s_and_saveexec_b64 s[2:3], vcc
	s_cbranch_execz .LBB79_223
; %bb.220:
	v_lshl_add_u32 v70, v68, 2, 64
	v_mov_b32_e32 v71, 0
	s_mov_b64 s[8:9], 0
.LBB79_221:                             ; =>This Inner Loop Header: Depth=1
	v_cmp_eq_u32_e32 vcc, 1, v68
	v_cndmask_b32_e32 v72, v18, v19, vcc
	v_add_u32_e32 v69, -1, v69
	v_cmp_eq_u32_e32 vcc, 2, v68
	v_cndmask_b32_e32 v72, v72, v20, vcc
	v_cmp_eq_u32_e32 vcc, 0, v69
	v_cmp_eq_u32_e64 s[0:1], 3, v68
	v_cndmask_b32_e64 v72, v72, v21, s[0:1]
	s_or_b64 s[8:9], vcc, s[8:9]
	v_cmp_eq_u32_e32 vcc, 4, v68
	v_cndmask_b32_e32 v72, v72, v22, vcc
	v_cmp_eq_u32_e32 vcc, 5, v68
	v_cndmask_b32_e32 v72, v72, v23, vcc
	;; [unrolled: 2-line block ×7, first 2 shown]
	v_cmp_eq_u32_e32 vcc, 11, v68
	ds_read_b32 v73, v70
	v_cndmask_b32_e32 v72, v72, v29, vcc
	v_cmp_eq_u32_e32 vcc, 12, v68
	v_cndmask_b32_e32 v72, v72, v30, vcc
	v_cmp_eq_u32_e32 vcc, 13, v68
	v_cndmask_b32_e32 v72, v72, v31, vcc
	v_cmp_eq_u32_e32 vcc, 14, v68
	v_cndmask_b32_e32 v72, v72, v32, vcc
	v_cmp_eq_u32_e32 vcc, 15, v68
	v_add_co_u32_e64 v68, s[0:1], 1, v68
	v_cndmask_b32_e32 v72, v72, v33, vcc
	v_add_u32_e32 v70, 4, v70
	v_addc_co_u32_e64 v71, s[0:1], 0, v71, s[0:1]
	s_waitcnt lgkmcnt(0)
	v_fmac_f32_e32 v67, v72, v73
	s_andn2_b64 exec, exec, s[8:9]
	s_cbranch_execnz .LBB79_221
; %bb.222:
	s_or_b64 exec, exec, s[8:9]
.LBB79_223:
	s_or_b64 exec, exec, s[2:3]
.LBB79_224:
	s_or_b64 exec, exec, s[6:7]
	v_mov_b32_e32 v18, 0
	ds_read_b32 v18, v18
	s_waitcnt lgkmcnt(0)
	v_mul_f32_e32 v18, v67, v18
.LBB79_225:
	s_or_b64 exec, exec, s[4:5]
	s_branch .LBB79_379
.LBB79_226:
	v_cmp_eq_u32_e64 s[2:3], 0, v0
	s_waitcnt vmcnt(0) lgkmcnt(0)
	ds_write_b32 v66, v3
	s_waitcnt lgkmcnt(0)
	; wave barrier
	s_and_saveexec_b64 s[0:1], s[2:3]
	s_cbranch_execz .LBB79_232
; %bb.227:
	s_and_b64 vcc, exec, s[34:35]
	s_cbranch_vccz .LBB79_229
; %bb.228:
	v_cmp_eq_u32_e32 vcc, 1, v0
	v_cndmask_b32_e32 v3, v2, v3, vcc
	v_cmp_eq_u32_e32 vcc, 2, v0
	v_cndmask_b32_e32 v3, v3, v4, vcc
	;; [unrolled: 2-line block ×11, first 2 shown]
	v_cmp_eq_u32_e32 vcc, 12, v0
	ds_read_b32 v18, v66
	v_cndmask_b32_e32 v3, v3, v14, vcc
	v_cmp_eq_u32_e32 vcc, 13, v0
	v_cndmask_b32_e32 v3, v3, v15, vcc
	v_cmp_eq_u32_e32 vcc, 14, v0
	;; [unrolled: 2-line block ×3, first 2 shown]
	v_cndmask_b32_e32 v3, v3, v17, vcc
	s_waitcnt lgkmcnt(0)
	v_mul_f32_e32 v3, v3, v18
	s_cbranch_execz .LBB79_230
	s_branch .LBB79_231
.LBB79_229:
                                        ; implicit-def: $vgpr3
.LBB79_230:
	ds_read_b32 v3, v66
.LBB79_231:
	v_mov_b32_e32 v18, 0
	ds_read_b32 v18, v18 offset:4
	s_waitcnt lgkmcnt(0)
	v_mul_f32_e32 v3, v3, v18
.LBB79_232:
	s_or_b64 exec, exec, s[0:1]
	v_cndmask_b32_e64 v18, 0, 1, s[34:35]
	v_cmp_gt_u32_e32 vcc, 2, v0
	v_cmp_ne_u32_e64 s[0:1], 1, v18
	ds_write_b32 v66, v4
	s_waitcnt lgkmcnt(0)
	; wave barrier
	s_and_saveexec_b64 s[4:5], vcc
	s_cbranch_execz .LBB79_238
; %bb.233:
	s_and_b64 vcc, exec, s[0:1]
	s_cbranch_vccnz .LBB79_235
; %bb.234:
	v_cmp_eq_u32_e32 vcc, 1, v0
	v_cndmask_b32_e32 v18, v2, v3, vcc
	v_cmp_eq_u32_e32 vcc, 2, v0
	v_cndmask_b32_e32 v4, v18, v4, vcc
	;; [unrolled: 2-line block ×11, first 2 shown]
	v_cmp_eq_u32_e32 vcc, 12, v0
	ds_read_b32 v18, v66
	v_cndmask_b32_e32 v4, v4, v14, vcc
	v_cmp_eq_u32_e32 vcc, 13, v0
	v_cndmask_b32_e32 v4, v4, v15, vcc
	v_cmp_eq_u32_e32 vcc, 14, v0
	;; [unrolled: 2-line block ×3, first 2 shown]
	v_cndmask_b32_e32 v4, v4, v17, vcc
	s_waitcnt lgkmcnt(0)
	v_mul_f32_e32 v4, v4, v18
	s_cbranch_execz .LBB79_236
	s_branch .LBB79_237
.LBB79_235:
                                        ; implicit-def: $vgpr4
.LBB79_236:
	ds_read_b32 v4, v66
.LBB79_237:
	v_mov_b32_e32 v18, 0
	ds_read2_b32 v[18:19], v18 offset0:2 offset1:17
	s_waitcnt lgkmcnt(0)
	v_fma_f32 v19, v3, v19, v4
	v_cndmask_b32_e64 v4, v4, v19, s[2:3]
	v_mul_f32_e32 v4, v4, v18
.LBB79_238:
	s_or_b64 exec, exec, s[4:5]
	v_add_u32_e32 v20, 1, v0
	v_cmp_gt_u32_e64 s[4:5], 3, v0
	ds_write_b32 v66, v5
	s_waitcnt lgkmcnt(0)
	; wave barrier
	s_and_saveexec_b64 s[6:7], s[4:5]
	s_cbranch_execz .LBB79_246
; %bb.239:
	s_and_b64 vcc, exec, s[0:1]
	s_cbranch_vccnz .LBB79_241
; %bb.240:
	v_cmp_eq_u32_e32 vcc, 1, v0
	v_cndmask_b32_e32 v18, v2, v3, vcc
	v_cmp_eq_u32_e32 vcc, 2, v0
	v_cndmask_b32_e32 v18, v18, v4, vcc
	;; [unrolled: 2-line block ×11, first 2 shown]
	v_cmp_eq_u32_e32 vcc, 12, v0
	ds_read_b32 v19, v66
	v_cndmask_b32_e32 v18, v18, v14, vcc
	v_cmp_eq_u32_e32 vcc, 13, v0
	v_cndmask_b32_e32 v18, v18, v15, vcc
	v_cmp_eq_u32_e32 vcc, 14, v0
	;; [unrolled: 2-line block ×3, first 2 shown]
	v_cndmask_b32_e32 v18, v18, v17, vcc
	s_waitcnt lgkmcnt(0)
	v_mul_f32_e32 v18, v18, v19
	s_cbranch_execz .LBB79_242
	s_branch .LBB79_243
.LBB79_241:
                                        ; implicit-def: $vgpr18
.LBB79_242:
	ds_read_b32 v18, v66
.LBB79_243:
	v_cmp_ne_u32_e32 vcc, 2, v0
	s_and_saveexec_b64 s[8:9], vcc
	s_cbranch_execz .LBB79_245
; %bb.244:
	v_cmp_eq_u32_e32 vcc, 1, v20
	v_cndmask_b32_e32 v19, v2, v3, vcc
	v_cmp_eq_u32_e32 vcc, 2, v20
	v_cndmask_b32_e32 v19, v19, v4, vcc
	;; [unrolled: 2-line block ×11, first 2 shown]
	v_cmp_eq_u32_e32 vcc, 12, v20
	v_mov_b32_e32 v19, 0
	v_cndmask_b32_e32 v5, v5, v14, vcc
	v_cmp_eq_u32_e32 vcc, 13, v20
	ds_read_b32 v21, v66 offset:4
	ds_read_b32 v19, v19 offset:72
	v_cndmask_b32_e32 v5, v5, v15, vcc
	v_cmp_eq_u32_e32 vcc, 14, v20
	v_cndmask_b32_e32 v5, v5, v16, vcc
	v_cmp_eq_u32_e32 vcc, 15, v20
	v_cndmask_b32_e32 v5, v5, v17, vcc
	s_waitcnt lgkmcnt(1)
	v_fmac_f32_e32 v18, v5, v21
	s_waitcnt lgkmcnt(0)
	v_fma_f32 v5, v4, v19, v18
	v_cndmask_b32_e64 v18, v18, v5, s[2:3]
.LBB79_245:
	s_or_b64 exec, exec, s[8:9]
	v_mov_b32_e32 v5, 0
	ds_read_b32 v5, v5 offset:12
	s_waitcnt lgkmcnt(0)
	v_mul_f32_e32 v5, v18, v5
.LBB79_246:
	s_or_b64 exec, exec, s[6:7]
	v_cmp_gt_u32_e32 vcc, 4, v0
	ds_write_b32 v66, v6
	s_waitcnt lgkmcnt(0)
	; wave barrier
	s_and_saveexec_b64 s[8:9], vcc
	s_cbranch_execz .LBB79_256
; %bb.247:
	s_and_b64 vcc, exec, s[0:1]
	s_cbranch_vccnz .LBB79_249
; %bb.248:
	v_cmp_eq_u32_e32 vcc, 1, v0
	v_cndmask_b32_e32 v18, v2, v3, vcc
	v_cmp_eq_u32_e32 vcc, 2, v0
	v_cndmask_b32_e32 v18, v18, v4, vcc
	;; [unrolled: 2-line block ×11, first 2 shown]
	v_cmp_eq_u32_e32 vcc, 12, v0
	ds_read_b32 v19, v66
	v_cndmask_b32_e32 v18, v18, v14, vcc
	v_cmp_eq_u32_e32 vcc, 13, v0
	v_cndmask_b32_e32 v18, v18, v15, vcc
	v_cmp_eq_u32_e32 vcc, 14, v0
	;; [unrolled: 2-line block ×3, first 2 shown]
	v_cndmask_b32_e32 v18, v18, v17, vcc
	s_waitcnt lgkmcnt(0)
	v_mul_f32_e32 v21, v18, v19
	s_cbranch_execz .LBB79_250
	s_branch .LBB79_251
.LBB79_249:
                                        ; implicit-def: $vgpr21
.LBB79_250:
	ds_read_b32 v21, v66
.LBB79_251:
	v_cmp_ne_u32_e32 vcc, 3, v0
	s_and_saveexec_b64 s[10:11], vcc
	s_cbranch_execz .LBB79_255
; %bb.252:
	v_mov_b32_e32 v18, 0x44
	v_lshl_add_u32 v22, v0, 2, v18
	v_mov_b32_e32 v19, v1
	s_mov_b64 s[12:13], 0
	v_mov_b32_e32 v18, v0
.LBB79_253:                             ; =>This Inner Loop Header: Depth=1
	v_add_co_u32_e32 v18, vcc, 1, v18
	v_addc_co_u32_e32 v19, vcc, 0, v19, vcc
	v_cmp_eq_u32_e32 vcc, 1, v18
	v_cndmask_b32_e32 v24, v2, v3, vcc
	v_cmp_lt_u32_e32 vcc, 2, v18
	v_cmp_eq_u32_e64 s[6:7], 2, v18
	v_cndmask_b32_e64 v24, v24, v4, s[6:7]
	s_or_b64 s[12:13], vcc, s[12:13]
	v_cmp_eq_u32_e32 vcc, 3, v18
	v_cndmask_b32_e32 v24, v24, v5, vcc
	v_cmp_eq_u32_e32 vcc, 4, v18
	v_cndmask_b32_e32 v24, v24, v6, vcc
	;; [unrolled: 2-line block ×8, first 2 shown]
	v_cmp_eq_u32_e32 vcc, 11, v18
	ds_read_b32 v23, v22
	v_cndmask_b32_e32 v24, v24, v13, vcc
	v_cmp_eq_u32_e32 vcc, 12, v18
	v_cndmask_b32_e32 v24, v24, v14, vcc
	v_cmp_eq_u32_e32 vcc, 13, v18
	;; [unrolled: 2-line block ×4, first 2 shown]
	v_cndmask_b32_e32 v24, v24, v17, vcc
	v_add_u32_e32 v22, 4, v22
	s_waitcnt lgkmcnt(0)
	v_fmac_f32_e32 v21, v24, v23
	s_andn2_b64 exec, exec, s[12:13]
	s_cbranch_execnz .LBB79_253
; %bb.254:
	s_or_b64 exec, exec, s[12:13]
.LBB79_255:
	s_or_b64 exec, exec, s[10:11]
	v_mov_b32_e32 v6, 0
	ds_read_b32 v6, v6 offset:16
	s_waitcnt lgkmcnt(0)
	v_mul_f32_e32 v6, v21, v6
.LBB79_256:
	s_or_b64 exec, exec, s[8:9]
	v_cmp_gt_u32_e64 s[6:7], 5, v0
	ds_write_b32 v66, v7
	s_waitcnt lgkmcnt(0)
	; wave barrier
	s_and_saveexec_b64 s[10:11], s[6:7]
	s_cbranch_execz .LBB79_266
; %bb.257:
	s_and_b64 vcc, exec, s[0:1]
	s_cbranch_vccnz .LBB79_259
; %bb.258:
	v_cmp_eq_u32_e32 vcc, 1, v0
	v_cndmask_b32_e32 v18, v2, v3, vcc
	v_cmp_eq_u32_e32 vcc, 2, v0
	v_cndmask_b32_e32 v18, v18, v4, vcc
	;; [unrolled: 2-line block ×11, first 2 shown]
	v_cmp_eq_u32_e32 vcc, 12, v0
	ds_read_b32 v19, v66
	v_cndmask_b32_e32 v18, v18, v14, vcc
	v_cmp_eq_u32_e32 vcc, 13, v0
	v_cndmask_b32_e32 v18, v18, v15, vcc
	v_cmp_eq_u32_e32 vcc, 14, v0
	;; [unrolled: 2-line block ×3, first 2 shown]
	v_cndmask_b32_e32 v18, v18, v17, vcc
	s_waitcnt lgkmcnt(0)
	v_mul_f32_e32 v21, v18, v19
	s_cbranch_execz .LBB79_260
	s_branch .LBB79_261
.LBB79_259:
                                        ; implicit-def: $vgpr21
.LBB79_260:
	ds_read_b32 v21, v66
.LBB79_261:
	v_cmp_ne_u32_e32 vcc, 4, v0
	s_and_saveexec_b64 s[12:13], vcc
	s_cbranch_execz .LBB79_265
; %bb.262:
	v_mov_b32_e32 v18, 0x44
	v_lshl_add_u32 v22, v0, 2, v18
	v_mov_b32_e32 v19, v1
	s_mov_b64 s[14:15], 0
	v_mov_b32_e32 v18, v0
.LBB79_263:                             ; =>This Inner Loop Header: Depth=1
	v_add_co_u32_e32 v18, vcc, 1, v18
	v_addc_co_u32_e32 v19, vcc, 0, v19, vcc
	v_cmp_eq_u32_e32 vcc, 1, v18
	v_cndmask_b32_e32 v24, v2, v3, vcc
	v_cmp_lt_u32_e32 vcc, 3, v18
	v_cmp_eq_u32_e64 s[8:9], 2, v18
	v_cndmask_b32_e64 v24, v24, v4, s[8:9]
	s_or_b64 s[14:15], vcc, s[14:15]
	v_cmp_eq_u32_e32 vcc, 3, v18
	v_cndmask_b32_e32 v24, v24, v5, vcc
	v_cmp_eq_u32_e32 vcc, 4, v18
	v_cndmask_b32_e32 v24, v24, v6, vcc
	;; [unrolled: 2-line block ×8, first 2 shown]
	v_cmp_eq_u32_e32 vcc, 11, v18
	ds_read_b32 v23, v22
	v_cndmask_b32_e32 v24, v24, v13, vcc
	v_cmp_eq_u32_e32 vcc, 12, v18
	v_cndmask_b32_e32 v24, v24, v14, vcc
	v_cmp_eq_u32_e32 vcc, 13, v18
	;; [unrolled: 2-line block ×4, first 2 shown]
	v_cndmask_b32_e32 v24, v24, v17, vcc
	v_add_u32_e32 v22, 4, v22
	s_waitcnt lgkmcnt(0)
	v_fmac_f32_e32 v21, v24, v23
	s_andn2_b64 exec, exec, s[14:15]
	s_cbranch_execnz .LBB79_263
; %bb.264:
	s_or_b64 exec, exec, s[14:15]
.LBB79_265:
	s_or_b64 exec, exec, s[12:13]
	v_mov_b32_e32 v7, 0
	ds_read_b32 v7, v7 offset:20
	s_waitcnt lgkmcnt(0)
	v_mul_f32_e32 v7, v21, v7
.LBB79_266:
	s_or_b64 exec, exec, s[10:11]
	v_cmp_gt_u32_e32 vcc, 6, v0
	ds_write_b32 v66, v8
	s_waitcnt lgkmcnt(0)
	; wave barrier
	s_and_saveexec_b64 s[10:11], vcc
	s_cbranch_execz .LBB79_276
; %bb.267:
	s_and_b64 vcc, exec, s[0:1]
	s_cbranch_vccnz .LBB79_269
; %bb.268:
	v_cmp_eq_u32_e32 vcc, 1, v0
	v_cndmask_b32_e32 v18, v2, v3, vcc
	v_cmp_eq_u32_e32 vcc, 2, v0
	v_cndmask_b32_e32 v18, v18, v4, vcc
	;; [unrolled: 2-line block ×11, first 2 shown]
	v_cmp_eq_u32_e32 vcc, 12, v0
	ds_read_b32 v19, v66
	v_cndmask_b32_e32 v18, v18, v14, vcc
	v_cmp_eq_u32_e32 vcc, 13, v0
	v_cndmask_b32_e32 v18, v18, v15, vcc
	v_cmp_eq_u32_e32 vcc, 14, v0
	;; [unrolled: 2-line block ×3, first 2 shown]
	v_cndmask_b32_e32 v18, v18, v17, vcc
	s_waitcnt lgkmcnt(0)
	v_mul_f32_e32 v21, v18, v19
	s_cbranch_execz .LBB79_270
	s_branch .LBB79_271
.LBB79_269:
                                        ; implicit-def: $vgpr21
.LBB79_270:
	ds_read_b32 v21, v66
.LBB79_271:
	v_cmp_ne_u32_e32 vcc, 5, v0
	s_and_saveexec_b64 s[12:13], vcc
	s_cbranch_execz .LBB79_275
; %bb.272:
	v_mov_b32_e32 v18, 0x44
	v_lshl_add_u32 v22, v0, 2, v18
	v_mov_b32_e32 v19, v1
	s_mov_b64 s[14:15], 0
	v_mov_b32_e32 v18, v0
.LBB79_273:                             ; =>This Inner Loop Header: Depth=1
	v_add_co_u32_e32 v18, vcc, 1, v18
	v_addc_co_u32_e32 v19, vcc, 0, v19, vcc
	v_cmp_eq_u32_e32 vcc, 1, v18
	v_cndmask_b32_e32 v24, v2, v3, vcc
	v_cmp_lt_u32_e32 vcc, 4, v18
	v_cmp_eq_u32_e64 s[8:9], 2, v18
	v_cndmask_b32_e64 v24, v24, v4, s[8:9]
	s_or_b64 s[14:15], vcc, s[14:15]
	v_cmp_eq_u32_e32 vcc, 3, v18
	v_cndmask_b32_e32 v24, v24, v5, vcc
	v_cmp_eq_u32_e32 vcc, 4, v18
	v_cndmask_b32_e32 v24, v24, v6, vcc
	;; [unrolled: 2-line block ×8, first 2 shown]
	v_cmp_eq_u32_e32 vcc, 11, v18
	ds_read_b32 v23, v22
	v_cndmask_b32_e32 v24, v24, v13, vcc
	v_cmp_eq_u32_e32 vcc, 12, v18
	v_cndmask_b32_e32 v24, v24, v14, vcc
	v_cmp_eq_u32_e32 vcc, 13, v18
	;; [unrolled: 2-line block ×4, first 2 shown]
	v_cndmask_b32_e32 v24, v24, v17, vcc
	v_add_u32_e32 v22, 4, v22
	s_waitcnt lgkmcnt(0)
	v_fmac_f32_e32 v21, v24, v23
	s_andn2_b64 exec, exec, s[14:15]
	s_cbranch_execnz .LBB79_273
; %bb.274:
	s_or_b64 exec, exec, s[14:15]
.LBB79_275:
	s_or_b64 exec, exec, s[12:13]
	v_mov_b32_e32 v8, 0
	ds_read_b32 v8, v8 offset:24
	s_waitcnt lgkmcnt(0)
	v_mul_f32_e32 v8, v21, v8
.LBB79_276:
	s_or_b64 exec, exec, s[10:11]
	v_cmp_gt_u32_e64 s[8:9], 7, v0
	ds_write_b32 v66, v9
	s_waitcnt lgkmcnt(0)
	; wave barrier
	s_and_saveexec_b64 s[12:13], s[8:9]
	s_cbranch_execz .LBB79_286
; %bb.277:
	s_and_b64 vcc, exec, s[0:1]
	s_cbranch_vccnz .LBB79_279
; %bb.278:
	v_cmp_eq_u32_e32 vcc, 1, v0
	v_cndmask_b32_e32 v18, v2, v3, vcc
	v_cmp_eq_u32_e32 vcc, 2, v0
	v_cndmask_b32_e32 v18, v18, v4, vcc
	;; [unrolled: 2-line block ×11, first 2 shown]
	v_cmp_eq_u32_e32 vcc, 12, v0
	ds_read_b32 v19, v66
	v_cndmask_b32_e32 v18, v18, v14, vcc
	v_cmp_eq_u32_e32 vcc, 13, v0
	v_cndmask_b32_e32 v18, v18, v15, vcc
	v_cmp_eq_u32_e32 vcc, 14, v0
	;; [unrolled: 2-line block ×3, first 2 shown]
	v_cndmask_b32_e32 v18, v18, v17, vcc
	s_waitcnt lgkmcnt(0)
	v_mul_f32_e32 v21, v18, v19
	s_cbranch_execz .LBB79_280
	s_branch .LBB79_281
.LBB79_279:
                                        ; implicit-def: $vgpr21
.LBB79_280:
	ds_read_b32 v21, v66
.LBB79_281:
	v_cmp_ne_u32_e32 vcc, 6, v0
	s_and_saveexec_b64 s[14:15], vcc
	s_cbranch_execz .LBB79_285
; %bb.282:
	v_mov_b32_e32 v18, 0x44
	v_lshl_add_u32 v22, v0, 2, v18
	v_mov_b32_e32 v19, v1
	s_mov_b64 s[16:17], 0
	v_mov_b32_e32 v18, v0
.LBB79_283:                             ; =>This Inner Loop Header: Depth=1
	v_add_co_u32_e32 v18, vcc, 1, v18
	v_addc_co_u32_e32 v19, vcc, 0, v19, vcc
	v_cmp_eq_u32_e32 vcc, 1, v18
	v_cndmask_b32_e32 v24, v2, v3, vcc
	v_cmp_lt_u32_e32 vcc, 5, v18
	v_cmp_eq_u32_e64 s[10:11], 2, v18
	v_cndmask_b32_e64 v24, v24, v4, s[10:11]
	s_or_b64 s[16:17], vcc, s[16:17]
	v_cmp_eq_u32_e32 vcc, 3, v18
	v_cndmask_b32_e32 v24, v24, v5, vcc
	v_cmp_eq_u32_e32 vcc, 4, v18
	v_cndmask_b32_e32 v24, v24, v6, vcc
	;; [unrolled: 2-line block ×8, first 2 shown]
	v_cmp_eq_u32_e32 vcc, 11, v18
	ds_read_b32 v23, v22
	v_cndmask_b32_e32 v24, v24, v13, vcc
	v_cmp_eq_u32_e32 vcc, 12, v18
	v_cndmask_b32_e32 v24, v24, v14, vcc
	v_cmp_eq_u32_e32 vcc, 13, v18
	;; [unrolled: 2-line block ×4, first 2 shown]
	v_cndmask_b32_e32 v24, v24, v17, vcc
	v_add_u32_e32 v22, 4, v22
	s_waitcnt lgkmcnt(0)
	v_fmac_f32_e32 v21, v24, v23
	s_andn2_b64 exec, exec, s[16:17]
	s_cbranch_execnz .LBB79_283
; %bb.284:
	s_or_b64 exec, exec, s[16:17]
.LBB79_285:
	s_or_b64 exec, exec, s[14:15]
	v_mov_b32_e32 v9, 0
	ds_read_b32 v9, v9 offset:28
	s_waitcnt lgkmcnt(0)
	v_mul_f32_e32 v9, v21, v9
.LBB79_286:
	s_or_b64 exec, exec, s[12:13]
	v_cmp_gt_u32_e32 vcc, 8, v0
	ds_write_b32 v66, v10
	s_waitcnt lgkmcnt(0)
	; wave barrier
	s_and_saveexec_b64 s[12:13], vcc
	s_cbranch_execz .LBB79_296
; %bb.287:
	s_and_b64 vcc, exec, s[0:1]
	s_cbranch_vccnz .LBB79_289
; %bb.288:
	v_cmp_eq_u32_e32 vcc, 1, v0
	v_cndmask_b32_e32 v18, v2, v3, vcc
	v_cmp_eq_u32_e32 vcc, 2, v0
	v_cndmask_b32_e32 v18, v18, v4, vcc
	;; [unrolled: 2-line block ×11, first 2 shown]
	v_cmp_eq_u32_e32 vcc, 12, v0
	ds_read_b32 v19, v66
	v_cndmask_b32_e32 v18, v18, v14, vcc
	v_cmp_eq_u32_e32 vcc, 13, v0
	v_cndmask_b32_e32 v18, v18, v15, vcc
	v_cmp_eq_u32_e32 vcc, 14, v0
	;; [unrolled: 2-line block ×3, first 2 shown]
	v_cndmask_b32_e32 v18, v18, v17, vcc
	s_waitcnt lgkmcnt(0)
	v_mul_f32_e32 v21, v18, v19
	s_cbranch_execz .LBB79_290
	s_branch .LBB79_291
.LBB79_289:
                                        ; implicit-def: $vgpr21
.LBB79_290:
	ds_read_b32 v21, v66
.LBB79_291:
	v_cmp_ne_u32_e32 vcc, 7, v0
	s_and_saveexec_b64 s[14:15], vcc
	s_cbranch_execz .LBB79_295
; %bb.292:
	v_mov_b32_e32 v18, 0x44
	v_lshl_add_u32 v22, v0, 2, v18
	v_mov_b32_e32 v19, v1
	s_mov_b64 s[16:17], 0
	v_mov_b32_e32 v18, v0
.LBB79_293:                             ; =>This Inner Loop Header: Depth=1
	v_add_co_u32_e32 v18, vcc, 1, v18
	v_addc_co_u32_e32 v19, vcc, 0, v19, vcc
	v_cmp_eq_u32_e32 vcc, 1, v18
	v_cndmask_b32_e32 v24, v2, v3, vcc
	v_cmp_lt_u32_e32 vcc, 6, v18
	v_cmp_eq_u32_e64 s[10:11], 2, v18
	v_cndmask_b32_e64 v24, v24, v4, s[10:11]
	s_or_b64 s[16:17], vcc, s[16:17]
	v_cmp_eq_u32_e32 vcc, 3, v18
	v_cndmask_b32_e32 v24, v24, v5, vcc
	v_cmp_eq_u32_e32 vcc, 4, v18
	v_cndmask_b32_e32 v24, v24, v6, vcc
	v_cmp_eq_u32_e32 vcc, 5, v18
	v_cndmask_b32_e32 v24, v24, v7, vcc
	v_cmp_eq_u32_e32 vcc, 6, v18
	v_cndmask_b32_e32 v24, v24, v8, vcc
	v_cmp_eq_u32_e32 vcc, 7, v18
	v_cndmask_b32_e32 v24, v24, v9, vcc
	v_cmp_eq_u32_e32 vcc, 8, v18
	v_cndmask_b32_e32 v24, v24, v10, vcc
	v_cmp_eq_u32_e32 vcc, 9, v18
	v_cndmask_b32_e32 v24, v24, v11, vcc
	v_cmp_eq_u32_e32 vcc, 10, v18
	v_cndmask_b32_e32 v24, v24, v12, vcc
	v_cmp_eq_u32_e32 vcc, 11, v18
	ds_read_b32 v23, v22
	v_cndmask_b32_e32 v24, v24, v13, vcc
	v_cmp_eq_u32_e32 vcc, 12, v18
	v_cndmask_b32_e32 v24, v24, v14, vcc
	v_cmp_eq_u32_e32 vcc, 13, v18
	;; [unrolled: 2-line block ×4, first 2 shown]
	v_cndmask_b32_e32 v24, v24, v17, vcc
	v_add_u32_e32 v22, 4, v22
	s_waitcnt lgkmcnt(0)
	v_fmac_f32_e32 v21, v24, v23
	s_andn2_b64 exec, exec, s[16:17]
	s_cbranch_execnz .LBB79_293
; %bb.294:
	s_or_b64 exec, exec, s[16:17]
.LBB79_295:
	s_or_b64 exec, exec, s[14:15]
	v_mov_b32_e32 v10, 0
	ds_read_b32 v10, v10 offset:32
	s_waitcnt lgkmcnt(0)
	v_mul_f32_e32 v10, v21, v10
.LBB79_296:
	s_or_b64 exec, exec, s[12:13]
	v_cmp_gt_u32_e32 vcc, 9, v0
	ds_write_b32 v66, v11
	s_waitcnt lgkmcnt(0)
	; wave barrier
	s_and_saveexec_b64 s[10:11], vcc
	s_cbranch_execz .LBB79_318
; %bb.297:
	s_and_b64 vcc, exec, s[0:1]
	s_cbranch_vccnz .LBB79_299
; %bb.298:
	v_cmp_eq_u32_e32 vcc, 1, v0
	v_cndmask_b32_e32 v18, v2, v3, vcc
	v_cmp_eq_u32_e32 vcc, 2, v0
	v_cndmask_b32_e32 v18, v18, v4, vcc
	v_cmp_eq_u32_e32 vcc, 3, v0
	v_cndmask_b32_e32 v18, v18, v5, vcc
	v_cmp_eq_u32_e32 vcc, 4, v0
	v_cndmask_b32_e32 v18, v18, v6, vcc
	v_cmp_eq_u32_e32 vcc, 5, v0
	v_cndmask_b32_e32 v18, v18, v7, vcc
	v_cmp_eq_u32_e32 vcc, 6, v0
	v_cndmask_b32_e32 v18, v18, v8, vcc
	v_cmp_eq_u32_e32 vcc, 7, v0
	v_cndmask_b32_e32 v18, v18, v9, vcc
	v_cmp_eq_u32_e32 vcc, 8, v0
	v_cndmask_b32_e32 v18, v18, v10, vcc
	v_cmp_eq_u32_e32 vcc, 9, v0
	v_cndmask_b32_e32 v18, v18, v11, vcc
	v_cmp_eq_u32_e32 vcc, 10, v0
	v_cndmask_b32_e32 v18, v18, v12, vcc
	v_cmp_eq_u32_e32 vcc, 11, v0
	v_cndmask_b32_e32 v18, v18, v13, vcc
	v_cmp_eq_u32_e32 vcc, 12, v0
	ds_read_b32 v19, v66
	v_cndmask_b32_e32 v18, v18, v14, vcc
	v_cmp_eq_u32_e32 vcc, 13, v0
	v_cndmask_b32_e32 v18, v18, v15, vcc
	v_cmp_eq_u32_e32 vcc, 14, v0
	;; [unrolled: 2-line block ×3, first 2 shown]
	v_cndmask_b32_e32 v18, v18, v17, vcc
	s_waitcnt lgkmcnt(0)
	v_mul_f32_e32 v18, v18, v19
	s_cbranch_execz .LBB79_300
	s_branch .LBB79_301
.LBB79_299:
                                        ; implicit-def: $vgpr18
.LBB79_300:
	ds_read_b32 v18, v66
.LBB79_301:
	v_cmp_ne_u32_e32 vcc, 8, v0
	s_and_saveexec_b64 s[12:13], vcc
	s_cbranch_execz .LBB79_317
; %bb.302:
	v_cmp_eq_u32_e32 vcc, 1, v20
	v_cndmask_b32_e32 v19, v2, v3, vcc
	v_cmp_eq_u32_e32 vcc, 2, v20
	v_cndmask_b32_e32 v19, v19, v4, vcc
	;; [unrolled: 2-line block ×11, first 2 shown]
	v_cmp_eq_u32_e32 vcc, 12, v20
	ds_read_b32 v21, v66 offset:4
	v_cndmask_b32_e32 v19, v19, v14, vcc
	v_cmp_eq_u32_e32 vcc, 13, v20
	v_cndmask_b32_e32 v19, v19, v15, vcc
	v_cmp_eq_u32_e32 vcc, 14, v20
	;; [unrolled: 2-line block ×3, first 2 shown]
	v_cndmask_b32_e32 v19, v19, v17, vcc
	s_waitcnt lgkmcnt(0)
	v_fmac_f32_e32 v18, v19, v21
	s_and_saveexec_b64 s[14:15], s[8:9]
	s_cbranch_execz .LBB79_316
; %bb.303:
	v_add_u32_e32 v19, 2, v0
	v_cmp_eq_u32_e32 vcc, 1, v19
	v_cndmask_b32_e32 v20, v2, v3, vcc
	v_cmp_eq_u32_e32 vcc, 2, v19
	v_cndmask_b32_e32 v20, v20, v4, vcc
	;; [unrolled: 2-line block ×11, first 2 shown]
	v_cmp_eq_u32_e32 vcc, 12, v19
	ds_read_b32 v21, v66 offset:8
	v_cndmask_b32_e32 v20, v20, v14, vcc
	v_cmp_eq_u32_e32 vcc, 13, v19
	v_cndmask_b32_e32 v20, v20, v15, vcc
	v_cmp_eq_u32_e32 vcc, 14, v19
	;; [unrolled: 2-line block ×3, first 2 shown]
	v_cndmask_b32_e32 v19, v20, v17, vcc
	s_waitcnt lgkmcnt(0)
	v_fmac_f32_e32 v18, v19, v21
	v_cmp_ne_u32_e32 vcc, 6, v0
	s_and_saveexec_b64 s[8:9], vcc
	s_cbranch_execz .LBB79_315
; %bb.304:
	v_add_u32_e32 v19, 3, v0
	v_cmp_eq_u32_e32 vcc, 1, v19
	v_cndmask_b32_e32 v20, v2, v3, vcc
	v_cmp_eq_u32_e32 vcc, 2, v19
	v_cndmask_b32_e32 v20, v20, v4, vcc
	;; [unrolled: 2-line block ×11, first 2 shown]
	v_cmp_eq_u32_e32 vcc, 12, v19
	ds_read_b32 v21, v66 offset:12
	v_cndmask_b32_e32 v20, v20, v14, vcc
	v_cmp_eq_u32_e32 vcc, 13, v19
	v_cndmask_b32_e32 v20, v20, v15, vcc
	v_cmp_eq_u32_e32 vcc, 14, v19
	;; [unrolled: 2-line block ×3, first 2 shown]
	v_cndmask_b32_e32 v19, v20, v17, vcc
	s_waitcnt lgkmcnt(0)
	v_fmac_f32_e32 v18, v19, v21
	s_and_saveexec_b64 s[16:17], s[6:7]
	s_cbranch_execz .LBB79_314
; %bb.305:
	v_add_u32_e32 v19, 4, v0
	v_cmp_eq_u32_e32 vcc, 1, v19
	v_cndmask_b32_e32 v20, v2, v3, vcc
	v_cmp_eq_u32_e32 vcc, 2, v19
	v_cndmask_b32_e32 v20, v20, v4, vcc
	;; [unrolled: 2-line block ×11, first 2 shown]
	v_cmp_eq_u32_e32 vcc, 12, v19
	ds_read_b32 v21, v66 offset:16
	v_cndmask_b32_e32 v20, v20, v14, vcc
	v_cmp_eq_u32_e32 vcc, 13, v19
	v_cndmask_b32_e32 v20, v20, v15, vcc
	v_cmp_eq_u32_e32 vcc, 14, v19
	;; [unrolled: 2-line block ×3, first 2 shown]
	v_cndmask_b32_e32 v19, v20, v17, vcc
	s_waitcnt lgkmcnt(0)
	v_fmac_f32_e32 v18, v19, v21
	v_cmp_ne_u32_e32 vcc, 4, v0
	s_and_saveexec_b64 s[6:7], vcc
	s_cbranch_execz .LBB79_313
; %bb.306:
	v_add_u32_e32 v19, 5, v0
	v_cmp_eq_u32_e32 vcc, 1, v19
	v_cndmask_b32_e32 v20, v2, v3, vcc
	v_cmp_eq_u32_e32 vcc, 2, v19
	v_cndmask_b32_e32 v20, v20, v4, vcc
	;; [unrolled: 2-line block ×11, first 2 shown]
	v_cmp_eq_u32_e32 vcc, 12, v19
	ds_read_b32 v21, v66 offset:20
	v_cndmask_b32_e32 v20, v20, v14, vcc
	v_cmp_eq_u32_e32 vcc, 13, v19
	v_cndmask_b32_e32 v20, v20, v15, vcc
	v_cmp_eq_u32_e32 vcc, 14, v19
	;; [unrolled: 2-line block ×3, first 2 shown]
	v_cndmask_b32_e32 v19, v20, v17, vcc
	s_waitcnt lgkmcnt(0)
	v_fmac_f32_e32 v18, v19, v21
	s_and_saveexec_b64 s[18:19], s[4:5]
	s_cbranch_execz .LBB79_312
; %bb.307:
	v_add_u32_e32 v19, 6, v0
	v_cmp_eq_u32_e32 vcc, 1, v19
	v_cndmask_b32_e32 v20, v2, v3, vcc
	v_cmp_eq_u32_e32 vcc, 2, v19
	v_cndmask_b32_e32 v20, v20, v4, vcc
	;; [unrolled: 2-line block ×11, first 2 shown]
	v_cmp_eq_u32_e32 vcc, 12, v19
	ds_read_b32 v21, v66 offset:24
	v_cndmask_b32_e32 v20, v20, v14, vcc
	v_cmp_eq_u32_e32 vcc, 13, v19
	v_cndmask_b32_e32 v20, v20, v15, vcc
	v_cmp_eq_u32_e32 vcc, 14, v19
	;; [unrolled: 2-line block ×3, first 2 shown]
	v_cndmask_b32_e32 v19, v20, v17, vcc
	s_waitcnt lgkmcnt(0)
	v_fmac_f32_e32 v18, v19, v21
	v_cmp_ne_u32_e32 vcc, 2, v0
	s_and_saveexec_b64 s[4:5], vcc
	s_cbranch_execz .LBB79_311
; %bb.308:
	v_add_u32_e32 v19, 7, v0
	v_cmp_eq_u32_e32 vcc, 1, v19
	v_cndmask_b32_e32 v20, v2, v3, vcc
	v_cmp_eq_u32_e32 vcc, 2, v19
	v_cndmask_b32_e32 v20, v20, v4, vcc
	;; [unrolled: 2-line block ×11, first 2 shown]
	v_cmp_eq_u32_e32 vcc, 12, v19
	ds_read_b32 v20, v66 offset:28
	v_cndmask_b32_e32 v11, v11, v14, vcc
	v_cmp_eq_u32_e32 vcc, 13, v19
	v_cndmask_b32_e32 v11, v11, v15, vcc
	v_cmp_eq_u32_e32 vcc, 14, v19
	;; [unrolled: 2-line block ×3, first 2 shown]
	v_cndmask_b32_e32 v11, v11, v17, vcc
	s_waitcnt lgkmcnt(0)
	v_fmac_f32_e32 v18, v11, v20
	s_and_saveexec_b64 s[20:21], s[2:3]
	s_cbranch_execz .LBB79_310
; %bb.309:
	ds_read_b32 v11, v66 offset:32
	s_waitcnt lgkmcnt(0)
	v_fmac_f32_e32 v18, v10, v11
.LBB79_310:
	s_or_b64 exec, exec, s[20:21]
.LBB79_311:
	s_or_b64 exec, exec, s[4:5]
.LBB79_312:
	s_or_b64 exec, exec, s[18:19]
.LBB79_313:
	s_or_b64 exec, exec, s[6:7]
.LBB79_314:
	s_or_b64 exec, exec, s[16:17]
.LBB79_315:
	s_or_b64 exec, exec, s[8:9]
.LBB79_316:
	s_or_b64 exec, exec, s[14:15]
.LBB79_317:
	s_or_b64 exec, exec, s[12:13]
	v_mov_b32_e32 v11, 0
	ds_read_b32 v11, v11 offset:36
	s_waitcnt lgkmcnt(0)
	v_mul_f32_e32 v11, v18, v11
.LBB79_318:
	s_or_b64 exec, exec, s[10:11]
	v_cmp_gt_u32_e32 vcc, 10, v0
	ds_write_b32 v66, v12
	s_waitcnt lgkmcnt(0)
	; wave barrier
	s_and_saveexec_b64 s[4:5], vcc
	s_cbranch_execz .LBB79_328
; %bb.319:
	s_and_b64 vcc, exec, s[0:1]
	s_cbranch_vccnz .LBB79_321
; %bb.320:
	v_cmp_eq_u32_e32 vcc, 1, v0
	v_cndmask_b32_e32 v18, v2, v3, vcc
	v_cmp_eq_u32_e32 vcc, 2, v0
	v_cndmask_b32_e32 v18, v18, v4, vcc
	;; [unrolled: 2-line block ×11, first 2 shown]
	v_cmp_eq_u32_e32 vcc, 12, v0
	ds_read_b32 v19, v66
	v_cndmask_b32_e32 v18, v18, v14, vcc
	v_cmp_eq_u32_e32 vcc, 13, v0
	v_cndmask_b32_e32 v18, v18, v15, vcc
	v_cmp_eq_u32_e32 vcc, 14, v0
	;; [unrolled: 2-line block ×3, first 2 shown]
	v_cndmask_b32_e32 v18, v18, v17, vcc
	s_waitcnt lgkmcnt(0)
	v_mul_f32_e32 v20, v18, v19
	s_cbranch_execz .LBB79_322
	s_branch .LBB79_323
.LBB79_321:
                                        ; implicit-def: $vgpr20
.LBB79_322:
	ds_read_b32 v20, v66
.LBB79_323:
	v_cmp_ne_u32_e32 vcc, 9, v0
	s_and_saveexec_b64 s[6:7], vcc
	s_cbranch_execz .LBB79_327
; %bb.324:
	v_mov_b32_e32 v18, 0x44
	v_lshl_add_u32 v21, v0, 2, v18
	v_mov_b32_e32 v19, v1
	s_mov_b64 s[8:9], 0
	v_mov_b32_e32 v18, v0
.LBB79_325:                             ; =>This Inner Loop Header: Depth=1
	v_add_co_u32_e32 v18, vcc, 1, v18
	v_addc_co_u32_e32 v19, vcc, 0, v19, vcc
	v_cmp_eq_u32_e32 vcc, 1, v18
	v_cndmask_b32_e32 v23, v2, v3, vcc
	v_cmp_lt_u32_e32 vcc, 8, v18
	v_cmp_eq_u32_e64 s[2:3], 2, v18
	v_cndmask_b32_e64 v23, v23, v4, s[2:3]
	s_or_b64 s[8:9], vcc, s[8:9]
	v_cmp_eq_u32_e32 vcc, 3, v18
	v_cndmask_b32_e32 v23, v23, v5, vcc
	v_cmp_eq_u32_e32 vcc, 4, v18
	v_cndmask_b32_e32 v23, v23, v6, vcc
	;; [unrolled: 2-line block ×8, first 2 shown]
	v_cmp_eq_u32_e32 vcc, 11, v18
	ds_read_b32 v22, v21
	v_cndmask_b32_e32 v23, v23, v13, vcc
	v_cmp_eq_u32_e32 vcc, 12, v18
	v_cndmask_b32_e32 v23, v23, v14, vcc
	v_cmp_eq_u32_e32 vcc, 13, v18
	;; [unrolled: 2-line block ×4, first 2 shown]
	v_cndmask_b32_e32 v23, v23, v17, vcc
	v_add_u32_e32 v21, 4, v21
	s_waitcnt lgkmcnt(0)
	v_fmac_f32_e32 v20, v23, v22
	s_andn2_b64 exec, exec, s[8:9]
	s_cbranch_execnz .LBB79_325
; %bb.326:
	s_or_b64 exec, exec, s[8:9]
.LBB79_327:
	s_or_b64 exec, exec, s[6:7]
	v_mov_b32_e32 v12, 0
	ds_read_b32 v12, v12 offset:40
	s_waitcnt lgkmcnt(0)
	v_mul_f32_e32 v12, v20, v12
.LBB79_328:
	s_or_b64 exec, exec, s[4:5]
	v_cmp_gt_u32_e32 vcc, 11, v0
	ds_write_b32 v66, v13
	s_waitcnt lgkmcnt(0)
	; wave barrier
	s_and_saveexec_b64 s[4:5], vcc
	s_cbranch_execz .LBB79_338
; %bb.329:
	s_and_b64 vcc, exec, s[0:1]
	s_cbranch_vccnz .LBB79_331
; %bb.330:
	v_cmp_eq_u32_e32 vcc, 1, v0
	v_cndmask_b32_e32 v18, v2, v3, vcc
	v_cmp_eq_u32_e32 vcc, 2, v0
	v_cndmask_b32_e32 v18, v18, v4, vcc
	;; [unrolled: 2-line block ×11, first 2 shown]
	v_cmp_eq_u32_e32 vcc, 12, v0
	ds_read_b32 v19, v66
	v_cndmask_b32_e32 v18, v18, v14, vcc
	v_cmp_eq_u32_e32 vcc, 13, v0
	v_cndmask_b32_e32 v18, v18, v15, vcc
	v_cmp_eq_u32_e32 vcc, 14, v0
	;; [unrolled: 2-line block ×3, first 2 shown]
	v_cndmask_b32_e32 v18, v18, v17, vcc
	s_waitcnt lgkmcnt(0)
	v_mul_f32_e32 v20, v18, v19
	s_cbranch_execz .LBB79_332
	s_branch .LBB79_333
.LBB79_331:
                                        ; implicit-def: $vgpr20
.LBB79_332:
	ds_read_b32 v20, v66
.LBB79_333:
	v_cmp_ne_u32_e32 vcc, 10, v0
	s_and_saveexec_b64 s[6:7], vcc
	s_cbranch_execz .LBB79_337
; %bb.334:
	v_mov_b32_e32 v18, 0x44
	v_lshl_add_u32 v21, v0, 2, v18
	v_mov_b32_e32 v19, v1
	s_mov_b64 s[8:9], 0
	v_mov_b32_e32 v18, v0
.LBB79_335:                             ; =>This Inner Loop Header: Depth=1
	v_add_co_u32_e32 v18, vcc, 1, v18
	v_addc_co_u32_e32 v19, vcc, 0, v19, vcc
	v_cmp_eq_u32_e32 vcc, 1, v18
	v_cndmask_b32_e32 v23, v2, v3, vcc
	v_cmp_lt_u32_e32 vcc, 9, v18
	v_cmp_eq_u32_e64 s[2:3], 2, v18
	v_cndmask_b32_e64 v23, v23, v4, s[2:3]
	s_or_b64 s[8:9], vcc, s[8:9]
	v_cmp_eq_u32_e32 vcc, 3, v18
	v_cndmask_b32_e32 v23, v23, v5, vcc
	v_cmp_eq_u32_e32 vcc, 4, v18
	v_cndmask_b32_e32 v23, v23, v6, vcc
	;; [unrolled: 2-line block ×8, first 2 shown]
	v_cmp_eq_u32_e32 vcc, 11, v18
	ds_read_b32 v22, v21
	v_cndmask_b32_e32 v23, v23, v13, vcc
	v_cmp_eq_u32_e32 vcc, 12, v18
	v_cndmask_b32_e32 v23, v23, v14, vcc
	v_cmp_eq_u32_e32 vcc, 13, v18
	v_cndmask_b32_e32 v23, v23, v15, vcc
	v_cmp_eq_u32_e32 vcc, 14, v18
	v_cndmask_b32_e32 v23, v23, v16, vcc
	v_cmp_eq_u32_e32 vcc, 15, v18
	v_cndmask_b32_e32 v23, v23, v17, vcc
	v_add_u32_e32 v21, 4, v21
	s_waitcnt lgkmcnt(0)
	v_fmac_f32_e32 v20, v23, v22
	s_andn2_b64 exec, exec, s[8:9]
	s_cbranch_execnz .LBB79_335
; %bb.336:
	s_or_b64 exec, exec, s[8:9]
.LBB79_337:
	s_or_b64 exec, exec, s[6:7]
	v_mov_b32_e32 v13, 0
	ds_read_b32 v13, v13 offset:44
	s_waitcnt lgkmcnt(0)
	v_mul_f32_e32 v13, v20, v13
.LBB79_338:
	s_or_b64 exec, exec, s[4:5]
	v_cmp_gt_u32_e32 vcc, 12, v0
	ds_write_b32 v66, v14
	s_waitcnt lgkmcnt(0)
	; wave barrier
	s_and_saveexec_b64 s[4:5], vcc
	s_cbranch_execz .LBB79_348
; %bb.339:
	s_and_b64 vcc, exec, s[0:1]
	s_cbranch_vccnz .LBB79_341
; %bb.340:
	v_cmp_eq_u32_e32 vcc, 1, v0
	v_cndmask_b32_e32 v18, v2, v3, vcc
	v_cmp_eq_u32_e32 vcc, 2, v0
	v_cndmask_b32_e32 v18, v18, v4, vcc
	;; [unrolled: 2-line block ×11, first 2 shown]
	v_cmp_eq_u32_e32 vcc, 12, v0
	ds_read_b32 v19, v66
	v_cndmask_b32_e32 v18, v18, v14, vcc
	v_cmp_eq_u32_e32 vcc, 13, v0
	v_cndmask_b32_e32 v18, v18, v15, vcc
	v_cmp_eq_u32_e32 vcc, 14, v0
	;; [unrolled: 2-line block ×3, first 2 shown]
	v_cndmask_b32_e32 v18, v18, v17, vcc
	s_waitcnt lgkmcnt(0)
	v_mul_f32_e32 v20, v18, v19
	s_cbranch_execz .LBB79_342
	s_branch .LBB79_343
.LBB79_341:
                                        ; implicit-def: $vgpr20
.LBB79_342:
	ds_read_b32 v20, v66
.LBB79_343:
	v_cmp_ne_u32_e32 vcc, 11, v0
	s_and_saveexec_b64 s[6:7], vcc
	s_cbranch_execz .LBB79_347
; %bb.344:
	v_mov_b32_e32 v18, 0x44
	v_lshl_add_u32 v21, v0, 2, v18
	v_mov_b32_e32 v19, v1
	s_mov_b64 s[8:9], 0
	v_mov_b32_e32 v18, v0
.LBB79_345:                             ; =>This Inner Loop Header: Depth=1
	v_add_co_u32_e32 v18, vcc, 1, v18
	v_addc_co_u32_e32 v19, vcc, 0, v19, vcc
	v_cmp_eq_u32_e32 vcc, 1, v18
	v_cndmask_b32_e32 v23, v2, v3, vcc
	v_cmp_lt_u32_e32 vcc, 10, v18
	v_cmp_eq_u32_e64 s[2:3], 2, v18
	v_cndmask_b32_e64 v23, v23, v4, s[2:3]
	s_or_b64 s[8:9], vcc, s[8:9]
	v_cmp_eq_u32_e32 vcc, 3, v18
	v_cndmask_b32_e32 v23, v23, v5, vcc
	v_cmp_eq_u32_e32 vcc, 4, v18
	v_cndmask_b32_e32 v23, v23, v6, vcc
	;; [unrolled: 2-line block ×8, first 2 shown]
	v_cmp_eq_u32_e32 vcc, 11, v18
	ds_read_b32 v22, v21
	v_cndmask_b32_e32 v23, v23, v13, vcc
	v_cmp_eq_u32_e32 vcc, 12, v18
	v_cndmask_b32_e32 v23, v23, v14, vcc
	v_cmp_eq_u32_e32 vcc, 13, v18
	;; [unrolled: 2-line block ×4, first 2 shown]
	v_cndmask_b32_e32 v23, v23, v17, vcc
	v_add_u32_e32 v21, 4, v21
	s_waitcnt lgkmcnt(0)
	v_fmac_f32_e32 v20, v23, v22
	s_andn2_b64 exec, exec, s[8:9]
	s_cbranch_execnz .LBB79_345
; %bb.346:
	s_or_b64 exec, exec, s[8:9]
.LBB79_347:
	s_or_b64 exec, exec, s[6:7]
	v_mov_b32_e32 v14, 0
	ds_read_b32 v14, v14 offset:48
	s_waitcnt lgkmcnt(0)
	v_mul_f32_e32 v14, v20, v14
.LBB79_348:
	s_or_b64 exec, exec, s[4:5]
	v_cmp_gt_u32_e32 vcc, 13, v0
	ds_write_b32 v66, v15
	s_waitcnt lgkmcnt(0)
	; wave barrier
	s_and_saveexec_b64 s[4:5], vcc
	s_cbranch_execz .LBB79_358
; %bb.349:
	s_and_b64 vcc, exec, s[0:1]
	s_cbranch_vccnz .LBB79_351
; %bb.350:
	v_cmp_eq_u32_e32 vcc, 1, v0
	v_cndmask_b32_e32 v18, v2, v3, vcc
	v_cmp_eq_u32_e32 vcc, 2, v0
	v_cndmask_b32_e32 v18, v18, v4, vcc
	;; [unrolled: 2-line block ×11, first 2 shown]
	v_cmp_eq_u32_e32 vcc, 12, v0
	ds_read_b32 v19, v66
	v_cndmask_b32_e32 v18, v18, v14, vcc
	v_cmp_eq_u32_e32 vcc, 13, v0
	v_cndmask_b32_e32 v18, v18, v15, vcc
	v_cmp_eq_u32_e32 vcc, 14, v0
	;; [unrolled: 2-line block ×3, first 2 shown]
	v_cndmask_b32_e32 v18, v18, v17, vcc
	s_waitcnt lgkmcnt(0)
	v_mul_f32_e32 v20, v18, v19
	s_cbranch_execz .LBB79_352
	s_branch .LBB79_353
.LBB79_351:
                                        ; implicit-def: $vgpr20
.LBB79_352:
	ds_read_b32 v20, v66
.LBB79_353:
	v_cmp_ne_u32_e32 vcc, 12, v0
	s_and_saveexec_b64 s[6:7], vcc
	s_cbranch_execz .LBB79_357
; %bb.354:
	v_mov_b32_e32 v18, 0x44
	v_lshl_add_u32 v21, v0, 2, v18
	v_mov_b32_e32 v19, v1
	s_mov_b64 s[8:9], 0
	v_mov_b32_e32 v18, v0
.LBB79_355:                             ; =>This Inner Loop Header: Depth=1
	v_add_co_u32_e32 v18, vcc, 1, v18
	v_addc_co_u32_e32 v19, vcc, 0, v19, vcc
	v_cmp_eq_u32_e32 vcc, 1, v18
	v_cndmask_b32_e32 v23, v2, v3, vcc
	v_cmp_lt_u32_e32 vcc, 11, v18
	v_cmp_eq_u32_e64 s[2:3], 2, v18
	v_cndmask_b32_e64 v23, v23, v4, s[2:3]
	s_or_b64 s[8:9], vcc, s[8:9]
	v_cmp_eq_u32_e32 vcc, 3, v18
	v_cndmask_b32_e32 v23, v23, v5, vcc
	v_cmp_eq_u32_e32 vcc, 4, v18
	v_cndmask_b32_e32 v23, v23, v6, vcc
	;; [unrolled: 2-line block ×8, first 2 shown]
	v_cmp_eq_u32_e32 vcc, 11, v18
	ds_read_b32 v22, v21
	v_cndmask_b32_e32 v23, v23, v13, vcc
	v_cmp_eq_u32_e32 vcc, 12, v18
	v_cndmask_b32_e32 v23, v23, v14, vcc
	v_cmp_eq_u32_e32 vcc, 13, v18
	v_cndmask_b32_e32 v23, v23, v15, vcc
	v_cmp_eq_u32_e32 vcc, 14, v18
	v_cndmask_b32_e32 v23, v23, v16, vcc
	v_cmp_eq_u32_e32 vcc, 15, v18
	v_cndmask_b32_e32 v23, v23, v17, vcc
	v_add_u32_e32 v21, 4, v21
	s_waitcnt lgkmcnt(0)
	v_fmac_f32_e32 v20, v23, v22
	s_andn2_b64 exec, exec, s[8:9]
	s_cbranch_execnz .LBB79_355
; %bb.356:
	s_or_b64 exec, exec, s[8:9]
.LBB79_357:
	s_or_b64 exec, exec, s[6:7]
	v_mov_b32_e32 v15, 0
	ds_read_b32 v15, v15 offset:52
	s_waitcnt lgkmcnt(0)
	v_mul_f32_e32 v15, v20, v15
.LBB79_358:
	s_or_b64 exec, exec, s[4:5]
	v_cmp_gt_u32_e64 s[2:3], 14, v0
	ds_write_b32 v66, v16
	s_waitcnt lgkmcnt(0)
	; wave barrier
	s_and_saveexec_b64 s[6:7], s[2:3]
	s_cbranch_execz .LBB79_368
; %bb.359:
	s_and_b64 vcc, exec, s[0:1]
	s_cbranch_vccnz .LBB79_361
; %bb.360:
	v_cmp_eq_u32_e32 vcc, 1, v0
	v_cndmask_b32_e32 v18, v2, v3, vcc
	v_cmp_eq_u32_e32 vcc, 2, v0
	v_cndmask_b32_e32 v18, v18, v4, vcc
	;; [unrolled: 2-line block ×11, first 2 shown]
	v_cmp_eq_u32_e32 vcc, 12, v0
	ds_read_b32 v19, v66
	v_cndmask_b32_e32 v18, v18, v14, vcc
	v_cmp_eq_u32_e32 vcc, 13, v0
	v_cndmask_b32_e32 v18, v18, v15, vcc
	v_cmp_eq_u32_e32 vcc, 14, v0
	;; [unrolled: 2-line block ×3, first 2 shown]
	v_cndmask_b32_e32 v18, v18, v17, vcc
	s_waitcnt lgkmcnt(0)
	v_mul_f32_e32 v20, v18, v19
	s_cbranch_execz .LBB79_362
	s_branch .LBB79_363
.LBB79_361:
                                        ; implicit-def: $vgpr20
.LBB79_362:
	ds_read_b32 v20, v66
.LBB79_363:
	v_cmp_ne_u32_e32 vcc, 13, v0
	s_and_saveexec_b64 s[8:9], vcc
	s_cbranch_execz .LBB79_367
; %bb.364:
	v_mov_b32_e32 v18, 0x44
	v_lshl_add_u32 v21, v0, 2, v18
	v_mov_b32_e32 v19, v1
	s_mov_b64 s[10:11], 0
	v_mov_b32_e32 v18, v0
.LBB79_365:                             ; =>This Inner Loop Header: Depth=1
	v_add_co_u32_e32 v18, vcc, 1, v18
	v_addc_co_u32_e32 v19, vcc, 0, v19, vcc
	v_cmp_eq_u32_e32 vcc, 1, v18
	v_cndmask_b32_e32 v23, v2, v3, vcc
	v_cmp_lt_u32_e32 vcc, 12, v18
	v_cmp_eq_u32_e64 s[4:5], 2, v18
	v_cndmask_b32_e64 v23, v23, v4, s[4:5]
	s_or_b64 s[10:11], vcc, s[10:11]
	v_cmp_eq_u32_e32 vcc, 3, v18
	v_cndmask_b32_e32 v23, v23, v5, vcc
	v_cmp_eq_u32_e32 vcc, 4, v18
	v_cndmask_b32_e32 v23, v23, v6, vcc
	;; [unrolled: 2-line block ×8, first 2 shown]
	v_cmp_eq_u32_e32 vcc, 11, v18
	ds_read_b32 v22, v21
	v_cndmask_b32_e32 v23, v23, v13, vcc
	v_cmp_eq_u32_e32 vcc, 12, v18
	v_cndmask_b32_e32 v23, v23, v14, vcc
	v_cmp_eq_u32_e32 vcc, 13, v18
	;; [unrolled: 2-line block ×4, first 2 shown]
	v_cndmask_b32_e32 v23, v23, v17, vcc
	v_add_u32_e32 v21, 4, v21
	s_waitcnt lgkmcnt(0)
	v_fmac_f32_e32 v20, v23, v22
	s_andn2_b64 exec, exec, s[10:11]
	s_cbranch_execnz .LBB79_365
; %bb.366:
	s_or_b64 exec, exec, s[10:11]
.LBB79_367:
	s_or_b64 exec, exec, s[8:9]
	v_mov_b32_e32 v16, 0
	ds_read_b32 v16, v16 offset:56
	s_waitcnt lgkmcnt(0)
	v_mul_f32_e32 v16, v20, v16
.LBB79_368:
	s_or_b64 exec, exec, s[6:7]
	v_cmp_ne_u32_e32 vcc, 15, v0
	ds_write_b32 v66, v17
	s_waitcnt lgkmcnt(0)
	; wave barrier
	s_and_saveexec_b64 s[4:5], vcc
	s_cbranch_execz .LBB79_378
; %bb.369:
	s_and_b64 vcc, exec, s[0:1]
	s_cbranch_vccnz .LBB79_371
; %bb.370:
	v_cmp_eq_u32_e32 vcc, 1, v0
	v_cndmask_b32_e32 v18, v2, v3, vcc
	v_cmp_eq_u32_e32 vcc, 2, v0
	v_cndmask_b32_e32 v18, v18, v4, vcc
	;; [unrolled: 2-line block ×11, first 2 shown]
	v_cmp_eq_u32_e32 vcc, 12, v0
	ds_read_b32 v19, v66
	v_cndmask_b32_e32 v18, v18, v14, vcc
	v_cmp_eq_u32_e32 vcc, 13, v0
	v_cndmask_b32_e32 v18, v18, v15, vcc
	v_cmp_eq_u32_e32 vcc, 14, v0
	;; [unrolled: 2-line block ×3, first 2 shown]
	v_cndmask_b32_e32 v18, v18, v17, vcc
	s_waitcnt lgkmcnt(0)
	v_mul_f32_e32 v18, v18, v19
	s_cbranch_execz .LBB79_372
	s_branch .LBB79_373
.LBB79_371:
                                        ; implicit-def: $vgpr18
.LBB79_372:
	ds_read_b32 v18, v66
.LBB79_373:
	s_and_saveexec_b64 s[6:7], s[2:3]
	s_cbranch_execz .LBB79_377
; %bb.374:
	v_mov_b32_e32 v19, 0x44
	v_lshl_add_u32 v19, v0, 2, v19
	s_mov_b64 s[2:3], 0
.LBB79_375:                             ; =>This Inner Loop Header: Depth=1
	v_add_co_u32_e32 v0, vcc, 1, v0
	v_addc_co_u32_e32 v1, vcc, 0, v1, vcc
	v_cmp_eq_u32_e32 vcc, 1, v0
	v_cndmask_b32_e32 v21, v2, v3, vcc
	v_cmp_lt_u32_e32 vcc, 13, v0
	v_cmp_eq_u32_e64 s[0:1], 2, v0
	v_cndmask_b32_e64 v21, v21, v4, s[0:1]
	s_or_b64 s[2:3], vcc, s[2:3]
	v_cmp_eq_u32_e32 vcc, 3, v0
	v_cndmask_b32_e32 v21, v21, v5, vcc
	v_cmp_eq_u32_e32 vcc, 4, v0
	v_cndmask_b32_e32 v21, v21, v6, vcc
	;; [unrolled: 2-line block ×8, first 2 shown]
	v_cmp_eq_u32_e32 vcc, 11, v0
	ds_read_b32 v20, v19
	v_cndmask_b32_e32 v21, v21, v13, vcc
	v_cmp_eq_u32_e32 vcc, 12, v0
	v_cndmask_b32_e32 v21, v21, v14, vcc
	v_cmp_eq_u32_e32 vcc, 13, v0
	;; [unrolled: 2-line block ×4, first 2 shown]
	v_cndmask_b32_e32 v21, v21, v17, vcc
	v_add_u32_e32 v19, 4, v19
	s_waitcnt lgkmcnt(0)
	v_fmac_f32_e32 v18, v21, v20
	s_andn2_b64 exec, exec, s[2:3]
	s_cbranch_execnz .LBB79_375
; %bb.376:
	s_or_b64 exec, exec, s[2:3]
.LBB79_377:
	s_or_b64 exec, exec, s[6:7]
	v_mov_b32_e32 v0, 0
	ds_read_b32 v0, v0 offset:60
	s_waitcnt lgkmcnt(0)
	v_mul_f32_e32 v17, v18, v0
.LBB79_378:
	s_or_b64 exec, exec, s[4:5]
	v_mov_b32_e32 v33, v17
	v_mov_b32_e32 v32, v16
	;; [unrolled: 1-line block ×16, first 2 shown]
.LBB79_379:
	flat_store_dword v[62:63], v18
	flat_store_dword v[64:65], v19
	flat_store_dword v[34:35], v20
	flat_store_dword v[36:37], v21
	flat_store_dword v[38:39], v22
	flat_store_dword v[40:41], v23
	flat_store_dword v[42:43], v24
	flat_store_dword v[44:45], v25
	flat_store_dword v[46:47], v26
	flat_store_dword v[48:49], v27
	flat_store_dword v[50:51], v28
	flat_store_dword v[52:53], v29
	flat_store_dword v[54:55], v30
	flat_store_dword v[56:57], v31
	flat_store_dword v[58:59], v32
	flat_store_dword v[60:61], v33
.LBB79_380:
	s_endpgm
	.section	.rodata,"a",@progbits
	.p2align	6, 0x0
	.amdhsa_kernel _ZN9rocsolver6v33100L18trti2_kernel_smallILi16EfPKPfEEv13rocblas_fill_17rocblas_diagonal_T1_iil
		.amdhsa_group_segment_fixed_size 128
		.amdhsa_private_segment_fixed_size 0
		.amdhsa_kernarg_size 32
		.amdhsa_user_sgpr_count 6
		.amdhsa_user_sgpr_private_segment_buffer 1
		.amdhsa_user_sgpr_dispatch_ptr 0
		.amdhsa_user_sgpr_queue_ptr 0
		.amdhsa_user_sgpr_kernarg_segment_ptr 1
		.amdhsa_user_sgpr_dispatch_id 0
		.amdhsa_user_sgpr_flat_scratch_init 0
		.amdhsa_user_sgpr_private_segment_size 0
		.amdhsa_uses_dynamic_stack 0
		.amdhsa_system_sgpr_private_segment_wavefront_offset 0
		.amdhsa_system_sgpr_workgroup_id_x 1
		.amdhsa_system_sgpr_workgroup_id_y 0
		.amdhsa_system_sgpr_workgroup_id_z 0
		.amdhsa_system_sgpr_workgroup_info 0
		.amdhsa_system_vgpr_workitem_id 0
		.amdhsa_next_free_vgpr 84
		.amdhsa_next_free_sgpr 40
		.amdhsa_reserve_vcc 1
		.amdhsa_reserve_flat_scratch 0
		.amdhsa_float_round_mode_32 0
		.amdhsa_float_round_mode_16_64 0
		.amdhsa_float_denorm_mode_32 3
		.amdhsa_float_denorm_mode_16_64 3
		.amdhsa_dx10_clamp 1
		.amdhsa_ieee_mode 1
		.amdhsa_fp16_overflow 0
		.amdhsa_exception_fp_ieee_invalid_op 0
		.amdhsa_exception_fp_denorm_src 0
		.amdhsa_exception_fp_ieee_div_zero 0
		.amdhsa_exception_fp_ieee_overflow 0
		.amdhsa_exception_fp_ieee_underflow 0
		.amdhsa_exception_fp_ieee_inexact 0
		.amdhsa_exception_int_div_zero 0
	.end_amdhsa_kernel
	.section	.text._ZN9rocsolver6v33100L18trti2_kernel_smallILi16EfPKPfEEv13rocblas_fill_17rocblas_diagonal_T1_iil,"axG",@progbits,_ZN9rocsolver6v33100L18trti2_kernel_smallILi16EfPKPfEEv13rocblas_fill_17rocblas_diagonal_T1_iil,comdat
.Lfunc_end79:
	.size	_ZN9rocsolver6v33100L18trti2_kernel_smallILi16EfPKPfEEv13rocblas_fill_17rocblas_diagonal_T1_iil, .Lfunc_end79-_ZN9rocsolver6v33100L18trti2_kernel_smallILi16EfPKPfEEv13rocblas_fill_17rocblas_diagonal_T1_iil
                                        ; -- End function
	.set _ZN9rocsolver6v33100L18trti2_kernel_smallILi16EfPKPfEEv13rocblas_fill_17rocblas_diagonal_T1_iil.num_vgpr, 84
	.set _ZN9rocsolver6v33100L18trti2_kernel_smallILi16EfPKPfEEv13rocblas_fill_17rocblas_diagonal_T1_iil.num_agpr, 0
	.set _ZN9rocsolver6v33100L18trti2_kernel_smallILi16EfPKPfEEv13rocblas_fill_17rocblas_diagonal_T1_iil.numbered_sgpr, 40
	.set _ZN9rocsolver6v33100L18trti2_kernel_smallILi16EfPKPfEEv13rocblas_fill_17rocblas_diagonal_T1_iil.num_named_barrier, 0
	.set _ZN9rocsolver6v33100L18trti2_kernel_smallILi16EfPKPfEEv13rocblas_fill_17rocblas_diagonal_T1_iil.private_seg_size, 0
	.set _ZN9rocsolver6v33100L18trti2_kernel_smallILi16EfPKPfEEv13rocblas_fill_17rocblas_diagonal_T1_iil.uses_vcc, 1
	.set _ZN9rocsolver6v33100L18trti2_kernel_smallILi16EfPKPfEEv13rocblas_fill_17rocblas_diagonal_T1_iil.uses_flat_scratch, 0
	.set _ZN9rocsolver6v33100L18trti2_kernel_smallILi16EfPKPfEEv13rocblas_fill_17rocblas_diagonal_T1_iil.has_dyn_sized_stack, 0
	.set _ZN9rocsolver6v33100L18trti2_kernel_smallILi16EfPKPfEEv13rocblas_fill_17rocblas_diagonal_T1_iil.has_recursion, 0
	.set _ZN9rocsolver6v33100L18trti2_kernel_smallILi16EfPKPfEEv13rocblas_fill_17rocblas_diagonal_T1_iil.has_indirect_call, 0
	.section	.AMDGPU.csdata,"",@progbits
; Kernel info:
; codeLenInByte = 18332
; TotalNumSgprs: 44
; NumVgprs: 84
; ScratchSize: 0
; MemoryBound: 0
; FloatMode: 240
; IeeeMode: 1
; LDSByteSize: 128 bytes/workgroup (compile time only)
; SGPRBlocks: 5
; VGPRBlocks: 20
; NumSGPRsForWavesPerEU: 44
; NumVGPRsForWavesPerEU: 84
; Occupancy: 3
; WaveLimiterHint : 1
; COMPUTE_PGM_RSRC2:SCRATCH_EN: 0
; COMPUTE_PGM_RSRC2:USER_SGPR: 6
; COMPUTE_PGM_RSRC2:TRAP_HANDLER: 0
; COMPUTE_PGM_RSRC2:TGID_X_EN: 1
; COMPUTE_PGM_RSRC2:TGID_Y_EN: 0
; COMPUTE_PGM_RSRC2:TGID_Z_EN: 0
; COMPUTE_PGM_RSRC2:TIDIG_COMP_CNT: 0
	.section	.text._ZN9rocsolver6v33100L18trti2_kernel_smallILi17EfPKPfEEv13rocblas_fill_17rocblas_diagonal_T1_iil,"axG",@progbits,_ZN9rocsolver6v33100L18trti2_kernel_smallILi17EfPKPfEEv13rocblas_fill_17rocblas_diagonal_T1_iil,comdat
	.globl	_ZN9rocsolver6v33100L18trti2_kernel_smallILi17EfPKPfEEv13rocblas_fill_17rocblas_diagonal_T1_iil ; -- Begin function _ZN9rocsolver6v33100L18trti2_kernel_smallILi17EfPKPfEEv13rocblas_fill_17rocblas_diagonal_T1_iil
	.p2align	8
	.type	_ZN9rocsolver6v33100L18trti2_kernel_smallILi17EfPKPfEEv13rocblas_fill_17rocblas_diagonal_T1_iil,@function
_ZN9rocsolver6v33100L18trti2_kernel_smallILi17EfPKPfEEv13rocblas_fill_17rocblas_diagonal_T1_iil: ; @_ZN9rocsolver6v33100L18trti2_kernel_smallILi17EfPKPfEEv13rocblas_fill_17rocblas_diagonal_T1_iil
; %bb.0:
	v_cmp_gt_u32_e32 vcc, 17, v0
	s_and_saveexec_b64 s[0:1], vcc
	s_cbranch_execz .LBB80_406
; %bb.1:
	s_load_dwordx2 s[0:1], s[4:5], 0x10
	s_load_dwordx4 s[36:39], s[4:5], 0x0
	s_ashr_i32 s7, s6, 31
	s_lshl_b64 s[2:3], s[6:7], 3
	v_lshlrev_b32_e32 v34, 2, v0
	s_waitcnt lgkmcnt(0)
	s_ashr_i32 s5, s0, 31
	s_add_u32 s2, s38, s2
	s_addc_u32 s3, s39, s3
	s_load_dwordx2 s[2:3], s[2:3], 0x0
	s_mov_b32 s4, s0
	s_lshl_b64 s[4:5], s[4:5], 2
	v_mov_b32_e32 v35, -1.0
	s_waitcnt lgkmcnt(0)
	s_add_u32 s0, s2, s4
	s_addc_u32 s2, s3, s5
	s_add_i32 s3, s1, s1
	v_add_u32_e32 v1, s3, v0
	v_ashrrev_i32_e32 v2, 31, v1
	v_lshlrev_b64 v[2:3], 2, v[1:2]
	v_add_u32_e32 v1, s1, v1
	v_mov_b32_e32 v4, s2
	v_add_co_u32_e32 v66, vcc, s0, v2
	v_ashrrev_i32_e32 v2, 31, v1
	v_addc_co_u32_e32 v67, vcc, v4, v3, vcc
	v_lshlrev_b64 v[2:3], 2, v[1:2]
	v_add_u32_e32 v1, s1, v1
	v_add_co_u32_e32 v68, vcc, s0, v2
	v_ashrrev_i32_e32 v2, 31, v1
	v_addc_co_u32_e32 v69, vcc, v4, v3, vcc
	v_lshlrev_b64 v[2:3], 2, v[1:2]
	v_add_u32_e32 v1, s1, v1
	;; [unrolled: 5-line block ×13, first 2 shown]
	v_add_co_u32_e32 v92, vcc, s0, v2
	v_ashrrev_i32_e32 v2, 31, v1
	v_lshlrev_b64 v[1:2], 2, v[1:2]
	v_addc_co_u32_e32 v93, vcc, v4, v3, vcc
	v_mov_b32_e32 v3, s2
	v_add_co_u32_e32 v94, vcc, s0, v1
	v_addc_co_u32_e32 v95, vcc, v3, v2, vcc
	v_mov_b32_e32 v1, s2
	v_add_co_u32_e32 v96, vcc, s0, v34
	s_ashr_i32 s3, s1, 31
	s_mov_b32 s2, s1
	v_addc_co_u32_e32 v97, vcc, 0, v1, vcc
	s_lshl_b64 s[0:1], s[2:3], 2
	v_mov_b32_e32 v1, s1
	v_add_co_u32_e32 v98, vcc, s0, v96
	v_addc_co_u32_e32 v99, vcc, v97, v1, vcc
	flat_load_dword v2, v[96:97]
	flat_load_dword v3, v[98:99]
	flat_load_dword v4, v[66:67]
	flat_load_dword v5, v[68:69]
	flat_load_dword v6, v[70:71]
	flat_load_dword v7, v[72:73]
	flat_load_dword v8, v[74:75]
	flat_load_dword v9, v[76:77]
	flat_load_dword v10, v[78:79]
	flat_load_dword v11, v[80:81]
	flat_load_dword v12, v[82:83]
	flat_load_dword v13, v[84:85]
	flat_load_dword v14, v[86:87]
	flat_load_dword v15, v[88:89]
	flat_load_dword v16, v[90:91]
	flat_load_dword v17, v[92:93]
	flat_load_dword v18, v[94:95]
	s_cmpk_lg_i32 s37, 0x84
	v_mov_b32_e32 v1, 0
	s_cselect_b64 s[38:39], -1, 0
	s_cmpk_eq_i32 s37, 0x84
	v_cmp_eq_u32_e64 s[0:1], 0, v0
	s_cbranch_scc1 .LBB80_3
; %bb.2:
	v_cmp_eq_u32_e64 s[2:3], 1, v0
	s_waitcnt vmcnt(0) lgkmcnt(0)
	v_cndmask_b32_e64 v19, v2, v3, s[2:3]
	v_cmp_eq_u32_e64 s[4:5], 2, v0
	v_cndmask_b32_e64 v19, v19, v4, s[4:5]
	v_cmp_eq_u32_e64 s[6:7], 3, v0
	;; [unrolled: 2-line block ×15, first 2 shown]
	v_cndmask_b32_e64 v19, v19, v18, s[34:35]
	v_div_scale_f32 v20, s[40:41], v19, v19, 1.0
	v_div_scale_f32 v21, vcc, 1.0, v19, 1.0
	v_rcp_f32_e32 v22, v20
	v_fma_f32 v23, -v20, v22, 1.0
	v_fmac_f32_e32 v22, v23, v22
	v_mul_f32_e32 v23, v21, v22
	v_fma_f32 v24, -v20, v23, v21
	v_fmac_f32_e32 v23, v24, v22
	v_fma_f32 v20, -v20, v23, v21
	v_div_fmas_f32 v20, v20, v22, v23
	v_div_fixup_f32 v19, v20, v19, 1.0
	v_cndmask_b32_e64 v18, v18, v19, s[34:35]
	v_cndmask_b32_e64 v17, v17, v19, s[30:31]
	v_cndmask_b32_e64 v16, v16, v19, s[28:29]
	v_cndmask_b32_e64 v15, v15, v19, s[26:27]
	v_cndmask_b32_e64 v14, v14, v19, s[24:25]
	v_cndmask_b32_e64 v13, v13, v19, s[22:23]
	v_cndmask_b32_e64 v12, v12, v19, s[20:21]
	v_cndmask_b32_e64 v11, v11, v19, s[18:19]
	v_cndmask_b32_e64 v10, v10, v19, s[16:17]
	v_cndmask_b32_e64 v9, v9, v19, s[14:15]
	v_cndmask_b32_e64 v8, v8, v19, s[12:13]
	v_cndmask_b32_e64 v7, v7, v19, s[10:11]
	v_cndmask_b32_e64 v6, v6, v19, s[8:9]
	v_cndmask_b32_e64 v5, v5, v19, s[6:7]
	v_cndmask_b32_e64 v4, v4, v19, s[4:5]
	v_cndmask_b32_e64 v3, v3, v19, s[2:3]
	v_cndmask_b32_e64 v2, v2, v19, s[0:1]
	v_xor_b32_e32 v35, 0x80000000, v19
.LBB80_3:
	s_cmpk_eq_i32 s36, 0x79
	v_add_u32_e32 v100, 0x50, v34
	ds_write_b32 v34, v35
	s_cbranch_scc1 .LBB80_7
; %bb.4:
	s_waitcnt vmcnt(0) lgkmcnt(0)
	v_mov_b32_e32 v65, v33
	v_mov_b32_e32 v64, v32
	;; [unrolled: 1-line block ×32, first 2 shown]
	v_cmp_eq_u32_e64 s[2:3], 16, v0
	ds_write_b32 v100, v17
	s_waitcnt lgkmcnt(0)
	; wave barrier
	s_and_saveexec_b64 s[0:1], s[2:3]
	s_cbranch_execz .LBB80_11
; %bb.5:
	s_and_b64 vcc, exec, s[38:39]
	s_cbranch_vccz .LBB80_8
; %bb.6:
	v_cmp_eq_u32_e32 vcc, 1, v0
	v_cndmask_b32_e32 v34, v2, v3, vcc
	v_cmp_eq_u32_e32 vcc, 2, v0
	v_cndmask_b32_e32 v34, v34, v4, vcc
	;; [unrolled: 2-line block ×12, first 2 shown]
	v_cmp_eq_u32_e32 vcc, 13, v0
	ds_read_b32 v35, v100
	v_cndmask_b32_e32 v34, v34, v15, vcc
	v_cmp_eq_u32_e32 vcc, 14, v0
	v_cndmask_b32_e32 v34, v34, v16, vcc
	v_cmp_eq_u32_e32 vcc, 15, v0
	;; [unrolled: 2-line block ×3, first 2 shown]
	v_cndmask_b32_e32 v34, v34, v18, vcc
	s_waitcnt lgkmcnt(0)
	v_mul_f32_e32 v38, v34, v35
	s_cbranch_execz .LBB80_9
	s_branch .LBB80_10
.LBB80_7:
                                        ; implicit-def: $vgpr34_vgpr35_vgpr36_vgpr37_vgpr38_vgpr39_vgpr40_vgpr41_vgpr42_vgpr43_vgpr44_vgpr45_vgpr46_vgpr47_vgpr48_vgpr49_vgpr50_vgpr51_vgpr52_vgpr53_vgpr54_vgpr55_vgpr56_vgpr57_vgpr58_vgpr59_vgpr60_vgpr61_vgpr62_vgpr63_vgpr64_vgpr65
	s_cbranch_execnz .LBB80_242
	s_branch .LBB80_405
.LBB80_8:
                                        ; implicit-def: $vgpr38
.LBB80_9:
	ds_read_b32 v38, v100
.LBB80_10:
	v_mov_b32_e32 v34, 0
	ds_read_b32 v39, v34 offset:60
	v_mov_b32_e32 v34, v2
	v_mov_b32_e32 v35, v3
	;; [unrolled: 1-line block ×4, first 2 shown]
	s_waitcnt lgkmcnt(0)
	v_mul_f32_e32 v49, v38, v39
	v_mov_b32_e32 v38, v6
	v_mov_b32_e32 v39, v7
	;; [unrolled: 1-line block ×12, first 2 shown]
.LBB80_11:
	s_or_b64 exec, exec, s[0:1]
	v_cmp_lt_u32_e64 s[0:1], 14, v0
	ds_write_b32 v100, v48
	s_waitcnt lgkmcnt(0)
	; wave barrier
	s_and_saveexec_b64 s[4:5], s[0:1]
	s_cbranch_execz .LBB80_17
; %bb.12:
	s_andn2_b64 vcc, exec, s[38:39]
	s_cbranch_vccnz .LBB80_14
; %bb.13:
	v_cmp_eq_u32_e32 vcc, 1, v0
	v_cndmask_b32_e32 v51, v34, v35, vcc
	v_cmp_eq_u32_e32 vcc, 2, v0
	v_cndmask_b32_e32 v51, v51, v36, vcc
	;; [unrolled: 2-line block ×14, first 2 shown]
	ds_read_b32 v51, v100
	v_cmp_eq_u32_e32 vcc, 15, v0
	v_cndmask_b32_e32 v48, v48, v49, vcc
	v_cmp_eq_u32_e32 vcc, 16, v0
	v_cndmask_b32_e32 v48, v48, v50, vcc
	s_waitcnt lgkmcnt(0)
	v_mul_f32_e32 v48, v48, v51
	s_cbranch_execz .LBB80_15
	s_branch .LBB80_16
.LBB80_14:
                                        ; implicit-def: $vgpr48
.LBB80_15:
	ds_read_b32 v48, v100
.LBB80_16:
	v_mov_b32_e32 v51, 0
	ds_read2_b32 v[51:52], v51 offset0:14 offset1:35
	s_waitcnt lgkmcnt(0)
	v_fma_f32 v52, v49, v52, v48
	v_cndmask_b32_e64 v48, v48, v52, s[2:3]
	v_mul_f32_e32 v48, v48, v51
.LBB80_17:
	s_or_b64 exec, exec, s[4:5]
	v_cmp_lt_u32_e64 s[2:3], 13, v0
	ds_write_b32 v100, v47
	s_waitcnt lgkmcnt(0)
	; wave barrier
	s_and_saveexec_b64 s[4:5], s[2:3]
	s_cbranch_execz .LBB80_33
; %bb.18:
	s_andn2_b64 vcc, exec, s[38:39]
	s_cbranch_vccnz .LBB80_20
; %bb.19:
	v_cmp_eq_u32_e32 vcc, 1, v0
	v_cndmask_b32_e32 v101, v34, v35, vcc
	v_cmp_eq_u32_e32 vcc, 2, v0
	v_cndmask_b32_e32 v101, v101, v36, vcc
	;; [unrolled: 2-line block ×12, first 2 shown]
	v_cmp_eq_u32_e32 vcc, 13, v0
	ds_read_b32 v102, v100
	v_cndmask_b32_e32 v101, v101, v47, vcc
	v_cmp_eq_u32_e32 vcc, 14, v0
	v_cndmask_b32_e32 v101, v101, v48, vcc
	v_cmp_eq_u32_e32 vcc, 15, v0
	;; [unrolled: 2-line block ×3, first 2 shown]
	v_cndmask_b32_e32 v101, v101, v50, vcc
	s_waitcnt lgkmcnt(0)
	v_mul_f32_e32 v101, v101, v102
	s_cbranch_execz .LBB80_21
	s_branch .LBB80_22
.LBB80_20:
                                        ; implicit-def: $vgpr101
.LBB80_21:
	ds_read_b32 v101, v100
.LBB80_22:
	s_and_saveexec_b64 s[6:7], s[0:1]
	s_cbranch_execz .LBB80_32
; %bb.23:
	v_add_u32_e32 v102, -15, v0
	v_add_u32_e32 v103, -14, v0
	v_cmp_lt_u32_e32 vcc, 6, v102
	v_mov_b32_e32 v102, 14
	s_and_saveexec_b64 s[0:1], vcc
	s_cbranch_execz .LBB80_27
; %bb.24:
	v_and_b32_e32 v102, -8, v103
	v_sub_u32_e32 v104, 0, v102
	s_mov_b64 s[8:9], 21
	s_movk_i32 s12, 0x88
	s_mov_b64 s[10:11], 0
.LBB80_25:                              ; =>This Inner Loop Header: Depth=1
	s_add_i32 s13, s8, -7
	v_mov_b32_e32 v102, s12
	s_add_i32 s14, s8, -6
	s_set_gpr_idx_on s13, gpr_idx(SRC0)
	v_mov_b32_e32 v113, v34
	s_set_gpr_idx_off
	ds_read2_b64 v[105:108], v102 offset1:1
	s_add_i32 s15, s8, -5
	s_set_gpr_idx_on s14, gpr_idx(SRC0)
	v_mov_b32_e32 v114, v34
	s_set_gpr_idx_off
	s_add_i32 s16, s8, -4
	s_set_gpr_idx_on s15, gpr_idx(SRC0)
	v_mov_b32_e32 v115, v34
	s_set_gpr_idx_off
	;; [unrolled: 4-line block ×4, first 2 shown]
	ds_read2_b64 v[109:112], v102 offset0:2 offset1:3
	s_add_i32 s19, s8, -1
	s_waitcnt lgkmcnt(1)
	v_fmac_f32_e32 v101, v113, v105
	s_set_gpr_idx_on s18, gpr_idx(SRC0)
	v_mov_b32_e32 v105, v34
	s_set_gpr_idx_off
	v_fmac_f32_e32 v101, v114, v106
	s_set_gpr_idx_on s19, gpr_idx(SRC0)
	v_mov_b32_e32 v106, v34
	s_set_gpr_idx_off
	;; [unrolled: 4-line block ×3, first 2 shown]
	v_fmac_f32_e32 v101, v116, v108
	s_add_u32 s8, s8, 8
	s_waitcnt lgkmcnt(0)
	v_fmac_f32_e32 v101, v117, v109
	v_add_u32_e32 v102, s8, v104
	v_fmac_f32_e32 v101, v105, v110
	s_addc_u32 s9, s9, 0
	s_add_i32 s12, s12, 32
	s_add_i32 s13, s8, -7
	v_cmp_eq_u32_e32 vcc, 21, v102
	v_fmac_f32_e32 v101, v106, v111
	v_mov_b32_e32 v102, s13
	s_or_b64 s[10:11], vcc, s[10:11]
	v_fmac_f32_e32 v101, v107, v112
	s_andn2_b64 exec, exec, s[10:11]
	s_cbranch_execnz .LBB80_25
; %bb.26:
	s_or_b64 exec, exec, s[10:11]
.LBB80_27:
	s_or_b64 exec, exec, s[0:1]
	v_and_b32_e32 v51, 7, v103
	v_cmp_ne_u32_e32 vcc, 0, v51
	s_and_saveexec_b64 s[8:9], vcc
	s_cbranch_execz .LBB80_31
; %bb.28:
	v_mov_b32_e32 v52, 0x50
	v_lshl_add_u32 v52, v102, 2, v52
	v_mov_b32_e32 v53, 0
	s_mov_b64 s[10:11], 0
.LBB80_29:                              ; =>This Inner Loop Header: Depth=1
	v_cmp_eq_u32_e32 vcc, 1, v102
	v_cndmask_b32_e32 v54, v34, v35, vcc
	v_add_u32_e32 v51, -1, v51
	v_cmp_eq_u32_e32 vcc, 2, v102
	v_cndmask_b32_e32 v54, v54, v36, vcc
	v_cmp_eq_u32_e32 vcc, 0, v51
	v_cmp_eq_u32_e64 s[0:1], 3, v102
	v_cndmask_b32_e64 v54, v54, v37, s[0:1]
	s_or_b64 s[10:11], vcc, s[10:11]
	v_cmp_eq_u32_e32 vcc, 4, v102
	v_cndmask_b32_e32 v54, v54, v38, vcc
	v_cmp_eq_u32_e32 vcc, 5, v102
	v_cndmask_b32_e32 v54, v54, v39, vcc
	;; [unrolled: 2-line block ×8, first 2 shown]
	v_cmp_eq_u32_e32 vcc, 12, v102
	ds_read_b32 v55, v52
	v_cndmask_b32_e32 v54, v54, v46, vcc
	v_cmp_eq_u32_e32 vcc, 13, v102
	v_cndmask_b32_e32 v54, v54, v47, vcc
	v_cmp_eq_u32_e32 vcc, 14, v102
	;; [unrolled: 2-line block ×4, first 2 shown]
	v_add_co_u32_e64 v102, s[0:1], 1, v102
	v_cndmask_b32_e32 v54, v54, v50, vcc
	v_add_u32_e32 v52, 4, v52
	v_addc_co_u32_e64 v53, s[0:1], 0, v53, s[0:1]
	s_waitcnt lgkmcnt(0)
	v_fmac_f32_e32 v101, v54, v55
	s_andn2_b64 exec, exec, s[10:11]
	s_cbranch_execnz .LBB80_29
; %bb.30:
	s_or_b64 exec, exec, s[10:11]
.LBB80_31:
	s_or_b64 exec, exec, s[8:9]
.LBB80_32:
	s_or_b64 exec, exec, s[6:7]
	v_mov_b32_e32 v47, 0
	ds_read_b32 v47, v47 offset:52
	s_waitcnt lgkmcnt(0)
	v_mul_f32_e32 v47, v101, v47
.LBB80_33:
	s_or_b64 exec, exec, s[4:5]
	v_cmp_lt_u32_e64 s[0:1], 12, v0
	ds_write_b32 v100, v46
	s_waitcnt lgkmcnt(0)
	; wave barrier
	s_and_saveexec_b64 s[4:5], s[0:1]
	s_cbranch_execz .LBB80_49
; %bb.34:
	s_andn2_b64 vcc, exec, s[38:39]
	s_cbranch_vccnz .LBB80_36
; %bb.35:
	v_cmp_eq_u32_e32 vcc, 1, v0
	v_cndmask_b32_e32 v101, v34, v35, vcc
	v_cmp_eq_u32_e32 vcc, 2, v0
	v_cndmask_b32_e32 v101, v101, v36, vcc
	;; [unrolled: 2-line block ×12, first 2 shown]
	v_cmp_eq_u32_e32 vcc, 13, v0
	ds_read_b32 v102, v100
	v_cndmask_b32_e32 v101, v101, v47, vcc
	v_cmp_eq_u32_e32 vcc, 14, v0
	v_cndmask_b32_e32 v101, v101, v48, vcc
	v_cmp_eq_u32_e32 vcc, 15, v0
	;; [unrolled: 2-line block ×3, first 2 shown]
	v_cndmask_b32_e32 v101, v101, v50, vcc
	s_waitcnt lgkmcnt(0)
	v_mul_f32_e32 v101, v101, v102
	s_cbranch_execz .LBB80_37
	s_branch .LBB80_38
.LBB80_36:
                                        ; implicit-def: $vgpr101
.LBB80_37:
	ds_read_b32 v101, v100
.LBB80_38:
	s_and_saveexec_b64 s[6:7], s[2:3]
	s_cbranch_execz .LBB80_48
; %bb.39:
	v_add_u32_e32 v102, -14, v0
	v_add_u32_e32 v103, -13, v0
	v_cmp_lt_u32_e32 vcc, 6, v102
	v_mov_b32_e32 v102, 13
	s_and_saveexec_b64 s[2:3], vcc
	s_cbranch_execz .LBB80_43
; %bb.40:
	v_and_b32_e32 v102, -8, v103
	v_sub_u32_e32 v104, 0, v102
	s_mov_b64 s[8:9], 20
	s_movk_i32 s12, 0x84
	s_mov_b64 s[10:11], 0
.LBB80_41:                              ; =>This Inner Loop Header: Depth=1
	s_add_i32 s13, s8, -7
	v_mov_b32_e32 v102, s12
	s_add_i32 s14, s8, -6
	s_set_gpr_idx_on s13, gpr_idx(SRC0)
	v_mov_b32_e32 v111, v34
	s_set_gpr_idx_off
	ds_read2_b32 v[105:106], v102 offset1:1
	s_add_i32 s15, s8, -5
	s_set_gpr_idx_on s14, gpr_idx(SRC0)
	v_mov_b32_e32 v112, v34
	s_set_gpr_idx_off
	s_add_i32 s16, s8, -4
	s_set_gpr_idx_on s15, gpr_idx(SRC0)
	v_mov_b32_e32 v113, v34
	s_set_gpr_idx_off
	ds_read2_b32 v[107:108], v102 offset0:2 offset1:3
	s_add_i32 s17, s8, -3
	s_set_gpr_idx_on s16, gpr_idx(SRC0)
	v_mov_b32_e32 v114, v34
	s_set_gpr_idx_off
	s_add_i32 s18, s8, -2
	s_set_gpr_idx_on s17, gpr_idx(SRC0)
	v_mov_b32_e32 v115, v34
	s_set_gpr_idx_off
	ds_read2_b32 v[109:110], v102 offset0:4 offset1:5
	s_add_i32 s19, s8, -1
	s_waitcnt lgkmcnt(2)
	v_fmac_f32_e32 v101, v111, v105
	s_set_gpr_idx_on s18, gpr_idx(SRC0)
	v_mov_b32_e32 v111, v34
	s_set_gpr_idx_off
	v_fmac_f32_e32 v101, v112, v106
	s_set_gpr_idx_on s19, gpr_idx(SRC0)
	v_mov_b32_e32 v112, v34
	s_set_gpr_idx_off
	ds_read2_b32 v[105:106], v102 offset0:6 offset1:7
	s_waitcnt lgkmcnt(2)
	v_fmac_f32_e32 v101, v113, v107
	s_set_gpr_idx_on s8, gpr_idx(SRC0)
	v_mov_b32_e32 v107, v34
	s_set_gpr_idx_off
	v_fmac_f32_e32 v101, v114, v108
	s_add_u32 s8, s8, 8
	s_waitcnt lgkmcnt(1)
	v_fmac_f32_e32 v101, v115, v109
	v_add_u32_e32 v102, s8, v104
	v_fmac_f32_e32 v101, v111, v110
	s_addc_u32 s9, s9, 0
	s_add_i32 s12, s12, 32
	s_add_i32 s13, s8, -7
	v_cmp_eq_u32_e32 vcc, 20, v102
	s_waitcnt lgkmcnt(0)
	v_fmac_f32_e32 v101, v112, v105
	v_mov_b32_e32 v102, s13
	s_or_b64 s[10:11], vcc, s[10:11]
	v_fmac_f32_e32 v101, v107, v106
	s_andn2_b64 exec, exec, s[10:11]
	s_cbranch_execnz .LBB80_41
; %bb.42:
	s_or_b64 exec, exec, s[10:11]
.LBB80_43:
	s_or_b64 exec, exec, s[2:3]
	v_and_b32_e32 v51, 7, v103
	v_cmp_ne_u32_e32 vcc, 0, v51
	s_and_saveexec_b64 s[8:9], vcc
	s_cbranch_execz .LBB80_47
; %bb.44:
	v_mov_b32_e32 v52, 0x50
	v_lshl_add_u32 v52, v102, 2, v52
	v_mov_b32_e32 v53, 0
	s_mov_b64 s[10:11], 0
.LBB80_45:                              ; =>This Inner Loop Header: Depth=1
	v_cmp_eq_u32_e32 vcc, 1, v102
	v_cndmask_b32_e32 v54, v34, v35, vcc
	v_add_u32_e32 v51, -1, v51
	v_cmp_eq_u32_e32 vcc, 2, v102
	v_cndmask_b32_e32 v54, v54, v36, vcc
	v_cmp_eq_u32_e32 vcc, 0, v51
	v_cmp_eq_u32_e64 s[2:3], 3, v102
	v_cndmask_b32_e64 v54, v54, v37, s[2:3]
	s_or_b64 s[10:11], vcc, s[10:11]
	v_cmp_eq_u32_e32 vcc, 4, v102
	v_cndmask_b32_e32 v54, v54, v38, vcc
	v_cmp_eq_u32_e32 vcc, 5, v102
	v_cndmask_b32_e32 v54, v54, v39, vcc
	;; [unrolled: 2-line block ×8, first 2 shown]
	v_cmp_eq_u32_e32 vcc, 12, v102
	ds_read_b32 v55, v52
	v_cndmask_b32_e32 v54, v54, v46, vcc
	v_cmp_eq_u32_e32 vcc, 13, v102
	v_cndmask_b32_e32 v54, v54, v47, vcc
	v_cmp_eq_u32_e32 vcc, 14, v102
	;; [unrolled: 2-line block ×4, first 2 shown]
	v_add_co_u32_e64 v102, s[2:3], 1, v102
	v_cndmask_b32_e32 v54, v54, v50, vcc
	v_add_u32_e32 v52, 4, v52
	v_addc_co_u32_e64 v53, s[2:3], 0, v53, s[2:3]
	s_waitcnt lgkmcnt(0)
	v_fmac_f32_e32 v101, v54, v55
	s_andn2_b64 exec, exec, s[10:11]
	s_cbranch_execnz .LBB80_45
; %bb.46:
	s_or_b64 exec, exec, s[10:11]
.LBB80_47:
	s_or_b64 exec, exec, s[8:9]
.LBB80_48:
	s_or_b64 exec, exec, s[6:7]
	v_mov_b32_e32 v46, 0
	ds_read_b32 v46, v46 offset:48
	s_waitcnt lgkmcnt(0)
	v_mul_f32_e32 v46, v101, v46
.LBB80_49:
	s_or_b64 exec, exec, s[4:5]
	v_cmp_lt_u32_e64 s[2:3], 11, v0
	ds_write_b32 v100, v45
	s_waitcnt lgkmcnt(0)
	; wave barrier
	s_and_saveexec_b64 s[4:5], s[2:3]
	s_cbranch_execz .LBB80_65
; %bb.50:
	s_andn2_b64 vcc, exec, s[38:39]
	s_cbranch_vccnz .LBB80_52
; %bb.51:
	v_cmp_eq_u32_e32 vcc, 1, v0
	v_cndmask_b32_e32 v101, v34, v35, vcc
	v_cmp_eq_u32_e32 vcc, 2, v0
	v_cndmask_b32_e32 v101, v101, v36, vcc
	;; [unrolled: 2-line block ×12, first 2 shown]
	v_cmp_eq_u32_e32 vcc, 13, v0
	ds_read_b32 v102, v100
	v_cndmask_b32_e32 v101, v101, v47, vcc
	v_cmp_eq_u32_e32 vcc, 14, v0
	v_cndmask_b32_e32 v101, v101, v48, vcc
	v_cmp_eq_u32_e32 vcc, 15, v0
	;; [unrolled: 2-line block ×3, first 2 shown]
	v_cndmask_b32_e32 v101, v101, v50, vcc
	s_waitcnt lgkmcnt(0)
	v_mul_f32_e32 v101, v101, v102
	s_cbranch_execz .LBB80_53
	s_branch .LBB80_54
.LBB80_52:
                                        ; implicit-def: $vgpr101
.LBB80_53:
	ds_read_b32 v101, v100
.LBB80_54:
	s_and_saveexec_b64 s[6:7], s[0:1]
	s_cbranch_execz .LBB80_64
; %bb.55:
	v_add_u32_e32 v102, -13, v0
	v_add_u32_e32 v103, -12, v0
	v_cmp_lt_u32_e32 vcc, 6, v102
	v_mov_b32_e32 v102, 12
	s_and_saveexec_b64 s[0:1], vcc
	s_cbranch_execz .LBB80_59
; %bb.56:
	v_and_b32_e32 v102, -8, v103
	v_sub_u32_e32 v104, 0, v102
	s_mov_b64 s[8:9], 19
	s_movk_i32 s12, 0x80
	s_mov_b64 s[10:11], 0
.LBB80_57:                              ; =>This Inner Loop Header: Depth=1
	s_add_i32 s13, s8, -7
	v_mov_b32_e32 v102, s12
	s_add_i32 s14, s8, -6
	s_set_gpr_idx_on s13, gpr_idx(SRC0)
	v_mov_b32_e32 v113, v34
	s_set_gpr_idx_off
	s_add_i32 s15, s8, -5
	ds_read_b128 v[105:108], v102
	ds_read_b128 v[109:112], v102 offset:16
	s_set_gpr_idx_on s14, gpr_idx(SRC0)
	v_mov_b32_e32 v102, v34
	s_set_gpr_idx_off
	s_add_i32 s16, s8, -4
	s_set_gpr_idx_on s15, gpr_idx(SRC0)
	v_mov_b32_e32 v114, v34
	s_set_gpr_idx_off
	s_add_i32 s17, s8, -3
	;; [unrolled: 4-line block ×4, first 2 shown]
	s_waitcnt lgkmcnt(1)
	v_fmac_f32_e32 v101, v113, v105
	s_set_gpr_idx_on s18, gpr_idx(SRC0)
	v_mov_b32_e32 v105, v34
	s_set_gpr_idx_off
	v_fmac_f32_e32 v101, v102, v106
	s_set_gpr_idx_on s19, gpr_idx(SRC0)
	v_mov_b32_e32 v106, v34
	s_set_gpr_idx_off
	v_fmac_f32_e32 v101, v114, v107
	s_set_gpr_idx_on s8, gpr_idx(SRC0)
	v_mov_b32_e32 v107, v34
	s_set_gpr_idx_off
	v_fmac_f32_e32 v101, v115, v108
	s_add_u32 s8, s8, 8
	s_waitcnt lgkmcnt(0)
	v_fmac_f32_e32 v101, v116, v109
	v_add_u32_e32 v102, s8, v104
	v_fmac_f32_e32 v101, v105, v110
	s_addc_u32 s9, s9, 0
	s_add_i32 s12, s12, 32
	s_add_i32 s13, s8, -7
	v_cmp_eq_u32_e32 vcc, 19, v102
	v_fmac_f32_e32 v101, v106, v111
	v_mov_b32_e32 v102, s13
	s_or_b64 s[10:11], vcc, s[10:11]
	v_fmac_f32_e32 v101, v107, v112
	s_andn2_b64 exec, exec, s[10:11]
	s_cbranch_execnz .LBB80_57
; %bb.58:
	s_or_b64 exec, exec, s[10:11]
.LBB80_59:
	s_or_b64 exec, exec, s[0:1]
	v_and_b32_e32 v51, 7, v103
	v_cmp_ne_u32_e32 vcc, 0, v51
	s_and_saveexec_b64 s[8:9], vcc
	s_cbranch_execz .LBB80_63
; %bb.60:
	v_mov_b32_e32 v52, 0x50
	v_lshl_add_u32 v52, v102, 2, v52
	v_mov_b32_e32 v53, 0
	s_mov_b64 s[10:11], 0
.LBB80_61:                              ; =>This Inner Loop Header: Depth=1
	v_cmp_eq_u32_e32 vcc, 1, v102
	v_cndmask_b32_e32 v54, v34, v35, vcc
	v_add_u32_e32 v51, -1, v51
	v_cmp_eq_u32_e32 vcc, 2, v102
	v_cndmask_b32_e32 v54, v54, v36, vcc
	v_cmp_eq_u32_e32 vcc, 0, v51
	v_cmp_eq_u32_e64 s[0:1], 3, v102
	v_cndmask_b32_e64 v54, v54, v37, s[0:1]
	s_or_b64 s[10:11], vcc, s[10:11]
	v_cmp_eq_u32_e32 vcc, 4, v102
	v_cndmask_b32_e32 v54, v54, v38, vcc
	v_cmp_eq_u32_e32 vcc, 5, v102
	v_cndmask_b32_e32 v54, v54, v39, vcc
	;; [unrolled: 2-line block ×8, first 2 shown]
	v_cmp_eq_u32_e32 vcc, 12, v102
	ds_read_b32 v55, v52
	v_cndmask_b32_e32 v54, v54, v46, vcc
	v_cmp_eq_u32_e32 vcc, 13, v102
	v_cndmask_b32_e32 v54, v54, v47, vcc
	v_cmp_eq_u32_e32 vcc, 14, v102
	;; [unrolled: 2-line block ×4, first 2 shown]
	v_add_co_u32_e64 v102, s[0:1], 1, v102
	v_cndmask_b32_e32 v54, v54, v50, vcc
	v_add_u32_e32 v52, 4, v52
	v_addc_co_u32_e64 v53, s[0:1], 0, v53, s[0:1]
	s_waitcnt lgkmcnt(0)
	v_fmac_f32_e32 v101, v54, v55
	s_andn2_b64 exec, exec, s[10:11]
	s_cbranch_execnz .LBB80_61
; %bb.62:
	s_or_b64 exec, exec, s[10:11]
.LBB80_63:
	s_or_b64 exec, exec, s[8:9]
.LBB80_64:
	s_or_b64 exec, exec, s[6:7]
	v_mov_b32_e32 v45, 0
	ds_read_b32 v45, v45 offset:44
	s_waitcnt lgkmcnt(0)
	v_mul_f32_e32 v45, v101, v45
.LBB80_65:
	s_or_b64 exec, exec, s[4:5]
	v_cmp_lt_u32_e64 s[0:1], 10, v0
	ds_write_b32 v100, v44
	s_waitcnt lgkmcnt(0)
	; wave barrier
	s_and_saveexec_b64 s[4:5], s[0:1]
	s_cbranch_execz .LBB80_81
; %bb.66:
	s_andn2_b64 vcc, exec, s[38:39]
	s_cbranch_vccnz .LBB80_68
; %bb.67:
	v_cmp_eq_u32_e32 vcc, 1, v0
	v_cndmask_b32_e32 v101, v34, v35, vcc
	v_cmp_eq_u32_e32 vcc, 2, v0
	v_cndmask_b32_e32 v101, v101, v36, vcc
	;; [unrolled: 2-line block ×12, first 2 shown]
	v_cmp_eq_u32_e32 vcc, 13, v0
	ds_read_b32 v102, v100
	v_cndmask_b32_e32 v101, v101, v47, vcc
	v_cmp_eq_u32_e32 vcc, 14, v0
	v_cndmask_b32_e32 v101, v101, v48, vcc
	v_cmp_eq_u32_e32 vcc, 15, v0
	;; [unrolled: 2-line block ×3, first 2 shown]
	v_cndmask_b32_e32 v101, v101, v50, vcc
	s_waitcnt lgkmcnt(0)
	v_mul_f32_e32 v101, v101, v102
	s_cbranch_execz .LBB80_69
	s_branch .LBB80_70
.LBB80_68:
                                        ; implicit-def: $vgpr101
.LBB80_69:
	ds_read_b32 v101, v100
.LBB80_70:
	s_and_saveexec_b64 s[6:7], s[2:3]
	s_cbranch_execz .LBB80_80
; %bb.71:
	v_add_u32_e32 v102, -12, v0
	v_add_u32_e32 v103, -11, v0
	v_cmp_lt_u32_e32 vcc, 6, v102
	v_mov_b32_e32 v102, 11
	s_and_saveexec_b64 s[2:3], vcc
	s_cbranch_execz .LBB80_75
; %bb.72:
	v_and_b32_e32 v102, -8, v103
	v_sub_u32_e32 v104, 0, v102
	s_mov_b64 s[8:9], 18
	s_movk_i32 s12, 0x7c
	s_mov_b64 s[10:11], 0
.LBB80_73:                              ; =>This Inner Loop Header: Depth=1
	s_add_i32 s13, s8, -7
	v_mov_b32_e32 v102, s12
	s_add_i32 s14, s8, -6
	s_set_gpr_idx_on s13, gpr_idx(SRC0)
	v_mov_b32_e32 v111, v34
	s_set_gpr_idx_off
	ds_read2_b32 v[105:106], v102 offset1:1
	s_add_i32 s15, s8, -5
	s_set_gpr_idx_on s14, gpr_idx(SRC0)
	v_mov_b32_e32 v112, v34
	s_set_gpr_idx_off
	s_add_i32 s16, s8, -4
	s_set_gpr_idx_on s15, gpr_idx(SRC0)
	v_mov_b32_e32 v113, v34
	s_set_gpr_idx_off
	ds_read2_b32 v[107:108], v102 offset0:2 offset1:3
	s_add_i32 s17, s8, -3
	s_set_gpr_idx_on s16, gpr_idx(SRC0)
	v_mov_b32_e32 v114, v34
	s_set_gpr_idx_off
	s_add_i32 s18, s8, -2
	s_set_gpr_idx_on s17, gpr_idx(SRC0)
	v_mov_b32_e32 v115, v34
	s_set_gpr_idx_off
	ds_read2_b32 v[109:110], v102 offset0:4 offset1:5
	s_add_i32 s19, s8, -1
	s_waitcnt lgkmcnt(2)
	v_fmac_f32_e32 v101, v111, v105
	s_set_gpr_idx_on s18, gpr_idx(SRC0)
	v_mov_b32_e32 v111, v34
	s_set_gpr_idx_off
	v_fmac_f32_e32 v101, v112, v106
	s_set_gpr_idx_on s19, gpr_idx(SRC0)
	v_mov_b32_e32 v112, v34
	s_set_gpr_idx_off
	ds_read2_b32 v[105:106], v102 offset0:6 offset1:7
	s_waitcnt lgkmcnt(2)
	v_fmac_f32_e32 v101, v113, v107
	s_set_gpr_idx_on s8, gpr_idx(SRC0)
	v_mov_b32_e32 v107, v34
	s_set_gpr_idx_off
	v_fmac_f32_e32 v101, v114, v108
	s_add_u32 s8, s8, 8
	s_waitcnt lgkmcnt(1)
	v_fmac_f32_e32 v101, v115, v109
	v_add_u32_e32 v102, s8, v104
	v_fmac_f32_e32 v101, v111, v110
	s_addc_u32 s9, s9, 0
	s_add_i32 s12, s12, 32
	s_add_i32 s13, s8, -7
	v_cmp_eq_u32_e32 vcc, 18, v102
	s_waitcnt lgkmcnt(0)
	v_fmac_f32_e32 v101, v112, v105
	v_mov_b32_e32 v102, s13
	s_or_b64 s[10:11], vcc, s[10:11]
	v_fmac_f32_e32 v101, v107, v106
	s_andn2_b64 exec, exec, s[10:11]
	s_cbranch_execnz .LBB80_73
; %bb.74:
	s_or_b64 exec, exec, s[10:11]
.LBB80_75:
	s_or_b64 exec, exec, s[2:3]
	v_and_b32_e32 v51, 7, v103
	v_cmp_ne_u32_e32 vcc, 0, v51
	s_and_saveexec_b64 s[8:9], vcc
	s_cbranch_execz .LBB80_79
; %bb.76:
	v_mov_b32_e32 v52, 0x50
	v_lshl_add_u32 v52, v102, 2, v52
	v_mov_b32_e32 v53, 0
	s_mov_b64 s[10:11], 0
.LBB80_77:                              ; =>This Inner Loop Header: Depth=1
	v_cmp_eq_u32_e32 vcc, 1, v102
	v_cndmask_b32_e32 v54, v34, v35, vcc
	v_add_u32_e32 v51, -1, v51
	v_cmp_eq_u32_e32 vcc, 2, v102
	v_cndmask_b32_e32 v54, v54, v36, vcc
	v_cmp_eq_u32_e32 vcc, 0, v51
	v_cmp_eq_u32_e64 s[2:3], 3, v102
	v_cndmask_b32_e64 v54, v54, v37, s[2:3]
	s_or_b64 s[10:11], vcc, s[10:11]
	v_cmp_eq_u32_e32 vcc, 4, v102
	v_cndmask_b32_e32 v54, v54, v38, vcc
	v_cmp_eq_u32_e32 vcc, 5, v102
	v_cndmask_b32_e32 v54, v54, v39, vcc
	;; [unrolled: 2-line block ×8, first 2 shown]
	v_cmp_eq_u32_e32 vcc, 12, v102
	ds_read_b32 v55, v52
	v_cndmask_b32_e32 v54, v54, v46, vcc
	v_cmp_eq_u32_e32 vcc, 13, v102
	v_cndmask_b32_e32 v54, v54, v47, vcc
	v_cmp_eq_u32_e32 vcc, 14, v102
	;; [unrolled: 2-line block ×4, first 2 shown]
	v_add_co_u32_e64 v102, s[2:3], 1, v102
	v_cndmask_b32_e32 v54, v54, v50, vcc
	v_add_u32_e32 v52, 4, v52
	v_addc_co_u32_e64 v53, s[2:3], 0, v53, s[2:3]
	s_waitcnt lgkmcnt(0)
	v_fmac_f32_e32 v101, v54, v55
	s_andn2_b64 exec, exec, s[10:11]
	s_cbranch_execnz .LBB80_77
; %bb.78:
	s_or_b64 exec, exec, s[10:11]
.LBB80_79:
	s_or_b64 exec, exec, s[8:9]
.LBB80_80:
	s_or_b64 exec, exec, s[6:7]
	v_mov_b32_e32 v44, 0
	ds_read_b32 v44, v44 offset:40
	s_waitcnt lgkmcnt(0)
	v_mul_f32_e32 v44, v101, v44
.LBB80_81:
	s_or_b64 exec, exec, s[4:5]
	v_cmp_lt_u32_e64 s[2:3], 9, v0
	ds_write_b32 v100, v43
	s_waitcnt lgkmcnt(0)
	; wave barrier
	s_and_saveexec_b64 s[4:5], s[2:3]
	s_cbranch_execz .LBB80_97
; %bb.82:
	s_andn2_b64 vcc, exec, s[38:39]
	s_cbranch_vccnz .LBB80_84
; %bb.83:
	v_cmp_eq_u32_e32 vcc, 1, v0
	v_cndmask_b32_e32 v101, v34, v35, vcc
	v_cmp_eq_u32_e32 vcc, 2, v0
	v_cndmask_b32_e32 v101, v101, v36, vcc
	;; [unrolled: 2-line block ×12, first 2 shown]
	v_cmp_eq_u32_e32 vcc, 13, v0
	ds_read_b32 v102, v100
	v_cndmask_b32_e32 v101, v101, v47, vcc
	v_cmp_eq_u32_e32 vcc, 14, v0
	v_cndmask_b32_e32 v101, v101, v48, vcc
	v_cmp_eq_u32_e32 vcc, 15, v0
	;; [unrolled: 2-line block ×3, first 2 shown]
	v_cndmask_b32_e32 v101, v101, v50, vcc
	s_waitcnt lgkmcnt(0)
	v_mul_f32_e32 v101, v101, v102
	s_cbranch_execz .LBB80_85
	s_branch .LBB80_86
.LBB80_84:
                                        ; implicit-def: $vgpr101
.LBB80_85:
	ds_read_b32 v101, v100
.LBB80_86:
	s_and_saveexec_b64 s[6:7], s[0:1]
	s_cbranch_execz .LBB80_96
; %bb.87:
	v_add_u32_e32 v102, -11, v0
	v_add_u32_e32 v103, -10, v0
	v_cmp_lt_u32_e32 vcc, 6, v102
	v_mov_b32_e32 v102, 10
	s_and_saveexec_b64 s[0:1], vcc
	s_cbranch_execz .LBB80_91
; %bb.88:
	v_and_b32_e32 v102, -8, v103
	v_sub_u32_e32 v104, 0, v102
	s_mov_b64 s[8:9], 17
	s_movk_i32 s12, 0x78
	s_mov_b64 s[10:11], 0
.LBB80_89:                              ; =>This Inner Loop Header: Depth=1
	s_add_i32 s13, s8, -7
	v_mov_b32_e32 v102, s12
	s_add_i32 s14, s8, -6
	s_set_gpr_idx_on s13, gpr_idx(SRC0)
	v_mov_b32_e32 v113, v34
	s_set_gpr_idx_off
	ds_read2_b64 v[105:108], v102 offset1:1
	s_add_i32 s15, s8, -5
	s_set_gpr_idx_on s14, gpr_idx(SRC0)
	v_mov_b32_e32 v114, v34
	s_set_gpr_idx_off
	s_add_i32 s16, s8, -4
	s_set_gpr_idx_on s15, gpr_idx(SRC0)
	v_mov_b32_e32 v115, v34
	s_set_gpr_idx_off
	;; [unrolled: 4-line block ×4, first 2 shown]
	ds_read2_b64 v[109:112], v102 offset0:2 offset1:3
	s_add_i32 s19, s8, -1
	s_waitcnt lgkmcnt(1)
	v_fmac_f32_e32 v101, v113, v105
	s_set_gpr_idx_on s18, gpr_idx(SRC0)
	v_mov_b32_e32 v105, v34
	s_set_gpr_idx_off
	v_fmac_f32_e32 v101, v114, v106
	s_set_gpr_idx_on s19, gpr_idx(SRC0)
	v_mov_b32_e32 v106, v34
	s_set_gpr_idx_off
	;; [unrolled: 4-line block ×3, first 2 shown]
	v_fmac_f32_e32 v101, v116, v108
	s_add_u32 s8, s8, 8
	s_waitcnt lgkmcnt(0)
	v_fmac_f32_e32 v101, v117, v109
	v_add_u32_e32 v102, s8, v104
	v_fmac_f32_e32 v101, v105, v110
	s_addc_u32 s9, s9, 0
	s_add_i32 s12, s12, 32
	s_add_i32 s13, s8, -7
	v_cmp_eq_u32_e32 vcc, 17, v102
	v_fmac_f32_e32 v101, v106, v111
	v_mov_b32_e32 v102, s13
	s_or_b64 s[10:11], vcc, s[10:11]
	v_fmac_f32_e32 v101, v107, v112
	s_andn2_b64 exec, exec, s[10:11]
	s_cbranch_execnz .LBB80_89
; %bb.90:
	s_or_b64 exec, exec, s[10:11]
.LBB80_91:
	s_or_b64 exec, exec, s[0:1]
	v_and_b32_e32 v51, 7, v103
	v_cmp_ne_u32_e32 vcc, 0, v51
	s_and_saveexec_b64 s[8:9], vcc
	s_cbranch_execz .LBB80_95
; %bb.92:
	v_mov_b32_e32 v52, 0x50
	v_lshl_add_u32 v52, v102, 2, v52
	v_mov_b32_e32 v53, 0
	s_mov_b64 s[10:11], 0
.LBB80_93:                              ; =>This Inner Loop Header: Depth=1
	v_cmp_eq_u32_e32 vcc, 1, v102
	v_cndmask_b32_e32 v54, v34, v35, vcc
	v_add_u32_e32 v51, -1, v51
	v_cmp_eq_u32_e32 vcc, 2, v102
	v_cndmask_b32_e32 v54, v54, v36, vcc
	v_cmp_eq_u32_e32 vcc, 0, v51
	v_cmp_eq_u32_e64 s[0:1], 3, v102
	v_cndmask_b32_e64 v54, v54, v37, s[0:1]
	s_or_b64 s[10:11], vcc, s[10:11]
	v_cmp_eq_u32_e32 vcc, 4, v102
	v_cndmask_b32_e32 v54, v54, v38, vcc
	v_cmp_eq_u32_e32 vcc, 5, v102
	v_cndmask_b32_e32 v54, v54, v39, vcc
	;; [unrolled: 2-line block ×8, first 2 shown]
	v_cmp_eq_u32_e32 vcc, 12, v102
	ds_read_b32 v55, v52
	v_cndmask_b32_e32 v54, v54, v46, vcc
	v_cmp_eq_u32_e32 vcc, 13, v102
	v_cndmask_b32_e32 v54, v54, v47, vcc
	v_cmp_eq_u32_e32 vcc, 14, v102
	;; [unrolled: 2-line block ×4, first 2 shown]
	v_add_co_u32_e64 v102, s[0:1], 1, v102
	v_cndmask_b32_e32 v54, v54, v50, vcc
	v_add_u32_e32 v52, 4, v52
	v_addc_co_u32_e64 v53, s[0:1], 0, v53, s[0:1]
	s_waitcnt lgkmcnt(0)
	v_fmac_f32_e32 v101, v54, v55
	s_andn2_b64 exec, exec, s[10:11]
	s_cbranch_execnz .LBB80_93
; %bb.94:
	s_or_b64 exec, exec, s[10:11]
.LBB80_95:
	s_or_b64 exec, exec, s[8:9]
.LBB80_96:
	s_or_b64 exec, exec, s[6:7]
	v_mov_b32_e32 v43, 0
	ds_read_b32 v43, v43 offset:36
	s_waitcnt lgkmcnt(0)
	v_mul_f32_e32 v43, v101, v43
.LBB80_97:
	s_or_b64 exec, exec, s[4:5]
	v_cmp_lt_u32_e64 s[0:1], 8, v0
	ds_write_b32 v100, v42
	s_waitcnt lgkmcnt(0)
	; wave barrier
	s_and_saveexec_b64 s[4:5], s[0:1]
	s_cbranch_execz .LBB80_113
; %bb.98:
	s_andn2_b64 vcc, exec, s[38:39]
	s_cbranch_vccnz .LBB80_100
; %bb.99:
	v_cmp_eq_u32_e32 vcc, 1, v0
	v_cndmask_b32_e32 v101, v34, v35, vcc
	v_cmp_eq_u32_e32 vcc, 2, v0
	v_cndmask_b32_e32 v101, v101, v36, vcc
	;; [unrolled: 2-line block ×12, first 2 shown]
	v_cmp_eq_u32_e32 vcc, 13, v0
	ds_read_b32 v102, v100
	v_cndmask_b32_e32 v101, v101, v47, vcc
	v_cmp_eq_u32_e32 vcc, 14, v0
	v_cndmask_b32_e32 v101, v101, v48, vcc
	v_cmp_eq_u32_e32 vcc, 15, v0
	;; [unrolled: 2-line block ×3, first 2 shown]
	v_cndmask_b32_e32 v101, v101, v50, vcc
	s_waitcnt lgkmcnt(0)
	v_mul_f32_e32 v101, v101, v102
	s_cbranch_execz .LBB80_101
	s_branch .LBB80_102
.LBB80_100:
                                        ; implicit-def: $vgpr101
.LBB80_101:
	ds_read_b32 v101, v100
.LBB80_102:
	s_and_saveexec_b64 s[6:7], s[2:3]
	s_cbranch_execz .LBB80_112
; %bb.103:
	v_add_u32_e32 v102, -10, v0
	v_add_u32_e32 v103, -9, v0
	v_cmp_lt_u32_e32 vcc, 6, v102
	v_mov_b32_e32 v102, 9
	s_and_saveexec_b64 s[2:3], vcc
	s_cbranch_execz .LBB80_107
; %bb.104:
	v_and_b32_e32 v102, -8, v103
	v_sub_u32_e32 v104, 0, v102
	s_mov_b64 s[8:9], 16
	s_movk_i32 s12, 0x74
	s_mov_b64 s[10:11], 0
.LBB80_105:                             ; =>This Inner Loop Header: Depth=1
	s_add_i32 s13, s8, -7
	v_mov_b32_e32 v102, s12
	s_add_i32 s14, s8, -6
	s_set_gpr_idx_on s13, gpr_idx(SRC0)
	v_mov_b32_e32 v111, v34
	s_set_gpr_idx_off
	ds_read2_b32 v[105:106], v102 offset1:1
	s_add_i32 s15, s8, -5
	s_set_gpr_idx_on s14, gpr_idx(SRC0)
	v_mov_b32_e32 v112, v34
	s_set_gpr_idx_off
	s_add_i32 s16, s8, -4
	s_set_gpr_idx_on s15, gpr_idx(SRC0)
	v_mov_b32_e32 v113, v34
	s_set_gpr_idx_off
	ds_read2_b32 v[107:108], v102 offset0:2 offset1:3
	s_add_i32 s17, s8, -3
	s_set_gpr_idx_on s16, gpr_idx(SRC0)
	v_mov_b32_e32 v114, v34
	s_set_gpr_idx_off
	s_add_i32 s18, s8, -2
	s_set_gpr_idx_on s17, gpr_idx(SRC0)
	v_mov_b32_e32 v115, v34
	s_set_gpr_idx_off
	ds_read2_b32 v[109:110], v102 offset0:4 offset1:5
	s_add_i32 s19, s8, -1
	s_waitcnt lgkmcnt(2)
	v_fmac_f32_e32 v101, v111, v105
	s_set_gpr_idx_on s18, gpr_idx(SRC0)
	v_mov_b32_e32 v111, v34
	s_set_gpr_idx_off
	v_fmac_f32_e32 v101, v112, v106
	s_set_gpr_idx_on s19, gpr_idx(SRC0)
	v_mov_b32_e32 v112, v34
	s_set_gpr_idx_off
	ds_read2_b32 v[105:106], v102 offset0:6 offset1:7
	s_waitcnt lgkmcnt(2)
	v_fmac_f32_e32 v101, v113, v107
	s_set_gpr_idx_on s8, gpr_idx(SRC0)
	v_mov_b32_e32 v107, v34
	s_set_gpr_idx_off
	v_fmac_f32_e32 v101, v114, v108
	s_add_u32 s8, s8, 8
	s_waitcnt lgkmcnt(1)
	v_fmac_f32_e32 v101, v115, v109
	v_add_u32_e32 v102, s8, v104
	v_fmac_f32_e32 v101, v111, v110
	s_addc_u32 s9, s9, 0
	s_add_i32 s12, s12, 32
	s_add_i32 s13, s8, -7
	v_cmp_eq_u32_e32 vcc, 16, v102
	s_waitcnt lgkmcnt(0)
	v_fmac_f32_e32 v101, v112, v105
	v_mov_b32_e32 v102, s13
	s_or_b64 s[10:11], vcc, s[10:11]
	v_fmac_f32_e32 v101, v107, v106
	s_andn2_b64 exec, exec, s[10:11]
	s_cbranch_execnz .LBB80_105
; %bb.106:
	s_or_b64 exec, exec, s[10:11]
.LBB80_107:
	s_or_b64 exec, exec, s[2:3]
	v_and_b32_e32 v51, 7, v103
	v_cmp_ne_u32_e32 vcc, 0, v51
	s_and_saveexec_b64 s[8:9], vcc
	s_cbranch_execz .LBB80_111
; %bb.108:
	v_mov_b32_e32 v52, 0x50
	v_lshl_add_u32 v52, v102, 2, v52
	v_mov_b32_e32 v53, 0
	s_mov_b64 s[10:11], 0
.LBB80_109:                             ; =>This Inner Loop Header: Depth=1
	v_cmp_eq_u32_e32 vcc, 1, v102
	v_cndmask_b32_e32 v54, v34, v35, vcc
	v_add_u32_e32 v51, -1, v51
	v_cmp_eq_u32_e32 vcc, 2, v102
	v_cndmask_b32_e32 v54, v54, v36, vcc
	v_cmp_eq_u32_e32 vcc, 0, v51
	v_cmp_eq_u32_e64 s[2:3], 3, v102
	v_cndmask_b32_e64 v54, v54, v37, s[2:3]
	s_or_b64 s[10:11], vcc, s[10:11]
	v_cmp_eq_u32_e32 vcc, 4, v102
	v_cndmask_b32_e32 v54, v54, v38, vcc
	v_cmp_eq_u32_e32 vcc, 5, v102
	v_cndmask_b32_e32 v54, v54, v39, vcc
	;; [unrolled: 2-line block ×8, first 2 shown]
	v_cmp_eq_u32_e32 vcc, 12, v102
	ds_read_b32 v55, v52
	v_cndmask_b32_e32 v54, v54, v46, vcc
	v_cmp_eq_u32_e32 vcc, 13, v102
	v_cndmask_b32_e32 v54, v54, v47, vcc
	v_cmp_eq_u32_e32 vcc, 14, v102
	;; [unrolled: 2-line block ×4, first 2 shown]
	v_add_co_u32_e64 v102, s[2:3], 1, v102
	v_cndmask_b32_e32 v54, v54, v50, vcc
	v_add_u32_e32 v52, 4, v52
	v_addc_co_u32_e64 v53, s[2:3], 0, v53, s[2:3]
	s_waitcnt lgkmcnt(0)
	v_fmac_f32_e32 v101, v54, v55
	s_andn2_b64 exec, exec, s[10:11]
	s_cbranch_execnz .LBB80_109
; %bb.110:
	s_or_b64 exec, exec, s[10:11]
.LBB80_111:
	s_or_b64 exec, exec, s[8:9]
.LBB80_112:
	s_or_b64 exec, exec, s[6:7]
	v_mov_b32_e32 v42, 0
	ds_read_b32 v42, v42 offset:32
	s_waitcnt lgkmcnt(0)
	v_mul_f32_e32 v42, v101, v42
.LBB80_113:
	s_or_b64 exec, exec, s[4:5]
	v_cmp_lt_u32_e64 s[2:3], 7, v0
	ds_write_b32 v100, v41
	s_waitcnt lgkmcnt(0)
	; wave barrier
	s_and_saveexec_b64 s[4:5], s[2:3]
	s_cbranch_execz .LBB80_129
; %bb.114:
	s_andn2_b64 vcc, exec, s[38:39]
	s_cbranch_vccnz .LBB80_116
; %bb.115:
	v_cmp_eq_u32_e32 vcc, 1, v0
	v_cndmask_b32_e32 v101, v34, v35, vcc
	v_cmp_eq_u32_e32 vcc, 2, v0
	v_cndmask_b32_e32 v101, v101, v36, vcc
	;; [unrolled: 2-line block ×12, first 2 shown]
	v_cmp_eq_u32_e32 vcc, 13, v0
	ds_read_b32 v102, v100
	v_cndmask_b32_e32 v101, v101, v47, vcc
	v_cmp_eq_u32_e32 vcc, 14, v0
	v_cndmask_b32_e32 v101, v101, v48, vcc
	v_cmp_eq_u32_e32 vcc, 15, v0
	v_cndmask_b32_e32 v101, v101, v49, vcc
	v_cmp_eq_u32_e32 vcc, 16, v0
	v_cndmask_b32_e32 v101, v101, v50, vcc
	s_waitcnt lgkmcnt(0)
	v_mul_f32_e32 v101, v101, v102
	s_cbranch_execz .LBB80_117
	s_branch .LBB80_118
.LBB80_116:
                                        ; implicit-def: $vgpr101
.LBB80_117:
	ds_read_b32 v101, v100
.LBB80_118:
	s_and_saveexec_b64 s[6:7], s[0:1]
	s_cbranch_execz .LBB80_128
; %bb.119:
	v_add_u32_e32 v102, -9, v0
	v_cmp_lt_u32_e32 vcc, 6, v102
	v_mov_b32_e32 v102, 8
	s_and_saveexec_b64 s[0:1], vcc
	s_cbranch_execz .LBB80_123
; %bb.120:
	v_and_b32_e32 v102, 24, v0
	v_sub_u32_e32 v103, 0, v102
	s_mov_b64 s[8:9], 15
	s_movk_i32 s12, 0x70
	s_mov_b64 s[10:11], 0
.LBB80_121:                             ; =>This Inner Loop Header: Depth=1
	s_add_i32 s13, s8, -7
	v_mov_b32_e32 v102, s12
	s_add_i32 s14, s8, -6
	s_set_gpr_idx_on s13, gpr_idx(SRC0)
	v_mov_b32_e32 v112, v34
	s_set_gpr_idx_off
	s_add_i32 s15, s8, -5
	ds_read_b128 v[104:107], v102
	ds_read_b128 v[108:111], v102 offset:16
	s_set_gpr_idx_on s14, gpr_idx(SRC0)
	v_mov_b32_e32 v102, v34
	s_set_gpr_idx_off
	s_add_i32 s16, s8, -4
	s_set_gpr_idx_on s15, gpr_idx(SRC0)
	v_mov_b32_e32 v113, v34
	s_set_gpr_idx_off
	s_add_i32 s17, s8, -3
	;; [unrolled: 4-line block ×4, first 2 shown]
	s_waitcnt lgkmcnt(1)
	v_fmac_f32_e32 v101, v112, v104
	s_set_gpr_idx_on s18, gpr_idx(SRC0)
	v_mov_b32_e32 v104, v34
	s_set_gpr_idx_off
	v_fmac_f32_e32 v101, v102, v105
	s_set_gpr_idx_on s19, gpr_idx(SRC0)
	v_mov_b32_e32 v105, v34
	s_set_gpr_idx_off
	;; [unrolled: 4-line block ×3, first 2 shown]
	v_fmac_f32_e32 v101, v114, v107
	s_add_u32 s8, s8, 8
	s_waitcnt lgkmcnt(0)
	v_fmac_f32_e32 v101, v115, v108
	v_add_u32_e32 v102, s8, v103
	v_fmac_f32_e32 v101, v104, v109
	s_addc_u32 s9, s9, 0
	s_add_i32 s12, s12, 32
	s_add_i32 s13, s8, -7
	v_cmp_eq_u32_e32 vcc, 7, v102
	v_fmac_f32_e32 v101, v105, v110
	v_mov_b32_e32 v102, s13
	s_or_b64 s[10:11], vcc, s[10:11]
	v_fmac_f32_e32 v101, v106, v111
	s_andn2_b64 exec, exec, s[10:11]
	s_cbranch_execnz .LBB80_121
; %bb.122:
	s_or_b64 exec, exec, s[10:11]
.LBB80_123:
	s_or_b64 exec, exec, s[0:1]
	v_and_b32_e32 v51, 7, v0
	v_cmp_ne_u32_e32 vcc, 0, v51
	s_and_saveexec_b64 s[8:9], vcc
	s_cbranch_execz .LBB80_127
; %bb.124:
	v_mov_b32_e32 v52, 0x50
	v_lshl_add_u32 v52, v102, 2, v52
	v_mov_b32_e32 v53, 0
	s_mov_b64 s[10:11], 0
.LBB80_125:                             ; =>This Inner Loop Header: Depth=1
	v_cmp_eq_u32_e32 vcc, 1, v102
	v_cndmask_b32_e32 v54, v34, v35, vcc
	v_add_u32_e32 v51, -1, v51
	v_cmp_eq_u32_e32 vcc, 2, v102
	v_cndmask_b32_e32 v54, v54, v36, vcc
	v_cmp_eq_u32_e32 vcc, 0, v51
	v_cmp_eq_u32_e64 s[0:1], 3, v102
	v_cndmask_b32_e64 v54, v54, v37, s[0:1]
	s_or_b64 s[10:11], vcc, s[10:11]
	v_cmp_eq_u32_e32 vcc, 4, v102
	v_cndmask_b32_e32 v54, v54, v38, vcc
	v_cmp_eq_u32_e32 vcc, 5, v102
	v_cndmask_b32_e32 v54, v54, v39, vcc
	;; [unrolled: 2-line block ×8, first 2 shown]
	v_cmp_eq_u32_e32 vcc, 12, v102
	ds_read_b32 v55, v52
	v_cndmask_b32_e32 v54, v54, v46, vcc
	v_cmp_eq_u32_e32 vcc, 13, v102
	v_cndmask_b32_e32 v54, v54, v47, vcc
	v_cmp_eq_u32_e32 vcc, 14, v102
	;; [unrolled: 2-line block ×4, first 2 shown]
	v_add_co_u32_e64 v102, s[0:1], 1, v102
	v_cndmask_b32_e32 v54, v54, v50, vcc
	v_add_u32_e32 v52, 4, v52
	v_addc_co_u32_e64 v53, s[0:1], 0, v53, s[0:1]
	s_waitcnt lgkmcnt(0)
	v_fmac_f32_e32 v101, v54, v55
	s_andn2_b64 exec, exec, s[10:11]
	s_cbranch_execnz .LBB80_125
; %bb.126:
	s_or_b64 exec, exec, s[10:11]
.LBB80_127:
	s_or_b64 exec, exec, s[8:9]
.LBB80_128:
	s_or_b64 exec, exec, s[6:7]
	v_mov_b32_e32 v41, 0
	ds_read_b32 v41, v41 offset:28
	s_waitcnt lgkmcnt(0)
	v_mul_f32_e32 v41, v101, v41
.LBB80_129:
	s_or_b64 exec, exec, s[4:5]
	v_cmp_lt_u32_e64 s[0:1], 6, v0
	ds_write_b32 v100, v40
	s_waitcnt lgkmcnt(0)
	; wave barrier
	s_and_saveexec_b64 s[4:5], s[0:1]
	s_cbranch_execz .LBB80_145
; %bb.130:
	s_andn2_b64 vcc, exec, s[38:39]
	s_cbranch_vccnz .LBB80_132
; %bb.131:
	v_cmp_eq_u32_e32 vcc, 1, v0
	v_cndmask_b32_e32 v101, v34, v35, vcc
	v_cmp_eq_u32_e32 vcc, 2, v0
	v_cndmask_b32_e32 v101, v101, v36, vcc
	;; [unrolled: 2-line block ×12, first 2 shown]
	v_cmp_eq_u32_e32 vcc, 13, v0
	ds_read_b32 v102, v100
	v_cndmask_b32_e32 v101, v101, v47, vcc
	v_cmp_eq_u32_e32 vcc, 14, v0
	v_cndmask_b32_e32 v101, v101, v48, vcc
	v_cmp_eq_u32_e32 vcc, 15, v0
	;; [unrolled: 2-line block ×3, first 2 shown]
	v_cndmask_b32_e32 v101, v101, v50, vcc
	s_waitcnt lgkmcnt(0)
	v_mul_f32_e32 v101, v101, v102
	s_cbranch_execz .LBB80_133
	s_branch .LBB80_134
.LBB80_132:
                                        ; implicit-def: $vgpr101
.LBB80_133:
	ds_read_b32 v101, v100
.LBB80_134:
	s_and_saveexec_b64 s[6:7], s[2:3]
	s_cbranch_execz .LBB80_144
; %bb.135:
	v_add_u32_e32 v102, -8, v0
	v_add_u32_e32 v103, -7, v0
	v_cmp_lt_u32_e32 vcc, 6, v102
	v_mov_b32_e32 v102, 7
	s_and_saveexec_b64 s[2:3], vcc
	s_cbranch_execz .LBB80_139
; %bb.136:
	v_and_b32_e32 v102, -8, v103
	v_sub_u32_e32 v104, 0, v102
	s_mov_b64 s[8:9], 14
	s_movk_i32 s12, 0x6c
	s_mov_b64 s[10:11], 0
.LBB80_137:                             ; =>This Inner Loop Header: Depth=1
	s_add_i32 s13, s8, -7
	v_mov_b32_e32 v102, s12
	s_add_i32 s14, s8, -6
	s_set_gpr_idx_on s13, gpr_idx(SRC0)
	v_mov_b32_e32 v111, v34
	s_set_gpr_idx_off
	ds_read2_b32 v[105:106], v102 offset1:1
	s_add_i32 s15, s8, -5
	s_set_gpr_idx_on s14, gpr_idx(SRC0)
	v_mov_b32_e32 v112, v34
	s_set_gpr_idx_off
	s_add_i32 s16, s8, -4
	s_set_gpr_idx_on s15, gpr_idx(SRC0)
	v_mov_b32_e32 v113, v34
	s_set_gpr_idx_off
	ds_read2_b32 v[107:108], v102 offset0:2 offset1:3
	s_add_i32 s17, s8, -3
	s_set_gpr_idx_on s16, gpr_idx(SRC0)
	v_mov_b32_e32 v114, v34
	s_set_gpr_idx_off
	s_add_i32 s18, s8, -2
	s_set_gpr_idx_on s17, gpr_idx(SRC0)
	v_mov_b32_e32 v115, v34
	s_set_gpr_idx_off
	ds_read2_b32 v[109:110], v102 offset0:4 offset1:5
	s_add_i32 s19, s8, -1
	s_waitcnt lgkmcnt(2)
	v_fmac_f32_e32 v101, v111, v105
	s_set_gpr_idx_on s18, gpr_idx(SRC0)
	v_mov_b32_e32 v111, v34
	s_set_gpr_idx_off
	v_fmac_f32_e32 v101, v112, v106
	s_set_gpr_idx_on s19, gpr_idx(SRC0)
	v_mov_b32_e32 v112, v34
	s_set_gpr_idx_off
	ds_read2_b32 v[105:106], v102 offset0:6 offset1:7
	s_waitcnt lgkmcnt(2)
	v_fmac_f32_e32 v101, v113, v107
	s_set_gpr_idx_on s8, gpr_idx(SRC0)
	v_mov_b32_e32 v107, v34
	s_set_gpr_idx_off
	v_fmac_f32_e32 v101, v114, v108
	s_add_u32 s8, s8, 8
	s_waitcnt lgkmcnt(1)
	v_fmac_f32_e32 v101, v115, v109
	v_add_u32_e32 v102, s8, v104
	v_fmac_f32_e32 v101, v111, v110
	s_addc_u32 s9, s9, 0
	s_add_i32 s12, s12, 32
	s_add_i32 s13, s8, -7
	v_cmp_eq_u32_e32 vcc, 14, v102
	s_waitcnt lgkmcnt(0)
	v_fmac_f32_e32 v101, v112, v105
	v_mov_b32_e32 v102, s13
	s_or_b64 s[10:11], vcc, s[10:11]
	v_fmac_f32_e32 v101, v107, v106
	s_andn2_b64 exec, exec, s[10:11]
	s_cbranch_execnz .LBB80_137
; %bb.138:
	s_or_b64 exec, exec, s[10:11]
.LBB80_139:
	s_or_b64 exec, exec, s[2:3]
	v_and_b32_e32 v51, 7, v103
	v_cmp_ne_u32_e32 vcc, 0, v51
	s_and_saveexec_b64 s[8:9], vcc
	s_cbranch_execz .LBB80_143
; %bb.140:
	v_mov_b32_e32 v52, 0x50
	v_lshl_add_u32 v52, v102, 2, v52
	v_mov_b32_e32 v53, 0
	s_mov_b64 s[10:11], 0
.LBB80_141:                             ; =>This Inner Loop Header: Depth=1
	v_cmp_eq_u32_e32 vcc, 1, v102
	v_cndmask_b32_e32 v54, v34, v35, vcc
	v_add_u32_e32 v51, -1, v51
	v_cmp_eq_u32_e32 vcc, 2, v102
	v_cndmask_b32_e32 v54, v54, v36, vcc
	v_cmp_eq_u32_e32 vcc, 0, v51
	v_cmp_eq_u32_e64 s[2:3], 3, v102
	v_cndmask_b32_e64 v54, v54, v37, s[2:3]
	s_or_b64 s[10:11], vcc, s[10:11]
	v_cmp_eq_u32_e32 vcc, 4, v102
	v_cndmask_b32_e32 v54, v54, v38, vcc
	v_cmp_eq_u32_e32 vcc, 5, v102
	v_cndmask_b32_e32 v54, v54, v39, vcc
	;; [unrolled: 2-line block ×8, first 2 shown]
	v_cmp_eq_u32_e32 vcc, 12, v102
	ds_read_b32 v55, v52
	v_cndmask_b32_e32 v54, v54, v46, vcc
	v_cmp_eq_u32_e32 vcc, 13, v102
	v_cndmask_b32_e32 v54, v54, v47, vcc
	v_cmp_eq_u32_e32 vcc, 14, v102
	;; [unrolled: 2-line block ×4, first 2 shown]
	v_add_co_u32_e64 v102, s[2:3], 1, v102
	v_cndmask_b32_e32 v54, v54, v50, vcc
	v_add_u32_e32 v52, 4, v52
	v_addc_co_u32_e64 v53, s[2:3], 0, v53, s[2:3]
	s_waitcnt lgkmcnt(0)
	v_fmac_f32_e32 v101, v54, v55
	s_andn2_b64 exec, exec, s[10:11]
	s_cbranch_execnz .LBB80_141
; %bb.142:
	s_or_b64 exec, exec, s[10:11]
.LBB80_143:
	s_or_b64 exec, exec, s[8:9]
.LBB80_144:
	s_or_b64 exec, exec, s[6:7]
	v_mov_b32_e32 v40, 0
	ds_read_b32 v40, v40 offset:24
	s_waitcnt lgkmcnt(0)
	v_mul_f32_e32 v40, v101, v40
.LBB80_145:
	s_or_b64 exec, exec, s[4:5]
	v_cmp_lt_u32_e64 s[2:3], 5, v0
	ds_write_b32 v100, v39
	s_waitcnt lgkmcnt(0)
	; wave barrier
	s_and_saveexec_b64 s[4:5], s[2:3]
	s_cbranch_execz .LBB80_161
; %bb.146:
	s_andn2_b64 vcc, exec, s[38:39]
	s_cbranch_vccnz .LBB80_148
; %bb.147:
	v_cmp_eq_u32_e32 vcc, 1, v0
	v_cndmask_b32_e32 v101, v34, v35, vcc
	v_cmp_eq_u32_e32 vcc, 2, v0
	v_cndmask_b32_e32 v101, v101, v36, vcc
	;; [unrolled: 2-line block ×12, first 2 shown]
	v_cmp_eq_u32_e32 vcc, 13, v0
	ds_read_b32 v102, v100
	v_cndmask_b32_e32 v101, v101, v47, vcc
	v_cmp_eq_u32_e32 vcc, 14, v0
	v_cndmask_b32_e32 v101, v101, v48, vcc
	v_cmp_eq_u32_e32 vcc, 15, v0
	;; [unrolled: 2-line block ×3, first 2 shown]
	v_cndmask_b32_e32 v101, v101, v50, vcc
	s_waitcnt lgkmcnt(0)
	v_mul_f32_e32 v101, v101, v102
	s_cbranch_execz .LBB80_149
	s_branch .LBB80_150
.LBB80_148:
                                        ; implicit-def: $vgpr101
.LBB80_149:
	ds_read_b32 v101, v100
.LBB80_150:
	s_and_saveexec_b64 s[6:7], s[0:1]
	s_cbranch_execz .LBB80_160
; %bb.151:
	v_add_u32_e32 v104, -7, v0
	v_add_u32_e32 v103, -6, v0
	v_mov_b32_e32 v102, 6
	v_cmp_lt_u32_e32 vcc, 6, v104
	s_and_saveexec_b64 s[0:1], vcc
	s_cbranch_execz .LBB80_155
; %bb.152:
	v_and_b32_e32 v102, -8, v103
	v_sub_u32_e32 v104, 0, v102
	s_mov_b64 s[8:9], 13
	s_movk_i32 s12, 0x68
	s_mov_b64 s[10:11], 0
.LBB80_153:                             ; =>This Inner Loop Header: Depth=1
	s_add_i32 s13, s8, -7
	v_mov_b32_e32 v102, s12
	s_add_i32 s14, s8, -6
	s_set_gpr_idx_on s13, gpr_idx(SRC0)
	v_mov_b32_e32 v113, v34
	s_set_gpr_idx_off
	ds_read2_b64 v[105:108], v102 offset1:1
	s_add_i32 s15, s8, -5
	s_set_gpr_idx_on s14, gpr_idx(SRC0)
	v_mov_b32_e32 v114, v34
	s_set_gpr_idx_off
	s_add_i32 s16, s8, -4
	s_set_gpr_idx_on s15, gpr_idx(SRC0)
	v_mov_b32_e32 v115, v34
	s_set_gpr_idx_off
	s_add_i32 s17, s8, -3
	s_set_gpr_idx_on s16, gpr_idx(SRC0)
	v_mov_b32_e32 v116, v34
	s_set_gpr_idx_off
	s_add_i32 s18, s8, -2
	s_set_gpr_idx_on s17, gpr_idx(SRC0)
	v_mov_b32_e32 v117, v34
	s_set_gpr_idx_off
	ds_read2_b64 v[109:112], v102 offset0:2 offset1:3
	s_add_i32 s19, s8, -1
	s_waitcnt lgkmcnt(1)
	v_fmac_f32_e32 v101, v113, v105
	s_set_gpr_idx_on s18, gpr_idx(SRC0)
	v_mov_b32_e32 v105, v34
	s_set_gpr_idx_off
	v_fmac_f32_e32 v101, v114, v106
	s_set_gpr_idx_on s19, gpr_idx(SRC0)
	v_mov_b32_e32 v106, v34
	s_set_gpr_idx_off
	;; [unrolled: 4-line block ×3, first 2 shown]
	v_fmac_f32_e32 v101, v116, v108
	s_add_u32 s8, s8, 8
	s_waitcnt lgkmcnt(0)
	v_fmac_f32_e32 v101, v117, v109
	v_add_u32_e32 v102, s8, v104
	v_fmac_f32_e32 v101, v105, v110
	s_addc_u32 s9, s9, 0
	s_add_i32 s12, s12, 32
	s_add_i32 s13, s8, -7
	v_cmp_eq_u32_e32 vcc, 13, v102
	v_fmac_f32_e32 v101, v106, v111
	v_mov_b32_e32 v102, s13
	s_or_b64 s[10:11], vcc, s[10:11]
	v_fmac_f32_e32 v101, v107, v112
	s_andn2_b64 exec, exec, s[10:11]
	s_cbranch_execnz .LBB80_153
; %bb.154:
	s_or_b64 exec, exec, s[10:11]
.LBB80_155:
	s_or_b64 exec, exec, s[0:1]
	v_and_b32_e32 v51, 7, v103
	v_cmp_ne_u32_e32 vcc, 0, v51
	s_and_saveexec_b64 s[8:9], vcc
	s_cbranch_execz .LBB80_159
; %bb.156:
	v_mov_b32_e32 v52, 0x50
	v_lshl_add_u32 v52, v102, 2, v52
	v_mov_b32_e32 v53, 0
	s_mov_b64 s[10:11], 0
.LBB80_157:                             ; =>This Inner Loop Header: Depth=1
	v_cmp_eq_u32_e32 vcc, 1, v102
	v_cndmask_b32_e32 v54, v34, v35, vcc
	v_add_u32_e32 v51, -1, v51
	v_cmp_eq_u32_e32 vcc, 2, v102
	v_cndmask_b32_e32 v54, v54, v36, vcc
	v_cmp_eq_u32_e32 vcc, 0, v51
	v_cmp_eq_u32_e64 s[0:1], 3, v102
	v_cndmask_b32_e64 v54, v54, v37, s[0:1]
	s_or_b64 s[10:11], vcc, s[10:11]
	v_cmp_eq_u32_e32 vcc, 4, v102
	v_cndmask_b32_e32 v54, v54, v38, vcc
	v_cmp_eq_u32_e32 vcc, 5, v102
	v_cndmask_b32_e32 v54, v54, v39, vcc
	;; [unrolled: 2-line block ×8, first 2 shown]
	v_cmp_eq_u32_e32 vcc, 12, v102
	ds_read_b32 v55, v52
	v_cndmask_b32_e32 v54, v54, v46, vcc
	v_cmp_eq_u32_e32 vcc, 13, v102
	v_cndmask_b32_e32 v54, v54, v47, vcc
	v_cmp_eq_u32_e32 vcc, 14, v102
	v_cndmask_b32_e32 v54, v54, v48, vcc
	v_cmp_eq_u32_e32 vcc, 15, v102
	v_cndmask_b32_e32 v54, v54, v49, vcc
	v_cmp_eq_u32_e32 vcc, 16, v102
	v_add_co_u32_e64 v102, s[0:1], 1, v102
	v_cndmask_b32_e32 v54, v54, v50, vcc
	v_add_u32_e32 v52, 4, v52
	v_addc_co_u32_e64 v53, s[0:1], 0, v53, s[0:1]
	s_waitcnt lgkmcnt(0)
	v_fmac_f32_e32 v101, v54, v55
	s_andn2_b64 exec, exec, s[10:11]
	s_cbranch_execnz .LBB80_157
; %bb.158:
	s_or_b64 exec, exec, s[10:11]
.LBB80_159:
	s_or_b64 exec, exec, s[8:9]
.LBB80_160:
	s_or_b64 exec, exec, s[6:7]
	v_mov_b32_e32 v39, 0
	ds_read_b32 v39, v39 offset:20
	s_waitcnt lgkmcnt(0)
	v_mul_f32_e32 v39, v101, v39
.LBB80_161:
	s_or_b64 exec, exec, s[4:5]
	v_cmp_lt_u32_e64 s[0:1], 4, v0
	ds_write_b32 v100, v38
	s_waitcnt lgkmcnt(0)
	; wave barrier
	s_and_saveexec_b64 s[4:5], s[0:1]
	s_cbranch_execz .LBB80_177
; %bb.162:
	s_andn2_b64 vcc, exec, s[38:39]
	s_cbranch_vccnz .LBB80_164
; %bb.163:
	v_cmp_eq_u32_e32 vcc, 1, v0
	v_cndmask_b32_e32 v101, v34, v35, vcc
	v_cmp_eq_u32_e32 vcc, 2, v0
	v_cndmask_b32_e32 v101, v101, v36, vcc
	;; [unrolled: 2-line block ×12, first 2 shown]
	v_cmp_eq_u32_e32 vcc, 13, v0
	ds_read_b32 v102, v100
	v_cndmask_b32_e32 v101, v101, v47, vcc
	v_cmp_eq_u32_e32 vcc, 14, v0
	v_cndmask_b32_e32 v101, v101, v48, vcc
	v_cmp_eq_u32_e32 vcc, 15, v0
	;; [unrolled: 2-line block ×3, first 2 shown]
	v_cndmask_b32_e32 v101, v101, v50, vcc
	s_waitcnt lgkmcnt(0)
	v_mul_f32_e32 v101, v101, v102
	s_cbranch_execz .LBB80_165
	s_branch .LBB80_166
.LBB80_164:
                                        ; implicit-def: $vgpr101
.LBB80_165:
	ds_read_b32 v101, v100
.LBB80_166:
	s_and_saveexec_b64 s[6:7], s[2:3]
	s_cbranch_execz .LBB80_176
; %bb.167:
	v_add_u32_e32 v102, -6, v0
	v_add_u32_e32 v103, -5, v0
	v_cmp_lt_u32_e32 vcc, 6, v102
	v_mov_b32_e32 v102, 5
	s_and_saveexec_b64 s[2:3], vcc
	s_cbranch_execz .LBB80_171
; %bb.168:
	v_and_b32_e32 v102, -8, v103
	v_sub_u32_e32 v104, 0, v102
	s_mov_b64 s[8:9], 12
	s_movk_i32 s12, 0x64
	s_mov_b64 s[10:11], 0
.LBB80_169:                             ; =>This Inner Loop Header: Depth=1
	s_add_i32 s13, s8, -7
	v_mov_b32_e32 v102, s12
	s_add_i32 s14, s8, -6
	s_set_gpr_idx_on s13, gpr_idx(SRC0)
	v_mov_b32_e32 v111, v34
	s_set_gpr_idx_off
	ds_read2_b32 v[105:106], v102 offset1:1
	s_add_i32 s15, s8, -5
	s_set_gpr_idx_on s14, gpr_idx(SRC0)
	v_mov_b32_e32 v112, v34
	s_set_gpr_idx_off
	s_add_i32 s16, s8, -4
	s_set_gpr_idx_on s15, gpr_idx(SRC0)
	v_mov_b32_e32 v113, v34
	s_set_gpr_idx_off
	ds_read2_b32 v[107:108], v102 offset0:2 offset1:3
	s_add_i32 s17, s8, -3
	s_set_gpr_idx_on s16, gpr_idx(SRC0)
	v_mov_b32_e32 v114, v34
	s_set_gpr_idx_off
	s_add_i32 s18, s8, -2
	s_set_gpr_idx_on s17, gpr_idx(SRC0)
	v_mov_b32_e32 v115, v34
	s_set_gpr_idx_off
	ds_read2_b32 v[109:110], v102 offset0:4 offset1:5
	s_add_i32 s19, s8, -1
	s_waitcnt lgkmcnt(2)
	v_fmac_f32_e32 v101, v111, v105
	s_set_gpr_idx_on s18, gpr_idx(SRC0)
	v_mov_b32_e32 v111, v34
	s_set_gpr_idx_off
	v_fmac_f32_e32 v101, v112, v106
	s_set_gpr_idx_on s19, gpr_idx(SRC0)
	v_mov_b32_e32 v112, v34
	s_set_gpr_idx_off
	ds_read2_b32 v[105:106], v102 offset0:6 offset1:7
	s_waitcnt lgkmcnt(2)
	v_fmac_f32_e32 v101, v113, v107
	s_set_gpr_idx_on s8, gpr_idx(SRC0)
	v_mov_b32_e32 v107, v34
	s_set_gpr_idx_off
	v_fmac_f32_e32 v101, v114, v108
	s_add_u32 s8, s8, 8
	s_waitcnt lgkmcnt(1)
	v_fmac_f32_e32 v101, v115, v109
	v_add_u32_e32 v102, s8, v104
	v_fmac_f32_e32 v101, v111, v110
	s_addc_u32 s9, s9, 0
	s_add_i32 s12, s12, 32
	s_add_i32 s13, s8, -7
	v_cmp_eq_u32_e32 vcc, 12, v102
	s_waitcnt lgkmcnt(0)
	v_fmac_f32_e32 v101, v112, v105
	v_mov_b32_e32 v102, s13
	s_or_b64 s[10:11], vcc, s[10:11]
	v_fmac_f32_e32 v101, v107, v106
	s_andn2_b64 exec, exec, s[10:11]
	s_cbranch_execnz .LBB80_169
; %bb.170:
	s_or_b64 exec, exec, s[10:11]
.LBB80_171:
	s_or_b64 exec, exec, s[2:3]
	v_and_b32_e32 v51, 7, v103
	v_cmp_ne_u32_e32 vcc, 0, v51
	s_and_saveexec_b64 s[8:9], vcc
	s_cbranch_execz .LBB80_175
; %bb.172:
	v_mov_b32_e32 v52, 0x50
	v_lshl_add_u32 v52, v102, 2, v52
	v_mov_b32_e32 v53, 0
	s_mov_b64 s[10:11], 0
.LBB80_173:                             ; =>This Inner Loop Header: Depth=1
	v_cmp_eq_u32_e32 vcc, 1, v102
	v_cndmask_b32_e32 v54, v34, v35, vcc
	v_add_u32_e32 v51, -1, v51
	v_cmp_eq_u32_e32 vcc, 2, v102
	v_cndmask_b32_e32 v54, v54, v36, vcc
	v_cmp_eq_u32_e32 vcc, 0, v51
	v_cmp_eq_u32_e64 s[2:3], 3, v102
	v_cndmask_b32_e64 v54, v54, v37, s[2:3]
	s_or_b64 s[10:11], vcc, s[10:11]
	v_cmp_eq_u32_e32 vcc, 4, v102
	v_cndmask_b32_e32 v54, v54, v38, vcc
	v_cmp_eq_u32_e32 vcc, 5, v102
	v_cndmask_b32_e32 v54, v54, v39, vcc
	;; [unrolled: 2-line block ×8, first 2 shown]
	v_cmp_eq_u32_e32 vcc, 12, v102
	ds_read_b32 v55, v52
	v_cndmask_b32_e32 v54, v54, v46, vcc
	v_cmp_eq_u32_e32 vcc, 13, v102
	v_cndmask_b32_e32 v54, v54, v47, vcc
	v_cmp_eq_u32_e32 vcc, 14, v102
	;; [unrolled: 2-line block ×4, first 2 shown]
	v_add_co_u32_e64 v102, s[2:3], 1, v102
	v_cndmask_b32_e32 v54, v54, v50, vcc
	v_add_u32_e32 v52, 4, v52
	v_addc_co_u32_e64 v53, s[2:3], 0, v53, s[2:3]
	s_waitcnt lgkmcnt(0)
	v_fmac_f32_e32 v101, v54, v55
	s_andn2_b64 exec, exec, s[10:11]
	s_cbranch_execnz .LBB80_173
; %bb.174:
	s_or_b64 exec, exec, s[10:11]
.LBB80_175:
	s_or_b64 exec, exec, s[8:9]
.LBB80_176:
	s_or_b64 exec, exec, s[6:7]
	v_mov_b32_e32 v38, 0
	ds_read_b32 v38, v38 offset:16
	s_waitcnt lgkmcnt(0)
	v_mul_f32_e32 v38, v101, v38
.LBB80_177:
	s_or_b64 exec, exec, s[4:5]
	v_cmp_lt_u32_e64 s[2:3], 3, v0
	ds_write_b32 v100, v37
	s_waitcnt lgkmcnt(0)
	; wave barrier
	s_and_saveexec_b64 s[4:5], s[2:3]
	s_cbranch_execz .LBB80_193
; %bb.178:
	s_andn2_b64 vcc, exec, s[38:39]
	s_cbranch_vccnz .LBB80_180
; %bb.179:
	v_cmp_eq_u32_e32 vcc, 1, v0
	v_cndmask_b32_e32 v101, v34, v35, vcc
	v_cmp_eq_u32_e32 vcc, 2, v0
	v_cndmask_b32_e32 v101, v101, v36, vcc
	;; [unrolled: 2-line block ×12, first 2 shown]
	v_cmp_eq_u32_e32 vcc, 13, v0
	ds_read_b32 v102, v100
	v_cndmask_b32_e32 v101, v101, v47, vcc
	v_cmp_eq_u32_e32 vcc, 14, v0
	v_cndmask_b32_e32 v101, v101, v48, vcc
	v_cmp_eq_u32_e32 vcc, 15, v0
	;; [unrolled: 2-line block ×3, first 2 shown]
	v_cndmask_b32_e32 v101, v101, v50, vcc
	s_waitcnt lgkmcnt(0)
	v_mul_f32_e32 v101, v101, v102
	s_cbranch_execz .LBB80_181
	s_branch .LBB80_182
.LBB80_180:
                                        ; implicit-def: $vgpr101
.LBB80_181:
	ds_read_b32 v101, v100
.LBB80_182:
	s_and_saveexec_b64 s[6:7], s[0:1]
	s_cbranch_execz .LBB80_192
; %bb.183:
	v_add_u32_e32 v102, -5, v0
	v_add_u32_e32 v103, -4, v0
	v_cmp_lt_u32_e32 vcc, 6, v102
	v_mov_b32_e32 v102, 4
	s_and_saveexec_b64 s[0:1], vcc
	s_cbranch_execz .LBB80_187
; %bb.184:
	v_and_b32_e32 v102, -8, v103
	v_sub_u32_e32 v104, 0, v102
	s_mov_b64 s[8:9], 5
	s_movk_i32 s12, 0x60
	s_mov_b64 s[10:11], 0
.LBB80_185:                             ; =>This Inner Loop Header: Depth=1
	s_add_i32 s13, s8, -1
	v_mov_b32_e32 v102, s12
	s_set_gpr_idx_on s13, gpr_idx(SRC0)
	v_mov_b32_e32 v113, v34
	s_set_gpr_idx_off
	s_add_i32 s14, s8, 1
	ds_read_b128 v[105:108], v102
	ds_read_b128 v[109:112], v102 offset:16
	s_set_gpr_idx_on s8, gpr_idx(SRC0)
	v_mov_b32_e32 v114, v34
	s_set_gpr_idx_off
	s_add_i32 s15, s8, 2
	s_set_gpr_idx_on s14, gpr_idx(SRC0)
	v_mov_b32_e32 v115, v34
	s_set_gpr_idx_off
	s_add_i32 s16, s8, 3
	;; [unrolled: 4-line block ×4, first 2 shown]
	s_waitcnt lgkmcnt(1)
	v_fmac_f32_e32 v101, v113, v105
	s_set_gpr_idx_on s17, gpr_idx(SRC0)
	v_mov_b32_e32 v105, v34
	s_set_gpr_idx_off
	s_add_i32 s19, s8, 6
	v_fmac_f32_e32 v101, v114, v106
	s_set_gpr_idx_on s18, gpr_idx(SRC0)
	v_mov_b32_e32 v106, v34
	s_set_gpr_idx_off
	v_fmac_f32_e32 v101, v115, v107
	s_set_gpr_idx_on s19, gpr_idx(SRC0)
	v_mov_b32_e32 v107, v34
	s_set_gpr_idx_off
	v_fmac_f32_e32 v101, v116, v108
	s_add_u32 s8, s8, 8
	s_waitcnt lgkmcnt(0)
	v_fmac_f32_e32 v101, v117, v109
	v_add_u32_e32 v102, s8, v104
	v_fmac_f32_e32 v101, v105, v110
	s_addc_u32 s9, s9, 0
	s_add_i32 s12, s12, 32
	s_add_i32 s13, s8, -1
	v_cmp_eq_u32_e32 vcc, 5, v102
	v_fmac_f32_e32 v101, v106, v111
	v_mov_b32_e32 v102, s13
	s_or_b64 s[10:11], vcc, s[10:11]
	v_fmac_f32_e32 v101, v107, v112
	s_andn2_b64 exec, exec, s[10:11]
	s_cbranch_execnz .LBB80_185
; %bb.186:
	s_or_b64 exec, exec, s[10:11]
.LBB80_187:
	s_or_b64 exec, exec, s[0:1]
	v_and_b32_e32 v51, 7, v103
	v_cmp_ne_u32_e32 vcc, 0, v51
	s_and_saveexec_b64 s[8:9], vcc
	s_cbranch_execz .LBB80_191
; %bb.188:
	v_mov_b32_e32 v52, 0x50
	v_lshl_add_u32 v52, v102, 2, v52
	v_mov_b32_e32 v53, 0
	s_mov_b64 s[10:11], 0
.LBB80_189:                             ; =>This Inner Loop Header: Depth=1
	v_cmp_eq_u32_e32 vcc, 1, v102
	v_cndmask_b32_e32 v54, v34, v35, vcc
	v_add_u32_e32 v51, -1, v51
	v_cmp_eq_u32_e32 vcc, 2, v102
	v_cndmask_b32_e32 v54, v54, v36, vcc
	v_cmp_eq_u32_e32 vcc, 0, v51
	v_cmp_eq_u32_e64 s[0:1], 3, v102
	v_cndmask_b32_e64 v54, v54, v37, s[0:1]
	s_or_b64 s[10:11], vcc, s[10:11]
	v_cmp_eq_u32_e32 vcc, 4, v102
	v_cndmask_b32_e32 v54, v54, v38, vcc
	v_cmp_eq_u32_e32 vcc, 5, v102
	v_cndmask_b32_e32 v54, v54, v39, vcc
	;; [unrolled: 2-line block ×8, first 2 shown]
	v_cmp_eq_u32_e32 vcc, 12, v102
	ds_read_b32 v55, v52
	v_cndmask_b32_e32 v54, v54, v46, vcc
	v_cmp_eq_u32_e32 vcc, 13, v102
	v_cndmask_b32_e32 v54, v54, v47, vcc
	v_cmp_eq_u32_e32 vcc, 14, v102
	;; [unrolled: 2-line block ×4, first 2 shown]
	v_add_co_u32_e64 v102, s[0:1], 1, v102
	v_cndmask_b32_e32 v54, v54, v50, vcc
	v_add_u32_e32 v52, 4, v52
	v_addc_co_u32_e64 v53, s[0:1], 0, v53, s[0:1]
	s_waitcnt lgkmcnt(0)
	v_fmac_f32_e32 v101, v54, v55
	s_andn2_b64 exec, exec, s[10:11]
	s_cbranch_execnz .LBB80_189
; %bb.190:
	s_or_b64 exec, exec, s[10:11]
.LBB80_191:
	s_or_b64 exec, exec, s[8:9]
.LBB80_192:
	s_or_b64 exec, exec, s[6:7]
	v_mov_b32_e32 v37, 0
	ds_read_b32 v37, v37 offset:12
	s_waitcnt lgkmcnt(0)
	v_mul_f32_e32 v37, v101, v37
.LBB80_193:
	s_or_b64 exec, exec, s[4:5]
	v_cmp_lt_u32_e64 s[0:1], 2, v0
	ds_write_b32 v100, v36
	s_waitcnt lgkmcnt(0)
	; wave barrier
	s_and_saveexec_b64 s[4:5], s[0:1]
	s_cbranch_execz .LBB80_209
; %bb.194:
	s_andn2_b64 vcc, exec, s[38:39]
	s_cbranch_vccnz .LBB80_196
; %bb.195:
	v_cmp_eq_u32_e32 vcc, 1, v0
	v_cndmask_b32_e32 v101, v34, v35, vcc
	v_cmp_eq_u32_e32 vcc, 2, v0
	v_cndmask_b32_e32 v101, v101, v36, vcc
	;; [unrolled: 2-line block ×12, first 2 shown]
	v_cmp_eq_u32_e32 vcc, 13, v0
	ds_read_b32 v102, v100
	v_cndmask_b32_e32 v101, v101, v47, vcc
	v_cmp_eq_u32_e32 vcc, 14, v0
	v_cndmask_b32_e32 v101, v101, v48, vcc
	v_cmp_eq_u32_e32 vcc, 15, v0
	;; [unrolled: 2-line block ×3, first 2 shown]
	v_cndmask_b32_e32 v101, v101, v50, vcc
	s_waitcnt lgkmcnt(0)
	v_mul_f32_e32 v101, v101, v102
	s_cbranch_execz .LBB80_197
	s_branch .LBB80_198
.LBB80_196:
                                        ; implicit-def: $vgpr101
.LBB80_197:
	ds_read_b32 v101, v100
.LBB80_198:
	s_and_saveexec_b64 s[6:7], s[2:3]
	s_cbranch_execz .LBB80_208
; %bb.199:
	v_add_u32_e32 v102, -4, v0
	v_add_u32_e32 v103, -3, v0
	v_cmp_lt_u32_e32 vcc, 6, v102
	v_mov_b32_e32 v102, 3
	s_and_saveexec_b64 s[2:3], vcc
	s_cbranch_execz .LBB80_203
; %bb.200:
	v_and_b32_e32 v102, -8, v103
	v_sub_u32_e32 v104, 0, v102
	s_mov_b64 s[8:9], 10
	s_movk_i32 s12, 0x5c
	s_mov_b64 s[10:11], 0
.LBB80_201:                             ; =>This Inner Loop Header: Depth=1
	s_add_i32 s13, s8, -7
	v_mov_b32_e32 v102, s12
	s_add_i32 s14, s8, -6
	s_set_gpr_idx_on s13, gpr_idx(SRC0)
	v_mov_b32_e32 v111, v34
	s_set_gpr_idx_off
	ds_read2_b32 v[105:106], v102 offset1:1
	s_add_i32 s15, s8, -5
	s_set_gpr_idx_on s14, gpr_idx(SRC0)
	v_mov_b32_e32 v112, v34
	s_set_gpr_idx_off
	s_add_i32 s16, s8, -4
	s_set_gpr_idx_on s15, gpr_idx(SRC0)
	v_mov_b32_e32 v113, v34
	s_set_gpr_idx_off
	ds_read2_b32 v[107:108], v102 offset0:2 offset1:3
	s_add_i32 s17, s8, -3
	s_set_gpr_idx_on s16, gpr_idx(SRC0)
	v_mov_b32_e32 v114, v34
	s_set_gpr_idx_off
	s_add_i32 s18, s8, -2
	s_set_gpr_idx_on s17, gpr_idx(SRC0)
	v_mov_b32_e32 v115, v34
	s_set_gpr_idx_off
	ds_read2_b32 v[109:110], v102 offset0:4 offset1:5
	s_add_i32 s19, s8, -1
	s_waitcnt lgkmcnt(2)
	v_fmac_f32_e32 v101, v111, v105
	s_set_gpr_idx_on s18, gpr_idx(SRC0)
	v_mov_b32_e32 v111, v34
	s_set_gpr_idx_off
	v_fmac_f32_e32 v101, v112, v106
	s_set_gpr_idx_on s19, gpr_idx(SRC0)
	v_mov_b32_e32 v112, v34
	s_set_gpr_idx_off
	ds_read2_b32 v[105:106], v102 offset0:6 offset1:7
	s_waitcnt lgkmcnt(2)
	v_fmac_f32_e32 v101, v113, v107
	s_set_gpr_idx_on s8, gpr_idx(SRC0)
	v_mov_b32_e32 v107, v34
	s_set_gpr_idx_off
	v_fmac_f32_e32 v101, v114, v108
	s_add_u32 s8, s8, 8
	s_waitcnt lgkmcnt(1)
	v_fmac_f32_e32 v101, v115, v109
	v_add_u32_e32 v102, s8, v104
	v_fmac_f32_e32 v101, v111, v110
	s_addc_u32 s9, s9, 0
	s_add_i32 s12, s12, 32
	s_add_i32 s13, s8, -7
	v_cmp_eq_u32_e32 vcc, 10, v102
	s_waitcnt lgkmcnt(0)
	v_fmac_f32_e32 v101, v112, v105
	v_mov_b32_e32 v102, s13
	s_or_b64 s[10:11], vcc, s[10:11]
	v_fmac_f32_e32 v101, v107, v106
	s_andn2_b64 exec, exec, s[10:11]
	s_cbranch_execnz .LBB80_201
; %bb.202:
	s_or_b64 exec, exec, s[10:11]
.LBB80_203:
	s_or_b64 exec, exec, s[2:3]
	v_and_b32_e32 v51, 7, v103
	v_cmp_ne_u32_e32 vcc, 0, v51
	s_and_saveexec_b64 s[8:9], vcc
	s_cbranch_execz .LBB80_207
; %bb.204:
	v_mov_b32_e32 v52, 0x50
	v_lshl_add_u32 v52, v102, 2, v52
	v_mov_b32_e32 v53, 0
	s_mov_b64 s[10:11], 0
.LBB80_205:                             ; =>This Inner Loop Header: Depth=1
	v_cmp_eq_u32_e32 vcc, 1, v102
	v_cndmask_b32_e32 v54, v34, v35, vcc
	v_add_u32_e32 v51, -1, v51
	v_cmp_eq_u32_e32 vcc, 2, v102
	v_cndmask_b32_e32 v54, v54, v36, vcc
	v_cmp_eq_u32_e32 vcc, 0, v51
	v_cmp_eq_u32_e64 s[2:3], 3, v102
	v_cndmask_b32_e64 v54, v54, v37, s[2:3]
	s_or_b64 s[10:11], vcc, s[10:11]
	v_cmp_eq_u32_e32 vcc, 4, v102
	v_cndmask_b32_e32 v54, v54, v38, vcc
	v_cmp_eq_u32_e32 vcc, 5, v102
	v_cndmask_b32_e32 v54, v54, v39, vcc
	;; [unrolled: 2-line block ×8, first 2 shown]
	v_cmp_eq_u32_e32 vcc, 12, v102
	ds_read_b32 v55, v52
	v_cndmask_b32_e32 v54, v54, v46, vcc
	v_cmp_eq_u32_e32 vcc, 13, v102
	v_cndmask_b32_e32 v54, v54, v47, vcc
	v_cmp_eq_u32_e32 vcc, 14, v102
	;; [unrolled: 2-line block ×4, first 2 shown]
	v_add_co_u32_e64 v102, s[2:3], 1, v102
	v_cndmask_b32_e32 v54, v54, v50, vcc
	v_add_u32_e32 v52, 4, v52
	v_addc_co_u32_e64 v53, s[2:3], 0, v53, s[2:3]
	s_waitcnt lgkmcnt(0)
	v_fmac_f32_e32 v101, v54, v55
	s_andn2_b64 exec, exec, s[10:11]
	s_cbranch_execnz .LBB80_205
; %bb.206:
	s_or_b64 exec, exec, s[10:11]
.LBB80_207:
	s_or_b64 exec, exec, s[8:9]
.LBB80_208:
	s_or_b64 exec, exec, s[6:7]
	v_mov_b32_e32 v36, 0
	ds_read_b32 v36, v36 offset:8
	s_waitcnt lgkmcnt(0)
	v_mul_f32_e32 v36, v101, v36
.LBB80_209:
	s_or_b64 exec, exec, s[4:5]
	v_cmp_lt_u32_e64 s[2:3], 1, v0
	ds_write_b32 v100, v35
	s_waitcnt lgkmcnt(0)
	; wave barrier
	s_and_saveexec_b64 s[4:5], s[2:3]
	s_cbranch_execz .LBB80_225
; %bb.210:
	s_andn2_b64 vcc, exec, s[38:39]
	s_cbranch_vccnz .LBB80_212
; %bb.211:
	v_cmp_eq_u32_e32 vcc, 1, v0
	v_cndmask_b32_e32 v101, v34, v35, vcc
	v_cmp_eq_u32_e32 vcc, 2, v0
	v_cndmask_b32_e32 v101, v101, v36, vcc
	;; [unrolled: 2-line block ×12, first 2 shown]
	v_cmp_eq_u32_e32 vcc, 13, v0
	ds_read_b32 v102, v100
	v_cndmask_b32_e32 v101, v101, v47, vcc
	v_cmp_eq_u32_e32 vcc, 14, v0
	v_cndmask_b32_e32 v101, v101, v48, vcc
	v_cmp_eq_u32_e32 vcc, 15, v0
	;; [unrolled: 2-line block ×3, first 2 shown]
	v_cndmask_b32_e32 v101, v101, v50, vcc
	s_waitcnt lgkmcnt(0)
	v_mul_f32_e32 v101, v101, v102
	s_cbranch_execz .LBB80_213
	s_branch .LBB80_214
.LBB80_212:
                                        ; implicit-def: $vgpr101
.LBB80_213:
	ds_read_b32 v101, v100
.LBB80_214:
	s_and_saveexec_b64 s[6:7], s[0:1]
	s_cbranch_execz .LBB80_224
; %bb.215:
	v_add_u32_e32 v102, -3, v0
	v_add_u32_e32 v103, -2, v0
	v_cmp_lt_u32_e32 vcc, 6, v102
	v_mov_b32_e32 v102, 2
	s_and_saveexec_b64 s[0:1], vcc
	s_cbranch_execz .LBB80_219
; %bb.216:
	v_and_b32_e32 v102, -8, v103
	v_sub_u32_e32 v104, 0, v102
	s_mov_b64 s[8:9], 9
	s_movk_i32 s12, 0x58
	s_mov_b64 s[10:11], 0
.LBB80_217:                             ; =>This Inner Loop Header: Depth=1
	s_add_i32 s13, s8, -7
	v_mov_b32_e32 v102, s12
	s_add_i32 s14, s8, -6
	s_set_gpr_idx_on s13, gpr_idx(SRC0)
	v_mov_b32_e32 v113, v34
	s_set_gpr_idx_off
	ds_read2_b64 v[105:108], v102 offset1:1
	s_add_i32 s15, s8, -5
	s_set_gpr_idx_on s14, gpr_idx(SRC0)
	v_mov_b32_e32 v114, v34
	s_set_gpr_idx_off
	s_add_i32 s16, s8, -4
	s_set_gpr_idx_on s15, gpr_idx(SRC0)
	v_mov_b32_e32 v115, v34
	s_set_gpr_idx_off
	;; [unrolled: 4-line block ×4, first 2 shown]
	ds_read2_b64 v[109:112], v102 offset0:2 offset1:3
	s_add_i32 s19, s8, -1
	s_waitcnt lgkmcnt(1)
	v_fmac_f32_e32 v101, v113, v105
	s_set_gpr_idx_on s18, gpr_idx(SRC0)
	v_mov_b32_e32 v105, v34
	s_set_gpr_idx_off
	v_fmac_f32_e32 v101, v114, v106
	s_set_gpr_idx_on s19, gpr_idx(SRC0)
	v_mov_b32_e32 v106, v34
	s_set_gpr_idx_off
	;; [unrolled: 4-line block ×3, first 2 shown]
	v_fmac_f32_e32 v101, v116, v108
	s_add_u32 s8, s8, 8
	s_waitcnt lgkmcnt(0)
	v_fmac_f32_e32 v101, v117, v109
	v_add_u32_e32 v102, s8, v104
	v_fmac_f32_e32 v101, v105, v110
	s_addc_u32 s9, s9, 0
	s_add_i32 s12, s12, 32
	s_add_i32 s13, s8, -7
	v_cmp_eq_u32_e32 vcc, 9, v102
	v_fmac_f32_e32 v101, v106, v111
	v_mov_b32_e32 v102, s13
	s_or_b64 s[10:11], vcc, s[10:11]
	v_fmac_f32_e32 v101, v107, v112
	s_andn2_b64 exec, exec, s[10:11]
	s_cbranch_execnz .LBB80_217
; %bb.218:
	s_or_b64 exec, exec, s[10:11]
.LBB80_219:
	s_or_b64 exec, exec, s[0:1]
	v_and_b32_e32 v51, 7, v103
	v_cmp_ne_u32_e32 vcc, 0, v51
	s_and_saveexec_b64 s[8:9], vcc
	s_cbranch_execz .LBB80_223
; %bb.220:
	v_mov_b32_e32 v52, 0x50
	v_lshl_add_u32 v52, v102, 2, v52
	v_mov_b32_e32 v53, 0
	s_mov_b64 s[10:11], 0
.LBB80_221:                             ; =>This Inner Loop Header: Depth=1
	v_cmp_eq_u32_e32 vcc, 1, v102
	v_cndmask_b32_e32 v54, v34, v35, vcc
	v_add_u32_e32 v51, -1, v51
	v_cmp_eq_u32_e32 vcc, 2, v102
	v_cndmask_b32_e32 v54, v54, v36, vcc
	v_cmp_eq_u32_e32 vcc, 0, v51
	v_cmp_eq_u32_e64 s[0:1], 3, v102
	v_cndmask_b32_e64 v54, v54, v37, s[0:1]
	s_or_b64 s[10:11], vcc, s[10:11]
	v_cmp_eq_u32_e32 vcc, 4, v102
	v_cndmask_b32_e32 v54, v54, v38, vcc
	v_cmp_eq_u32_e32 vcc, 5, v102
	v_cndmask_b32_e32 v54, v54, v39, vcc
	;; [unrolled: 2-line block ×8, first 2 shown]
	v_cmp_eq_u32_e32 vcc, 12, v102
	ds_read_b32 v55, v52
	v_cndmask_b32_e32 v54, v54, v46, vcc
	v_cmp_eq_u32_e32 vcc, 13, v102
	v_cndmask_b32_e32 v54, v54, v47, vcc
	v_cmp_eq_u32_e32 vcc, 14, v102
	;; [unrolled: 2-line block ×4, first 2 shown]
	v_add_co_u32_e64 v102, s[0:1], 1, v102
	v_cndmask_b32_e32 v54, v54, v50, vcc
	v_add_u32_e32 v52, 4, v52
	v_addc_co_u32_e64 v53, s[0:1], 0, v53, s[0:1]
	s_waitcnt lgkmcnt(0)
	v_fmac_f32_e32 v101, v54, v55
	s_andn2_b64 exec, exec, s[10:11]
	s_cbranch_execnz .LBB80_221
; %bb.222:
	s_or_b64 exec, exec, s[10:11]
.LBB80_223:
	s_or_b64 exec, exec, s[8:9]
.LBB80_224:
	s_or_b64 exec, exec, s[6:7]
	v_mov_b32_e32 v35, 0
	ds_read_b32 v35, v35 offset:4
	s_waitcnt lgkmcnt(0)
	v_mul_f32_e32 v35, v101, v35
.LBB80_225:
	s_or_b64 exec, exec, s[4:5]
	v_cmp_ne_u32_e32 vcc, 0, v0
	ds_write_b32 v100, v34
	s_waitcnt lgkmcnt(0)
	; wave barrier
	s_and_saveexec_b64 s[4:5], vcc
	s_cbranch_execz .LBB80_241
; %bb.226:
	s_andn2_b64 vcc, exec, s[38:39]
	s_cbranch_vccnz .LBB80_228
; %bb.227:
	v_cmp_eq_u32_e32 vcc, 1, v0
	v_cndmask_b32_e32 v101, v34, v35, vcc
	v_cmp_eq_u32_e32 vcc, 2, v0
	v_cndmask_b32_e32 v101, v101, v36, vcc
	;; [unrolled: 2-line block ×12, first 2 shown]
	v_cmp_eq_u32_e32 vcc, 13, v0
	ds_read_b32 v102, v100
	v_cndmask_b32_e32 v101, v101, v47, vcc
	v_cmp_eq_u32_e32 vcc, 14, v0
	v_cndmask_b32_e32 v101, v101, v48, vcc
	v_cmp_eq_u32_e32 vcc, 15, v0
	;; [unrolled: 2-line block ×3, first 2 shown]
	v_cndmask_b32_e32 v101, v101, v50, vcc
	s_waitcnt lgkmcnt(0)
	v_mul_f32_e32 v101, v101, v102
	s_cbranch_execz .LBB80_229
	s_branch .LBB80_230
.LBB80_228:
                                        ; implicit-def: $vgpr101
.LBB80_229:
	ds_read_b32 v101, v100
.LBB80_230:
	s_and_saveexec_b64 s[6:7], s[2:3]
	s_cbranch_execz .LBB80_240
; %bb.231:
	v_add_u32_e32 v102, -2, v0
	v_add_u32_e32 v103, -1, v0
	v_cmp_lt_u32_e32 vcc, 6, v102
	v_mov_b32_e32 v102, 1
	s_and_saveexec_b64 s[0:1], vcc
	s_cbranch_execz .LBB80_235
; %bb.232:
	v_and_b32_e32 v102, -8, v103
	v_sub_u32_e32 v104, 0, v102
	s_mov_b64 s[2:3], 8
	s_movk_i32 s10, 0x54
	s_mov_b64 s[8:9], 0
.LBB80_233:                             ; =>This Inner Loop Header: Depth=1
	s_add_i32 s11, s2, -7
	v_mov_b32_e32 v102, s10
	s_add_i32 s12, s2, -6
	s_set_gpr_idx_on s11, gpr_idx(SRC0)
	v_mov_b32_e32 v111, v34
	s_set_gpr_idx_off
	ds_read2_b32 v[105:106], v102 offset1:1
	s_add_i32 s13, s2, -5
	s_set_gpr_idx_on s12, gpr_idx(SRC0)
	v_mov_b32_e32 v112, v34
	s_set_gpr_idx_off
	s_add_i32 s14, s2, -4
	s_set_gpr_idx_on s13, gpr_idx(SRC0)
	v_mov_b32_e32 v113, v34
	s_set_gpr_idx_off
	ds_read2_b32 v[107:108], v102 offset0:2 offset1:3
	s_add_i32 s15, s2, -3
	s_set_gpr_idx_on s14, gpr_idx(SRC0)
	v_mov_b32_e32 v114, v34
	s_set_gpr_idx_off
	s_add_i32 s16, s2, -2
	s_set_gpr_idx_on s15, gpr_idx(SRC0)
	v_mov_b32_e32 v115, v34
	s_set_gpr_idx_off
	ds_read2_b32 v[109:110], v102 offset0:4 offset1:5
	s_add_i32 s17, s2, -1
	s_waitcnt lgkmcnt(2)
	v_fmac_f32_e32 v101, v111, v105
	s_set_gpr_idx_on s16, gpr_idx(SRC0)
	v_mov_b32_e32 v111, v34
	s_set_gpr_idx_off
	v_fmac_f32_e32 v101, v112, v106
	s_set_gpr_idx_on s17, gpr_idx(SRC0)
	v_mov_b32_e32 v112, v34
	s_set_gpr_idx_off
	ds_read2_b32 v[105:106], v102 offset0:6 offset1:7
	s_waitcnt lgkmcnt(2)
	v_fmac_f32_e32 v101, v113, v107
	s_set_gpr_idx_on s2, gpr_idx(SRC0)
	v_mov_b32_e32 v107, v34
	s_set_gpr_idx_off
	v_fmac_f32_e32 v101, v114, v108
	s_add_u32 s2, s2, 8
	s_waitcnt lgkmcnt(1)
	v_fmac_f32_e32 v101, v115, v109
	v_add_u32_e32 v102, s2, v104
	v_fmac_f32_e32 v101, v111, v110
	s_addc_u32 s3, s3, 0
	s_add_i32 s10, s10, 32
	s_add_i32 s11, s2, -7
	v_cmp_eq_u32_e32 vcc, 8, v102
	s_waitcnt lgkmcnt(0)
	v_fmac_f32_e32 v101, v112, v105
	v_mov_b32_e32 v102, s11
	s_or_b64 s[8:9], vcc, s[8:9]
	v_fmac_f32_e32 v101, v107, v106
	s_andn2_b64 exec, exec, s[8:9]
	s_cbranch_execnz .LBB80_233
; %bb.234:
	s_or_b64 exec, exec, s[8:9]
.LBB80_235:
	s_or_b64 exec, exec, s[0:1]
	v_and_b32_e32 v51, 7, v103
	v_cmp_ne_u32_e32 vcc, 0, v51
	s_and_saveexec_b64 s[2:3], vcc
	s_cbranch_execz .LBB80_239
; %bb.236:
	v_mov_b32_e32 v52, 0x50
	v_lshl_add_u32 v52, v102, 2, v52
	v_mov_b32_e32 v53, 0
	s_mov_b64 s[8:9], 0
.LBB80_237:                             ; =>This Inner Loop Header: Depth=1
	v_cmp_eq_u32_e32 vcc, 1, v102
	v_cndmask_b32_e32 v54, v34, v35, vcc
	v_add_u32_e32 v51, -1, v51
	v_cmp_eq_u32_e32 vcc, 2, v102
	v_cndmask_b32_e32 v54, v54, v36, vcc
	v_cmp_eq_u32_e32 vcc, 0, v51
	v_cmp_eq_u32_e64 s[0:1], 3, v102
	v_cndmask_b32_e64 v54, v54, v37, s[0:1]
	s_or_b64 s[8:9], vcc, s[8:9]
	v_cmp_eq_u32_e32 vcc, 4, v102
	v_cndmask_b32_e32 v54, v54, v38, vcc
	v_cmp_eq_u32_e32 vcc, 5, v102
	v_cndmask_b32_e32 v54, v54, v39, vcc
	;; [unrolled: 2-line block ×8, first 2 shown]
	v_cmp_eq_u32_e32 vcc, 12, v102
	ds_read_b32 v55, v52
	v_cndmask_b32_e32 v54, v54, v46, vcc
	v_cmp_eq_u32_e32 vcc, 13, v102
	v_cndmask_b32_e32 v54, v54, v47, vcc
	v_cmp_eq_u32_e32 vcc, 14, v102
	;; [unrolled: 2-line block ×4, first 2 shown]
	v_add_co_u32_e64 v102, s[0:1], 1, v102
	v_cndmask_b32_e32 v54, v54, v50, vcc
	v_add_u32_e32 v52, 4, v52
	v_addc_co_u32_e64 v53, s[0:1], 0, v53, s[0:1]
	s_waitcnt lgkmcnt(0)
	v_fmac_f32_e32 v101, v54, v55
	s_andn2_b64 exec, exec, s[8:9]
	s_cbranch_execnz .LBB80_237
; %bb.238:
	s_or_b64 exec, exec, s[8:9]
.LBB80_239:
	s_or_b64 exec, exec, s[2:3]
.LBB80_240:
	s_or_b64 exec, exec, s[6:7]
	v_mov_b32_e32 v34, 0
	ds_read_b32 v34, v34
	s_waitcnt lgkmcnt(0)
	v_mul_f32_e32 v34, v101, v34
.LBB80_241:
	s_or_b64 exec, exec, s[4:5]
	s_branch .LBB80_405
.LBB80_242:
	v_cmp_eq_u32_e64 s[2:3], 0, v0
	s_waitcnt vmcnt(0) lgkmcnt(0)
	ds_write_b32 v100, v3
	s_waitcnt lgkmcnt(0)
	; wave barrier
	s_and_saveexec_b64 s[0:1], s[2:3]
	s_cbranch_execz .LBB80_248
; %bb.243:
	s_and_b64 vcc, exec, s[38:39]
	s_cbranch_vccz .LBB80_245
; %bb.244:
	v_cmp_eq_u32_e32 vcc, 1, v0
	v_cndmask_b32_e32 v3, v2, v3, vcc
	v_cmp_eq_u32_e32 vcc, 2, v0
	v_cndmask_b32_e32 v3, v3, v4, vcc
	;; [unrolled: 2-line block ×12, first 2 shown]
	v_cmp_eq_u32_e32 vcc, 13, v0
	ds_read_b32 v19, v100
	v_cndmask_b32_e32 v3, v3, v15, vcc
	v_cmp_eq_u32_e32 vcc, 14, v0
	v_cndmask_b32_e32 v3, v3, v16, vcc
	v_cmp_eq_u32_e32 vcc, 15, v0
	;; [unrolled: 2-line block ×3, first 2 shown]
	v_cndmask_b32_e32 v3, v3, v18, vcc
	s_waitcnt lgkmcnt(0)
	v_mul_f32_e32 v3, v3, v19
	s_cbranch_execz .LBB80_246
	s_branch .LBB80_247
.LBB80_245:
                                        ; implicit-def: $vgpr3
.LBB80_246:
	ds_read_b32 v3, v100
.LBB80_247:
	v_mov_b32_e32 v19, 0
	ds_read_b32 v19, v19 offset:4
	s_waitcnt lgkmcnt(0)
	v_mul_f32_e32 v3, v3, v19
.LBB80_248:
	s_or_b64 exec, exec, s[0:1]
	v_cndmask_b32_e64 v34, 0, 1, s[38:39]
	v_cmp_gt_u32_e32 vcc, 2, v0
	v_cmp_ne_u32_e64 s[0:1], 1, v34
	ds_write_b32 v100, v4
	s_waitcnt lgkmcnt(0)
	; wave barrier
	s_and_saveexec_b64 s[4:5], vcc
	s_cbranch_execz .LBB80_254
; %bb.249:
	s_and_b64 vcc, exec, s[0:1]
	s_cbranch_vccnz .LBB80_251
; %bb.250:
	v_cmp_eq_u32_e32 vcc, 1, v0
	v_cndmask_b32_e32 v19, v2, v3, vcc
	v_cmp_eq_u32_e32 vcc, 2, v0
	v_cndmask_b32_e32 v4, v19, v4, vcc
	;; [unrolled: 2-line block ×12, first 2 shown]
	v_cmp_eq_u32_e32 vcc, 13, v0
	ds_read_b32 v19, v100
	v_cndmask_b32_e32 v4, v4, v15, vcc
	v_cmp_eq_u32_e32 vcc, 14, v0
	v_cndmask_b32_e32 v4, v4, v16, vcc
	v_cmp_eq_u32_e32 vcc, 15, v0
	;; [unrolled: 2-line block ×3, first 2 shown]
	v_cndmask_b32_e32 v4, v4, v18, vcc
	s_waitcnt lgkmcnt(0)
	v_mul_f32_e32 v4, v4, v19
	s_cbranch_execz .LBB80_252
	s_branch .LBB80_253
.LBB80_251:
                                        ; implicit-def: $vgpr4
.LBB80_252:
	ds_read_b32 v4, v100
.LBB80_253:
	v_mov_b32_e32 v19, 0
	ds_read2_b32 v[19:20], v19 offset0:2 offset1:21
	s_waitcnt lgkmcnt(0)
	v_fma_f32 v20, v3, v20, v4
	v_cndmask_b32_e64 v4, v4, v20, s[2:3]
	v_mul_f32_e32 v4, v4, v19
.LBB80_254:
	s_or_b64 exec, exec, s[4:5]
	v_add_u32_e32 v34, 1, v0
	v_cmp_gt_u32_e64 s[4:5], 3, v0
	ds_write_b32 v100, v5
	s_waitcnt lgkmcnt(0)
	; wave barrier
	s_and_saveexec_b64 s[6:7], s[4:5]
	s_cbranch_execz .LBB80_262
; %bb.255:
	s_and_b64 vcc, exec, s[0:1]
	s_cbranch_vccnz .LBB80_257
; %bb.256:
	v_cmp_eq_u32_e32 vcc, 1, v0
	v_cndmask_b32_e32 v19, v2, v3, vcc
	v_cmp_eq_u32_e32 vcc, 2, v0
	v_cndmask_b32_e32 v19, v19, v4, vcc
	;; [unrolled: 2-line block ×12, first 2 shown]
	v_cmp_eq_u32_e32 vcc, 13, v0
	ds_read_b32 v20, v100
	v_cndmask_b32_e32 v19, v19, v15, vcc
	v_cmp_eq_u32_e32 vcc, 14, v0
	v_cndmask_b32_e32 v19, v19, v16, vcc
	v_cmp_eq_u32_e32 vcc, 15, v0
	;; [unrolled: 2-line block ×3, first 2 shown]
	v_cndmask_b32_e32 v19, v19, v18, vcc
	s_waitcnt lgkmcnt(0)
	v_mul_f32_e32 v19, v19, v20
	s_cbranch_execz .LBB80_258
	s_branch .LBB80_259
.LBB80_257:
                                        ; implicit-def: $vgpr19
.LBB80_258:
	ds_read_b32 v19, v100
.LBB80_259:
	v_cmp_ne_u32_e32 vcc, 2, v0
	s_and_saveexec_b64 s[8:9], vcc
	s_cbranch_execz .LBB80_261
; %bb.260:
	v_cmp_eq_u32_e32 vcc, 1, v34
	v_cndmask_b32_e32 v20, v2, v3, vcc
	v_cmp_eq_u32_e32 vcc, 2, v34
	v_cndmask_b32_e32 v20, v20, v4, vcc
	;; [unrolled: 2-line block ×12, first 2 shown]
	v_cmp_eq_u32_e32 vcc, 13, v34
	v_mov_b32_e32 v20, 0
	v_cndmask_b32_e32 v5, v5, v15, vcc
	v_cmp_eq_u32_e32 vcc, 14, v34
	ds_read_b32 v21, v100 offset:4
	ds_read_b32 v20, v20 offset:88
	v_cndmask_b32_e32 v5, v5, v16, vcc
	v_cmp_eq_u32_e32 vcc, 15, v34
	v_cndmask_b32_e32 v5, v5, v17, vcc
	v_cmp_eq_u32_e32 vcc, 16, v34
	v_cndmask_b32_e32 v5, v5, v18, vcc
	s_waitcnt lgkmcnt(1)
	v_fmac_f32_e32 v19, v5, v21
	s_waitcnt lgkmcnt(0)
	v_fma_f32 v5, v4, v20, v19
	v_cndmask_b32_e64 v19, v19, v5, s[2:3]
.LBB80_261:
	s_or_b64 exec, exec, s[8:9]
	v_mov_b32_e32 v5, 0
	ds_read_b32 v5, v5 offset:12
	s_waitcnt lgkmcnt(0)
	v_mul_f32_e32 v5, v19, v5
.LBB80_262:
	s_or_b64 exec, exec, s[6:7]
	v_cmp_gt_u32_e32 vcc, 4, v0
	ds_write_b32 v100, v6
	s_waitcnt lgkmcnt(0)
	; wave barrier
	s_and_saveexec_b64 s[8:9], vcc
	s_cbranch_execz .LBB80_272
; %bb.263:
	s_and_b64 vcc, exec, s[0:1]
	s_cbranch_vccnz .LBB80_265
; %bb.264:
	v_cmp_eq_u32_e32 vcc, 1, v0
	v_cndmask_b32_e32 v19, v2, v3, vcc
	v_cmp_eq_u32_e32 vcc, 2, v0
	v_cndmask_b32_e32 v19, v19, v4, vcc
	;; [unrolled: 2-line block ×12, first 2 shown]
	v_cmp_eq_u32_e32 vcc, 13, v0
	ds_read_b32 v20, v100
	v_cndmask_b32_e32 v19, v19, v15, vcc
	v_cmp_eq_u32_e32 vcc, 14, v0
	v_cndmask_b32_e32 v19, v19, v16, vcc
	v_cmp_eq_u32_e32 vcc, 15, v0
	;; [unrolled: 2-line block ×3, first 2 shown]
	v_cndmask_b32_e32 v19, v19, v18, vcc
	s_waitcnt lgkmcnt(0)
	v_mul_f32_e32 v21, v19, v20
	s_cbranch_execz .LBB80_266
	s_branch .LBB80_267
.LBB80_265:
                                        ; implicit-def: $vgpr21
.LBB80_266:
	ds_read_b32 v21, v100
.LBB80_267:
	v_cmp_ne_u32_e32 vcc, 3, v0
	s_and_saveexec_b64 s[10:11], vcc
	s_cbranch_execz .LBB80_271
; %bb.268:
	v_mov_b32_e32 v19, 0x54
	v_lshl_add_u32 v22, v0, 2, v19
	v_mov_b32_e32 v20, v1
	s_mov_b64 s[12:13], 0
	v_mov_b32_e32 v19, v0
.LBB80_269:                             ; =>This Inner Loop Header: Depth=1
	v_add_co_u32_e32 v19, vcc, 1, v19
	v_addc_co_u32_e32 v20, vcc, 0, v20, vcc
	v_cmp_eq_u32_e32 vcc, 1, v19
	v_cndmask_b32_e32 v24, v2, v3, vcc
	v_cmp_lt_u32_e32 vcc, 2, v19
	v_cmp_eq_u32_e64 s[6:7], 2, v19
	v_cndmask_b32_e64 v24, v24, v4, s[6:7]
	s_or_b64 s[12:13], vcc, s[12:13]
	v_cmp_eq_u32_e32 vcc, 3, v19
	v_cndmask_b32_e32 v24, v24, v5, vcc
	v_cmp_eq_u32_e32 vcc, 4, v19
	v_cndmask_b32_e32 v24, v24, v6, vcc
	;; [unrolled: 2-line block ×9, first 2 shown]
	v_cmp_eq_u32_e32 vcc, 12, v19
	ds_read_b32 v23, v22
	v_cndmask_b32_e32 v24, v24, v14, vcc
	v_cmp_eq_u32_e32 vcc, 13, v19
	v_cndmask_b32_e32 v24, v24, v15, vcc
	v_cmp_eq_u32_e32 vcc, 14, v19
	;; [unrolled: 2-line block ×4, first 2 shown]
	v_cndmask_b32_e32 v24, v24, v18, vcc
	v_add_u32_e32 v22, 4, v22
	s_waitcnt lgkmcnt(0)
	v_fmac_f32_e32 v21, v24, v23
	s_andn2_b64 exec, exec, s[12:13]
	s_cbranch_execnz .LBB80_269
; %bb.270:
	s_or_b64 exec, exec, s[12:13]
.LBB80_271:
	s_or_b64 exec, exec, s[10:11]
	v_mov_b32_e32 v6, 0
	ds_read_b32 v6, v6 offset:16
	s_waitcnt lgkmcnt(0)
	v_mul_f32_e32 v6, v21, v6
.LBB80_272:
	s_or_b64 exec, exec, s[8:9]
	v_cmp_gt_u32_e64 s[6:7], 5, v0
	ds_write_b32 v100, v7
	s_waitcnt lgkmcnt(0)
	; wave barrier
	s_and_saveexec_b64 s[10:11], s[6:7]
	s_cbranch_execz .LBB80_282
; %bb.273:
	s_and_b64 vcc, exec, s[0:1]
	s_cbranch_vccnz .LBB80_275
; %bb.274:
	v_cmp_eq_u32_e32 vcc, 1, v0
	v_cndmask_b32_e32 v19, v2, v3, vcc
	v_cmp_eq_u32_e32 vcc, 2, v0
	v_cndmask_b32_e32 v19, v19, v4, vcc
	;; [unrolled: 2-line block ×12, first 2 shown]
	v_cmp_eq_u32_e32 vcc, 13, v0
	ds_read_b32 v20, v100
	v_cndmask_b32_e32 v19, v19, v15, vcc
	v_cmp_eq_u32_e32 vcc, 14, v0
	v_cndmask_b32_e32 v19, v19, v16, vcc
	v_cmp_eq_u32_e32 vcc, 15, v0
	;; [unrolled: 2-line block ×3, first 2 shown]
	v_cndmask_b32_e32 v19, v19, v18, vcc
	s_waitcnt lgkmcnt(0)
	v_mul_f32_e32 v21, v19, v20
	s_cbranch_execz .LBB80_276
	s_branch .LBB80_277
.LBB80_275:
                                        ; implicit-def: $vgpr21
.LBB80_276:
	ds_read_b32 v21, v100
.LBB80_277:
	v_cmp_ne_u32_e32 vcc, 4, v0
	s_and_saveexec_b64 s[12:13], vcc
	s_cbranch_execz .LBB80_281
; %bb.278:
	v_mov_b32_e32 v19, 0x54
	v_lshl_add_u32 v22, v0, 2, v19
	v_mov_b32_e32 v20, v1
	s_mov_b64 s[14:15], 0
	v_mov_b32_e32 v19, v0
.LBB80_279:                             ; =>This Inner Loop Header: Depth=1
	v_add_co_u32_e32 v19, vcc, 1, v19
	v_addc_co_u32_e32 v20, vcc, 0, v20, vcc
	v_cmp_eq_u32_e32 vcc, 1, v19
	v_cndmask_b32_e32 v24, v2, v3, vcc
	v_cmp_lt_u32_e32 vcc, 3, v19
	v_cmp_eq_u32_e64 s[8:9], 2, v19
	v_cndmask_b32_e64 v24, v24, v4, s[8:9]
	s_or_b64 s[14:15], vcc, s[14:15]
	v_cmp_eq_u32_e32 vcc, 3, v19
	v_cndmask_b32_e32 v24, v24, v5, vcc
	v_cmp_eq_u32_e32 vcc, 4, v19
	v_cndmask_b32_e32 v24, v24, v6, vcc
	;; [unrolled: 2-line block ×9, first 2 shown]
	v_cmp_eq_u32_e32 vcc, 12, v19
	ds_read_b32 v23, v22
	v_cndmask_b32_e32 v24, v24, v14, vcc
	v_cmp_eq_u32_e32 vcc, 13, v19
	v_cndmask_b32_e32 v24, v24, v15, vcc
	v_cmp_eq_u32_e32 vcc, 14, v19
	;; [unrolled: 2-line block ×4, first 2 shown]
	v_cndmask_b32_e32 v24, v24, v18, vcc
	v_add_u32_e32 v22, 4, v22
	s_waitcnt lgkmcnt(0)
	v_fmac_f32_e32 v21, v24, v23
	s_andn2_b64 exec, exec, s[14:15]
	s_cbranch_execnz .LBB80_279
; %bb.280:
	s_or_b64 exec, exec, s[14:15]
.LBB80_281:
	s_or_b64 exec, exec, s[12:13]
	v_mov_b32_e32 v7, 0
	ds_read_b32 v7, v7 offset:20
	s_waitcnt lgkmcnt(0)
	v_mul_f32_e32 v7, v21, v7
.LBB80_282:
	s_or_b64 exec, exec, s[10:11]
	v_cmp_gt_u32_e32 vcc, 6, v0
	ds_write_b32 v100, v8
	s_waitcnt lgkmcnt(0)
	; wave barrier
	s_and_saveexec_b64 s[10:11], vcc
	s_cbranch_execz .LBB80_292
; %bb.283:
	s_and_b64 vcc, exec, s[0:1]
	s_cbranch_vccnz .LBB80_285
; %bb.284:
	v_cmp_eq_u32_e32 vcc, 1, v0
	v_cndmask_b32_e32 v19, v2, v3, vcc
	v_cmp_eq_u32_e32 vcc, 2, v0
	v_cndmask_b32_e32 v19, v19, v4, vcc
	;; [unrolled: 2-line block ×12, first 2 shown]
	v_cmp_eq_u32_e32 vcc, 13, v0
	ds_read_b32 v20, v100
	v_cndmask_b32_e32 v19, v19, v15, vcc
	v_cmp_eq_u32_e32 vcc, 14, v0
	v_cndmask_b32_e32 v19, v19, v16, vcc
	v_cmp_eq_u32_e32 vcc, 15, v0
	v_cndmask_b32_e32 v19, v19, v17, vcc
	v_cmp_eq_u32_e32 vcc, 16, v0
	v_cndmask_b32_e32 v19, v19, v18, vcc
	s_waitcnt lgkmcnt(0)
	v_mul_f32_e32 v21, v19, v20
	s_cbranch_execz .LBB80_286
	s_branch .LBB80_287
.LBB80_285:
                                        ; implicit-def: $vgpr21
.LBB80_286:
	ds_read_b32 v21, v100
.LBB80_287:
	v_cmp_ne_u32_e32 vcc, 5, v0
	s_and_saveexec_b64 s[12:13], vcc
	s_cbranch_execz .LBB80_291
; %bb.288:
	v_mov_b32_e32 v19, 0x54
	v_lshl_add_u32 v22, v0, 2, v19
	v_mov_b32_e32 v20, v1
	s_mov_b64 s[14:15], 0
	v_mov_b32_e32 v19, v0
.LBB80_289:                             ; =>This Inner Loop Header: Depth=1
	v_add_co_u32_e32 v19, vcc, 1, v19
	v_addc_co_u32_e32 v20, vcc, 0, v20, vcc
	v_cmp_eq_u32_e32 vcc, 1, v19
	v_cndmask_b32_e32 v24, v2, v3, vcc
	v_cmp_lt_u32_e32 vcc, 4, v19
	v_cmp_eq_u32_e64 s[8:9], 2, v19
	v_cndmask_b32_e64 v24, v24, v4, s[8:9]
	s_or_b64 s[14:15], vcc, s[14:15]
	v_cmp_eq_u32_e32 vcc, 3, v19
	v_cndmask_b32_e32 v24, v24, v5, vcc
	v_cmp_eq_u32_e32 vcc, 4, v19
	v_cndmask_b32_e32 v24, v24, v6, vcc
	;; [unrolled: 2-line block ×9, first 2 shown]
	v_cmp_eq_u32_e32 vcc, 12, v19
	ds_read_b32 v23, v22
	v_cndmask_b32_e32 v24, v24, v14, vcc
	v_cmp_eq_u32_e32 vcc, 13, v19
	v_cndmask_b32_e32 v24, v24, v15, vcc
	v_cmp_eq_u32_e32 vcc, 14, v19
	;; [unrolled: 2-line block ×4, first 2 shown]
	v_cndmask_b32_e32 v24, v24, v18, vcc
	v_add_u32_e32 v22, 4, v22
	s_waitcnt lgkmcnt(0)
	v_fmac_f32_e32 v21, v24, v23
	s_andn2_b64 exec, exec, s[14:15]
	s_cbranch_execnz .LBB80_289
; %bb.290:
	s_or_b64 exec, exec, s[14:15]
.LBB80_291:
	s_or_b64 exec, exec, s[12:13]
	v_mov_b32_e32 v8, 0
	ds_read_b32 v8, v8 offset:24
	s_waitcnt lgkmcnt(0)
	v_mul_f32_e32 v8, v21, v8
.LBB80_292:
	s_or_b64 exec, exec, s[10:11]
	v_cmp_gt_u32_e64 s[8:9], 7, v0
	ds_write_b32 v100, v9
	s_waitcnt lgkmcnt(0)
	; wave barrier
	s_and_saveexec_b64 s[12:13], s[8:9]
	s_cbranch_execz .LBB80_302
; %bb.293:
	s_and_b64 vcc, exec, s[0:1]
	s_cbranch_vccnz .LBB80_295
; %bb.294:
	v_cmp_eq_u32_e32 vcc, 1, v0
	v_cndmask_b32_e32 v19, v2, v3, vcc
	v_cmp_eq_u32_e32 vcc, 2, v0
	v_cndmask_b32_e32 v19, v19, v4, vcc
	;; [unrolled: 2-line block ×12, first 2 shown]
	v_cmp_eq_u32_e32 vcc, 13, v0
	ds_read_b32 v20, v100
	v_cndmask_b32_e32 v19, v19, v15, vcc
	v_cmp_eq_u32_e32 vcc, 14, v0
	v_cndmask_b32_e32 v19, v19, v16, vcc
	v_cmp_eq_u32_e32 vcc, 15, v0
	;; [unrolled: 2-line block ×3, first 2 shown]
	v_cndmask_b32_e32 v19, v19, v18, vcc
	s_waitcnt lgkmcnt(0)
	v_mul_f32_e32 v21, v19, v20
	s_cbranch_execz .LBB80_296
	s_branch .LBB80_297
.LBB80_295:
                                        ; implicit-def: $vgpr21
.LBB80_296:
	ds_read_b32 v21, v100
.LBB80_297:
	v_cmp_ne_u32_e32 vcc, 6, v0
	s_and_saveexec_b64 s[14:15], vcc
	s_cbranch_execz .LBB80_301
; %bb.298:
	v_mov_b32_e32 v19, 0x54
	v_lshl_add_u32 v22, v0, 2, v19
	v_mov_b32_e32 v20, v1
	s_mov_b64 s[16:17], 0
	v_mov_b32_e32 v19, v0
.LBB80_299:                             ; =>This Inner Loop Header: Depth=1
	v_add_co_u32_e32 v19, vcc, 1, v19
	v_addc_co_u32_e32 v20, vcc, 0, v20, vcc
	v_cmp_eq_u32_e32 vcc, 1, v19
	v_cndmask_b32_e32 v24, v2, v3, vcc
	v_cmp_lt_u32_e32 vcc, 5, v19
	v_cmp_eq_u32_e64 s[10:11], 2, v19
	v_cndmask_b32_e64 v24, v24, v4, s[10:11]
	s_or_b64 s[16:17], vcc, s[16:17]
	v_cmp_eq_u32_e32 vcc, 3, v19
	v_cndmask_b32_e32 v24, v24, v5, vcc
	v_cmp_eq_u32_e32 vcc, 4, v19
	v_cndmask_b32_e32 v24, v24, v6, vcc
	;; [unrolled: 2-line block ×9, first 2 shown]
	v_cmp_eq_u32_e32 vcc, 12, v19
	ds_read_b32 v23, v22
	v_cndmask_b32_e32 v24, v24, v14, vcc
	v_cmp_eq_u32_e32 vcc, 13, v19
	v_cndmask_b32_e32 v24, v24, v15, vcc
	v_cmp_eq_u32_e32 vcc, 14, v19
	;; [unrolled: 2-line block ×4, first 2 shown]
	v_cndmask_b32_e32 v24, v24, v18, vcc
	v_add_u32_e32 v22, 4, v22
	s_waitcnt lgkmcnt(0)
	v_fmac_f32_e32 v21, v24, v23
	s_andn2_b64 exec, exec, s[16:17]
	s_cbranch_execnz .LBB80_299
; %bb.300:
	s_or_b64 exec, exec, s[16:17]
.LBB80_301:
	s_or_b64 exec, exec, s[14:15]
	v_mov_b32_e32 v9, 0
	ds_read_b32 v9, v9 offset:28
	s_waitcnt lgkmcnt(0)
	v_mul_f32_e32 v9, v21, v9
.LBB80_302:
	s_or_b64 exec, exec, s[12:13]
	v_cmp_gt_u32_e32 vcc, 8, v0
	ds_write_b32 v100, v10
	s_waitcnt lgkmcnt(0)
	; wave barrier
	s_and_saveexec_b64 s[12:13], vcc
	s_cbranch_execz .LBB80_312
; %bb.303:
	s_and_b64 vcc, exec, s[0:1]
	s_cbranch_vccnz .LBB80_305
; %bb.304:
	v_cmp_eq_u32_e32 vcc, 1, v0
	v_cndmask_b32_e32 v19, v2, v3, vcc
	v_cmp_eq_u32_e32 vcc, 2, v0
	v_cndmask_b32_e32 v19, v19, v4, vcc
	;; [unrolled: 2-line block ×12, first 2 shown]
	v_cmp_eq_u32_e32 vcc, 13, v0
	ds_read_b32 v20, v100
	v_cndmask_b32_e32 v19, v19, v15, vcc
	v_cmp_eq_u32_e32 vcc, 14, v0
	v_cndmask_b32_e32 v19, v19, v16, vcc
	v_cmp_eq_u32_e32 vcc, 15, v0
	;; [unrolled: 2-line block ×3, first 2 shown]
	v_cndmask_b32_e32 v19, v19, v18, vcc
	s_waitcnt lgkmcnt(0)
	v_mul_f32_e32 v21, v19, v20
	s_cbranch_execz .LBB80_306
	s_branch .LBB80_307
.LBB80_305:
                                        ; implicit-def: $vgpr21
.LBB80_306:
	ds_read_b32 v21, v100
.LBB80_307:
	v_cmp_ne_u32_e32 vcc, 7, v0
	s_and_saveexec_b64 s[14:15], vcc
	s_cbranch_execz .LBB80_311
; %bb.308:
	v_mov_b32_e32 v19, 0x54
	v_lshl_add_u32 v22, v0, 2, v19
	v_mov_b32_e32 v20, v1
	s_mov_b64 s[16:17], 0
	v_mov_b32_e32 v19, v0
.LBB80_309:                             ; =>This Inner Loop Header: Depth=1
	v_add_co_u32_e32 v19, vcc, 1, v19
	v_addc_co_u32_e32 v20, vcc, 0, v20, vcc
	v_cmp_eq_u32_e32 vcc, 1, v19
	v_cndmask_b32_e32 v24, v2, v3, vcc
	v_cmp_lt_u32_e32 vcc, 6, v19
	v_cmp_eq_u32_e64 s[10:11], 2, v19
	v_cndmask_b32_e64 v24, v24, v4, s[10:11]
	s_or_b64 s[16:17], vcc, s[16:17]
	v_cmp_eq_u32_e32 vcc, 3, v19
	v_cndmask_b32_e32 v24, v24, v5, vcc
	v_cmp_eq_u32_e32 vcc, 4, v19
	v_cndmask_b32_e32 v24, v24, v6, vcc
	;; [unrolled: 2-line block ×9, first 2 shown]
	v_cmp_eq_u32_e32 vcc, 12, v19
	ds_read_b32 v23, v22
	v_cndmask_b32_e32 v24, v24, v14, vcc
	v_cmp_eq_u32_e32 vcc, 13, v19
	v_cndmask_b32_e32 v24, v24, v15, vcc
	v_cmp_eq_u32_e32 vcc, 14, v19
	;; [unrolled: 2-line block ×4, first 2 shown]
	v_cndmask_b32_e32 v24, v24, v18, vcc
	v_add_u32_e32 v22, 4, v22
	s_waitcnt lgkmcnt(0)
	v_fmac_f32_e32 v21, v24, v23
	s_andn2_b64 exec, exec, s[16:17]
	s_cbranch_execnz .LBB80_309
; %bb.310:
	s_or_b64 exec, exec, s[16:17]
.LBB80_311:
	s_or_b64 exec, exec, s[14:15]
	v_mov_b32_e32 v10, 0
	ds_read_b32 v10, v10 offset:32
	s_waitcnt lgkmcnt(0)
	v_mul_f32_e32 v10, v21, v10
.LBB80_312:
	s_or_b64 exec, exec, s[12:13]
	v_cmp_gt_u32_e32 vcc, 9, v0
	ds_write_b32 v100, v11
	s_waitcnt lgkmcnt(0)
	; wave barrier
	s_and_saveexec_b64 s[10:11], vcc
	s_cbranch_execz .LBB80_334
; %bb.313:
	s_and_b64 vcc, exec, s[0:1]
	s_cbranch_vccnz .LBB80_315
; %bb.314:
	v_cmp_eq_u32_e32 vcc, 1, v0
	v_cndmask_b32_e32 v19, v2, v3, vcc
	v_cmp_eq_u32_e32 vcc, 2, v0
	v_cndmask_b32_e32 v19, v19, v4, vcc
	v_cmp_eq_u32_e32 vcc, 3, v0
	v_cndmask_b32_e32 v19, v19, v5, vcc
	v_cmp_eq_u32_e32 vcc, 4, v0
	v_cndmask_b32_e32 v19, v19, v6, vcc
	v_cmp_eq_u32_e32 vcc, 5, v0
	v_cndmask_b32_e32 v19, v19, v7, vcc
	v_cmp_eq_u32_e32 vcc, 6, v0
	v_cndmask_b32_e32 v19, v19, v8, vcc
	v_cmp_eq_u32_e32 vcc, 7, v0
	v_cndmask_b32_e32 v19, v19, v9, vcc
	v_cmp_eq_u32_e32 vcc, 8, v0
	v_cndmask_b32_e32 v19, v19, v10, vcc
	v_cmp_eq_u32_e32 vcc, 9, v0
	v_cndmask_b32_e32 v19, v19, v11, vcc
	v_cmp_eq_u32_e32 vcc, 10, v0
	v_cndmask_b32_e32 v19, v19, v12, vcc
	v_cmp_eq_u32_e32 vcc, 11, v0
	v_cndmask_b32_e32 v19, v19, v13, vcc
	v_cmp_eq_u32_e32 vcc, 12, v0
	v_cndmask_b32_e32 v19, v19, v14, vcc
	v_cmp_eq_u32_e32 vcc, 13, v0
	ds_read_b32 v20, v100
	v_cndmask_b32_e32 v19, v19, v15, vcc
	v_cmp_eq_u32_e32 vcc, 14, v0
	v_cndmask_b32_e32 v19, v19, v16, vcc
	v_cmp_eq_u32_e32 vcc, 15, v0
	;; [unrolled: 2-line block ×3, first 2 shown]
	v_cndmask_b32_e32 v19, v19, v18, vcc
	s_waitcnt lgkmcnt(0)
	v_mul_f32_e32 v19, v19, v20
	s_cbranch_execz .LBB80_316
	s_branch .LBB80_317
.LBB80_315:
                                        ; implicit-def: $vgpr19
.LBB80_316:
	ds_read_b32 v19, v100
.LBB80_317:
	v_cmp_ne_u32_e32 vcc, 8, v0
	s_and_saveexec_b64 s[12:13], vcc
	s_cbranch_execz .LBB80_333
; %bb.318:
	v_cmp_eq_u32_e32 vcc, 1, v34
	v_cndmask_b32_e32 v20, v2, v3, vcc
	v_cmp_eq_u32_e32 vcc, 2, v34
	v_cndmask_b32_e32 v20, v20, v4, vcc
	;; [unrolled: 2-line block ×12, first 2 shown]
	v_cmp_eq_u32_e32 vcc, 13, v34
	ds_read_b32 v21, v100 offset:4
	v_cndmask_b32_e32 v20, v20, v15, vcc
	v_cmp_eq_u32_e32 vcc, 14, v34
	v_cndmask_b32_e32 v20, v20, v16, vcc
	v_cmp_eq_u32_e32 vcc, 15, v34
	;; [unrolled: 2-line block ×3, first 2 shown]
	v_cndmask_b32_e32 v20, v20, v18, vcc
	s_waitcnt lgkmcnt(0)
	v_fmac_f32_e32 v19, v20, v21
	s_and_saveexec_b64 s[14:15], s[8:9]
	s_cbranch_execz .LBB80_332
; %bb.319:
	v_add_u32_e32 v20, 2, v0
	v_cmp_eq_u32_e32 vcc, 1, v20
	v_cndmask_b32_e32 v21, v2, v3, vcc
	v_cmp_eq_u32_e32 vcc, 2, v20
	v_cndmask_b32_e32 v21, v21, v4, vcc
	;; [unrolled: 2-line block ×12, first 2 shown]
	v_cmp_eq_u32_e32 vcc, 13, v20
	ds_read_b32 v22, v100 offset:8
	v_cndmask_b32_e32 v21, v21, v15, vcc
	v_cmp_eq_u32_e32 vcc, 14, v20
	v_cndmask_b32_e32 v21, v21, v16, vcc
	v_cmp_eq_u32_e32 vcc, 15, v20
	v_cndmask_b32_e32 v21, v21, v17, vcc
	v_cmp_eq_u32_e32 vcc, 16, v20
	v_cndmask_b32_e32 v20, v21, v18, vcc
	s_waitcnt lgkmcnt(0)
	v_fmac_f32_e32 v19, v20, v22
	v_cmp_ne_u32_e32 vcc, 6, v0
	s_and_saveexec_b64 s[8:9], vcc
	s_cbranch_execz .LBB80_331
; %bb.320:
	v_add_u32_e32 v20, 3, v0
	v_cmp_eq_u32_e32 vcc, 1, v20
	v_cndmask_b32_e32 v21, v2, v3, vcc
	v_cmp_eq_u32_e32 vcc, 2, v20
	v_cndmask_b32_e32 v21, v21, v4, vcc
	;; [unrolled: 2-line block ×12, first 2 shown]
	v_cmp_eq_u32_e32 vcc, 13, v20
	ds_read_b32 v22, v100 offset:12
	v_cndmask_b32_e32 v21, v21, v15, vcc
	v_cmp_eq_u32_e32 vcc, 14, v20
	v_cndmask_b32_e32 v21, v21, v16, vcc
	v_cmp_eq_u32_e32 vcc, 15, v20
	;; [unrolled: 2-line block ×3, first 2 shown]
	v_cndmask_b32_e32 v20, v21, v18, vcc
	s_waitcnt lgkmcnt(0)
	v_fmac_f32_e32 v19, v20, v22
	s_and_saveexec_b64 s[16:17], s[6:7]
	s_cbranch_execz .LBB80_330
; %bb.321:
	v_add_u32_e32 v20, 4, v0
	v_cmp_eq_u32_e32 vcc, 1, v20
	v_cndmask_b32_e32 v21, v2, v3, vcc
	v_cmp_eq_u32_e32 vcc, 2, v20
	v_cndmask_b32_e32 v21, v21, v4, vcc
	;; [unrolled: 2-line block ×12, first 2 shown]
	v_cmp_eq_u32_e32 vcc, 13, v20
	ds_read_b32 v22, v100 offset:16
	v_cndmask_b32_e32 v21, v21, v15, vcc
	v_cmp_eq_u32_e32 vcc, 14, v20
	v_cndmask_b32_e32 v21, v21, v16, vcc
	v_cmp_eq_u32_e32 vcc, 15, v20
	v_cndmask_b32_e32 v21, v21, v17, vcc
	v_cmp_eq_u32_e32 vcc, 16, v20
	v_cndmask_b32_e32 v20, v21, v18, vcc
	s_waitcnt lgkmcnt(0)
	v_fmac_f32_e32 v19, v20, v22
	v_cmp_ne_u32_e32 vcc, 4, v0
	s_and_saveexec_b64 s[6:7], vcc
	s_cbranch_execz .LBB80_329
; %bb.322:
	v_add_u32_e32 v20, 5, v0
	v_cmp_eq_u32_e32 vcc, 1, v20
	v_cndmask_b32_e32 v21, v2, v3, vcc
	v_cmp_eq_u32_e32 vcc, 2, v20
	v_cndmask_b32_e32 v21, v21, v4, vcc
	;; [unrolled: 2-line block ×12, first 2 shown]
	v_cmp_eq_u32_e32 vcc, 13, v20
	ds_read_b32 v22, v100 offset:20
	v_cndmask_b32_e32 v21, v21, v15, vcc
	v_cmp_eq_u32_e32 vcc, 14, v20
	v_cndmask_b32_e32 v21, v21, v16, vcc
	v_cmp_eq_u32_e32 vcc, 15, v20
	;; [unrolled: 2-line block ×3, first 2 shown]
	v_cndmask_b32_e32 v20, v21, v18, vcc
	s_waitcnt lgkmcnt(0)
	v_fmac_f32_e32 v19, v20, v22
	s_and_saveexec_b64 s[18:19], s[4:5]
	s_cbranch_execz .LBB80_328
; %bb.323:
	v_add_u32_e32 v20, 6, v0
	v_cmp_eq_u32_e32 vcc, 1, v20
	v_cndmask_b32_e32 v21, v2, v3, vcc
	v_cmp_eq_u32_e32 vcc, 2, v20
	v_cndmask_b32_e32 v21, v21, v4, vcc
	;; [unrolled: 2-line block ×12, first 2 shown]
	v_cmp_eq_u32_e32 vcc, 13, v20
	ds_read_b32 v22, v100 offset:24
	v_cndmask_b32_e32 v21, v21, v15, vcc
	v_cmp_eq_u32_e32 vcc, 14, v20
	v_cndmask_b32_e32 v21, v21, v16, vcc
	v_cmp_eq_u32_e32 vcc, 15, v20
	;; [unrolled: 2-line block ×3, first 2 shown]
	v_cndmask_b32_e32 v20, v21, v18, vcc
	s_waitcnt lgkmcnt(0)
	v_fmac_f32_e32 v19, v20, v22
	v_cmp_ne_u32_e32 vcc, 2, v0
	s_and_saveexec_b64 s[4:5], vcc
	s_cbranch_execz .LBB80_327
; %bb.324:
	v_add_u32_e32 v20, 7, v0
	v_cmp_eq_u32_e32 vcc, 1, v20
	v_cndmask_b32_e32 v21, v2, v3, vcc
	v_cmp_eq_u32_e32 vcc, 2, v20
	v_cndmask_b32_e32 v21, v21, v4, vcc
	;; [unrolled: 2-line block ×12, first 2 shown]
	v_cmp_eq_u32_e32 vcc, 13, v20
	ds_read_b32 v21, v100 offset:28
	v_cndmask_b32_e32 v11, v11, v15, vcc
	v_cmp_eq_u32_e32 vcc, 14, v20
	v_cndmask_b32_e32 v11, v11, v16, vcc
	v_cmp_eq_u32_e32 vcc, 15, v20
	;; [unrolled: 2-line block ×3, first 2 shown]
	v_cndmask_b32_e32 v11, v11, v18, vcc
	s_waitcnt lgkmcnt(0)
	v_fmac_f32_e32 v19, v11, v21
	s_and_saveexec_b64 s[20:21], s[2:3]
	s_cbranch_execz .LBB80_326
; %bb.325:
	ds_read_b32 v11, v100 offset:32
	s_waitcnt lgkmcnt(0)
	v_fmac_f32_e32 v19, v10, v11
.LBB80_326:
	s_or_b64 exec, exec, s[20:21]
.LBB80_327:
	s_or_b64 exec, exec, s[4:5]
.LBB80_328:
	s_or_b64 exec, exec, s[18:19]
.LBB80_329:
	s_or_b64 exec, exec, s[6:7]
.LBB80_330:
	s_or_b64 exec, exec, s[16:17]
.LBB80_331:
	s_or_b64 exec, exec, s[8:9]
.LBB80_332:
	s_or_b64 exec, exec, s[14:15]
.LBB80_333:
	s_or_b64 exec, exec, s[12:13]
	v_mov_b32_e32 v11, 0
	ds_read_b32 v11, v11 offset:36
	s_waitcnt lgkmcnt(0)
	v_mul_f32_e32 v11, v19, v11
.LBB80_334:
	s_or_b64 exec, exec, s[10:11]
	v_cmp_gt_u32_e32 vcc, 10, v0
	ds_write_b32 v100, v12
	s_waitcnt lgkmcnt(0)
	; wave barrier
	s_and_saveexec_b64 s[4:5], vcc
	s_cbranch_execz .LBB80_344
; %bb.335:
	s_and_b64 vcc, exec, s[0:1]
	s_cbranch_vccnz .LBB80_337
; %bb.336:
	v_cmp_eq_u32_e32 vcc, 1, v0
	v_cndmask_b32_e32 v19, v2, v3, vcc
	v_cmp_eq_u32_e32 vcc, 2, v0
	v_cndmask_b32_e32 v19, v19, v4, vcc
	;; [unrolled: 2-line block ×12, first 2 shown]
	v_cmp_eq_u32_e32 vcc, 13, v0
	ds_read_b32 v20, v100
	v_cndmask_b32_e32 v19, v19, v15, vcc
	v_cmp_eq_u32_e32 vcc, 14, v0
	v_cndmask_b32_e32 v19, v19, v16, vcc
	v_cmp_eq_u32_e32 vcc, 15, v0
	;; [unrolled: 2-line block ×3, first 2 shown]
	v_cndmask_b32_e32 v19, v19, v18, vcc
	s_waitcnt lgkmcnt(0)
	v_mul_f32_e32 v21, v19, v20
	s_cbranch_execz .LBB80_338
	s_branch .LBB80_339
.LBB80_337:
                                        ; implicit-def: $vgpr21
.LBB80_338:
	ds_read_b32 v21, v100
.LBB80_339:
	v_cmp_ne_u32_e32 vcc, 9, v0
	s_and_saveexec_b64 s[6:7], vcc
	s_cbranch_execz .LBB80_343
; %bb.340:
	v_mov_b32_e32 v19, 0x54
	v_lshl_add_u32 v22, v0, 2, v19
	v_mov_b32_e32 v20, v1
	s_mov_b64 s[8:9], 0
	v_mov_b32_e32 v19, v0
.LBB80_341:                             ; =>This Inner Loop Header: Depth=1
	v_add_co_u32_e32 v19, vcc, 1, v19
	v_addc_co_u32_e32 v20, vcc, 0, v20, vcc
	v_cmp_eq_u32_e32 vcc, 1, v19
	v_cndmask_b32_e32 v24, v2, v3, vcc
	v_cmp_lt_u32_e32 vcc, 8, v19
	v_cmp_eq_u32_e64 s[2:3], 2, v19
	v_cndmask_b32_e64 v24, v24, v4, s[2:3]
	s_or_b64 s[8:9], vcc, s[8:9]
	v_cmp_eq_u32_e32 vcc, 3, v19
	v_cndmask_b32_e32 v24, v24, v5, vcc
	v_cmp_eq_u32_e32 vcc, 4, v19
	v_cndmask_b32_e32 v24, v24, v6, vcc
	;; [unrolled: 2-line block ×9, first 2 shown]
	v_cmp_eq_u32_e32 vcc, 12, v19
	ds_read_b32 v23, v22
	v_cndmask_b32_e32 v24, v24, v14, vcc
	v_cmp_eq_u32_e32 vcc, 13, v19
	v_cndmask_b32_e32 v24, v24, v15, vcc
	v_cmp_eq_u32_e32 vcc, 14, v19
	;; [unrolled: 2-line block ×4, first 2 shown]
	v_cndmask_b32_e32 v24, v24, v18, vcc
	v_add_u32_e32 v22, 4, v22
	s_waitcnt lgkmcnt(0)
	v_fmac_f32_e32 v21, v24, v23
	s_andn2_b64 exec, exec, s[8:9]
	s_cbranch_execnz .LBB80_341
; %bb.342:
	s_or_b64 exec, exec, s[8:9]
.LBB80_343:
	s_or_b64 exec, exec, s[6:7]
	v_mov_b32_e32 v12, 0
	ds_read_b32 v12, v12 offset:40
	s_waitcnt lgkmcnt(0)
	v_mul_f32_e32 v12, v21, v12
.LBB80_344:
	s_or_b64 exec, exec, s[4:5]
	v_cmp_gt_u32_e32 vcc, 11, v0
	ds_write_b32 v100, v13
	s_waitcnt lgkmcnt(0)
	; wave barrier
	s_and_saveexec_b64 s[4:5], vcc
	s_cbranch_execz .LBB80_354
; %bb.345:
	s_and_b64 vcc, exec, s[0:1]
	s_cbranch_vccnz .LBB80_347
; %bb.346:
	v_cmp_eq_u32_e32 vcc, 1, v0
	v_cndmask_b32_e32 v19, v2, v3, vcc
	v_cmp_eq_u32_e32 vcc, 2, v0
	v_cndmask_b32_e32 v19, v19, v4, vcc
	v_cmp_eq_u32_e32 vcc, 3, v0
	v_cndmask_b32_e32 v19, v19, v5, vcc
	v_cmp_eq_u32_e32 vcc, 4, v0
	v_cndmask_b32_e32 v19, v19, v6, vcc
	v_cmp_eq_u32_e32 vcc, 5, v0
	v_cndmask_b32_e32 v19, v19, v7, vcc
	v_cmp_eq_u32_e32 vcc, 6, v0
	v_cndmask_b32_e32 v19, v19, v8, vcc
	v_cmp_eq_u32_e32 vcc, 7, v0
	v_cndmask_b32_e32 v19, v19, v9, vcc
	v_cmp_eq_u32_e32 vcc, 8, v0
	v_cndmask_b32_e32 v19, v19, v10, vcc
	v_cmp_eq_u32_e32 vcc, 9, v0
	v_cndmask_b32_e32 v19, v19, v11, vcc
	v_cmp_eq_u32_e32 vcc, 10, v0
	v_cndmask_b32_e32 v19, v19, v12, vcc
	v_cmp_eq_u32_e32 vcc, 11, v0
	v_cndmask_b32_e32 v19, v19, v13, vcc
	v_cmp_eq_u32_e32 vcc, 12, v0
	v_cndmask_b32_e32 v19, v19, v14, vcc
	v_cmp_eq_u32_e32 vcc, 13, v0
	ds_read_b32 v20, v100
	v_cndmask_b32_e32 v19, v19, v15, vcc
	v_cmp_eq_u32_e32 vcc, 14, v0
	v_cndmask_b32_e32 v19, v19, v16, vcc
	v_cmp_eq_u32_e32 vcc, 15, v0
	;; [unrolled: 2-line block ×3, first 2 shown]
	v_cndmask_b32_e32 v19, v19, v18, vcc
	s_waitcnt lgkmcnt(0)
	v_mul_f32_e32 v21, v19, v20
	s_cbranch_execz .LBB80_348
	s_branch .LBB80_349
.LBB80_347:
                                        ; implicit-def: $vgpr21
.LBB80_348:
	ds_read_b32 v21, v100
.LBB80_349:
	v_cmp_ne_u32_e32 vcc, 10, v0
	s_and_saveexec_b64 s[6:7], vcc
	s_cbranch_execz .LBB80_353
; %bb.350:
	v_mov_b32_e32 v19, 0x54
	v_lshl_add_u32 v22, v0, 2, v19
	v_mov_b32_e32 v20, v1
	s_mov_b64 s[8:9], 0
	v_mov_b32_e32 v19, v0
.LBB80_351:                             ; =>This Inner Loop Header: Depth=1
	v_add_co_u32_e32 v19, vcc, 1, v19
	v_addc_co_u32_e32 v20, vcc, 0, v20, vcc
	v_cmp_eq_u32_e32 vcc, 1, v19
	v_cndmask_b32_e32 v24, v2, v3, vcc
	v_cmp_lt_u32_e32 vcc, 9, v19
	v_cmp_eq_u32_e64 s[2:3], 2, v19
	v_cndmask_b32_e64 v24, v24, v4, s[2:3]
	s_or_b64 s[8:9], vcc, s[8:9]
	v_cmp_eq_u32_e32 vcc, 3, v19
	v_cndmask_b32_e32 v24, v24, v5, vcc
	v_cmp_eq_u32_e32 vcc, 4, v19
	v_cndmask_b32_e32 v24, v24, v6, vcc
	;; [unrolled: 2-line block ×9, first 2 shown]
	v_cmp_eq_u32_e32 vcc, 12, v19
	ds_read_b32 v23, v22
	v_cndmask_b32_e32 v24, v24, v14, vcc
	v_cmp_eq_u32_e32 vcc, 13, v19
	v_cndmask_b32_e32 v24, v24, v15, vcc
	v_cmp_eq_u32_e32 vcc, 14, v19
	v_cndmask_b32_e32 v24, v24, v16, vcc
	v_cmp_eq_u32_e32 vcc, 15, v19
	v_cndmask_b32_e32 v24, v24, v17, vcc
	v_cmp_eq_u32_e32 vcc, 16, v19
	v_cndmask_b32_e32 v24, v24, v18, vcc
	v_add_u32_e32 v22, 4, v22
	s_waitcnt lgkmcnt(0)
	v_fmac_f32_e32 v21, v24, v23
	s_andn2_b64 exec, exec, s[8:9]
	s_cbranch_execnz .LBB80_351
; %bb.352:
	s_or_b64 exec, exec, s[8:9]
.LBB80_353:
	s_or_b64 exec, exec, s[6:7]
	v_mov_b32_e32 v13, 0
	ds_read_b32 v13, v13 offset:44
	s_waitcnt lgkmcnt(0)
	v_mul_f32_e32 v13, v21, v13
.LBB80_354:
	s_or_b64 exec, exec, s[4:5]
	v_cmp_gt_u32_e32 vcc, 12, v0
	ds_write_b32 v100, v14
	s_waitcnt lgkmcnt(0)
	; wave barrier
	s_and_saveexec_b64 s[4:5], vcc
	s_cbranch_execz .LBB80_364
; %bb.355:
	s_and_b64 vcc, exec, s[0:1]
	s_cbranch_vccnz .LBB80_357
; %bb.356:
	v_cmp_eq_u32_e32 vcc, 1, v0
	v_cndmask_b32_e32 v19, v2, v3, vcc
	v_cmp_eq_u32_e32 vcc, 2, v0
	v_cndmask_b32_e32 v19, v19, v4, vcc
	;; [unrolled: 2-line block ×12, first 2 shown]
	v_cmp_eq_u32_e32 vcc, 13, v0
	ds_read_b32 v20, v100
	v_cndmask_b32_e32 v19, v19, v15, vcc
	v_cmp_eq_u32_e32 vcc, 14, v0
	v_cndmask_b32_e32 v19, v19, v16, vcc
	v_cmp_eq_u32_e32 vcc, 15, v0
	;; [unrolled: 2-line block ×3, first 2 shown]
	v_cndmask_b32_e32 v19, v19, v18, vcc
	s_waitcnt lgkmcnt(0)
	v_mul_f32_e32 v21, v19, v20
	s_cbranch_execz .LBB80_358
	s_branch .LBB80_359
.LBB80_357:
                                        ; implicit-def: $vgpr21
.LBB80_358:
	ds_read_b32 v21, v100
.LBB80_359:
	v_cmp_ne_u32_e32 vcc, 11, v0
	s_and_saveexec_b64 s[6:7], vcc
	s_cbranch_execz .LBB80_363
; %bb.360:
	v_mov_b32_e32 v19, 0x54
	v_lshl_add_u32 v22, v0, 2, v19
	v_mov_b32_e32 v20, v1
	s_mov_b64 s[8:9], 0
	v_mov_b32_e32 v19, v0
.LBB80_361:                             ; =>This Inner Loop Header: Depth=1
	v_add_co_u32_e32 v19, vcc, 1, v19
	v_addc_co_u32_e32 v20, vcc, 0, v20, vcc
	v_cmp_eq_u32_e32 vcc, 1, v19
	v_cndmask_b32_e32 v24, v2, v3, vcc
	v_cmp_lt_u32_e32 vcc, 10, v19
	v_cmp_eq_u32_e64 s[2:3], 2, v19
	v_cndmask_b32_e64 v24, v24, v4, s[2:3]
	s_or_b64 s[8:9], vcc, s[8:9]
	v_cmp_eq_u32_e32 vcc, 3, v19
	v_cndmask_b32_e32 v24, v24, v5, vcc
	v_cmp_eq_u32_e32 vcc, 4, v19
	v_cndmask_b32_e32 v24, v24, v6, vcc
	;; [unrolled: 2-line block ×9, first 2 shown]
	v_cmp_eq_u32_e32 vcc, 12, v19
	ds_read_b32 v23, v22
	v_cndmask_b32_e32 v24, v24, v14, vcc
	v_cmp_eq_u32_e32 vcc, 13, v19
	v_cndmask_b32_e32 v24, v24, v15, vcc
	v_cmp_eq_u32_e32 vcc, 14, v19
	v_cndmask_b32_e32 v24, v24, v16, vcc
	v_cmp_eq_u32_e32 vcc, 15, v19
	v_cndmask_b32_e32 v24, v24, v17, vcc
	v_cmp_eq_u32_e32 vcc, 16, v19
	v_cndmask_b32_e32 v24, v24, v18, vcc
	v_add_u32_e32 v22, 4, v22
	s_waitcnt lgkmcnt(0)
	v_fmac_f32_e32 v21, v24, v23
	s_andn2_b64 exec, exec, s[8:9]
	s_cbranch_execnz .LBB80_361
; %bb.362:
	s_or_b64 exec, exec, s[8:9]
.LBB80_363:
	s_or_b64 exec, exec, s[6:7]
	v_mov_b32_e32 v14, 0
	ds_read_b32 v14, v14 offset:48
	s_waitcnt lgkmcnt(0)
	v_mul_f32_e32 v14, v21, v14
.LBB80_364:
	s_or_b64 exec, exec, s[4:5]
	v_cmp_gt_u32_e32 vcc, 13, v0
	ds_write_b32 v100, v15
	s_waitcnt lgkmcnt(0)
	; wave barrier
	s_and_saveexec_b64 s[4:5], vcc
	s_cbranch_execz .LBB80_374
; %bb.365:
	s_and_b64 vcc, exec, s[0:1]
	s_cbranch_vccnz .LBB80_367
; %bb.366:
	v_cmp_eq_u32_e32 vcc, 1, v0
	v_cndmask_b32_e32 v19, v2, v3, vcc
	v_cmp_eq_u32_e32 vcc, 2, v0
	v_cndmask_b32_e32 v19, v19, v4, vcc
	;; [unrolled: 2-line block ×12, first 2 shown]
	v_cmp_eq_u32_e32 vcc, 13, v0
	ds_read_b32 v20, v100
	v_cndmask_b32_e32 v19, v19, v15, vcc
	v_cmp_eq_u32_e32 vcc, 14, v0
	v_cndmask_b32_e32 v19, v19, v16, vcc
	v_cmp_eq_u32_e32 vcc, 15, v0
	;; [unrolled: 2-line block ×3, first 2 shown]
	v_cndmask_b32_e32 v19, v19, v18, vcc
	s_waitcnt lgkmcnt(0)
	v_mul_f32_e32 v21, v19, v20
	s_cbranch_execz .LBB80_368
	s_branch .LBB80_369
.LBB80_367:
                                        ; implicit-def: $vgpr21
.LBB80_368:
	ds_read_b32 v21, v100
.LBB80_369:
	v_cmp_ne_u32_e32 vcc, 12, v0
	s_and_saveexec_b64 s[6:7], vcc
	s_cbranch_execz .LBB80_373
; %bb.370:
	v_mov_b32_e32 v19, 0x54
	v_lshl_add_u32 v22, v0, 2, v19
	v_mov_b32_e32 v20, v1
	s_mov_b64 s[8:9], 0
	v_mov_b32_e32 v19, v0
.LBB80_371:                             ; =>This Inner Loop Header: Depth=1
	v_add_co_u32_e32 v19, vcc, 1, v19
	v_addc_co_u32_e32 v20, vcc, 0, v20, vcc
	v_cmp_eq_u32_e32 vcc, 1, v19
	v_cndmask_b32_e32 v24, v2, v3, vcc
	v_cmp_lt_u32_e32 vcc, 11, v19
	v_cmp_eq_u32_e64 s[2:3], 2, v19
	v_cndmask_b32_e64 v24, v24, v4, s[2:3]
	s_or_b64 s[8:9], vcc, s[8:9]
	v_cmp_eq_u32_e32 vcc, 3, v19
	v_cndmask_b32_e32 v24, v24, v5, vcc
	v_cmp_eq_u32_e32 vcc, 4, v19
	v_cndmask_b32_e32 v24, v24, v6, vcc
	;; [unrolled: 2-line block ×9, first 2 shown]
	v_cmp_eq_u32_e32 vcc, 12, v19
	ds_read_b32 v23, v22
	v_cndmask_b32_e32 v24, v24, v14, vcc
	v_cmp_eq_u32_e32 vcc, 13, v19
	v_cndmask_b32_e32 v24, v24, v15, vcc
	v_cmp_eq_u32_e32 vcc, 14, v19
	;; [unrolled: 2-line block ×4, first 2 shown]
	v_cndmask_b32_e32 v24, v24, v18, vcc
	v_add_u32_e32 v22, 4, v22
	s_waitcnt lgkmcnt(0)
	v_fmac_f32_e32 v21, v24, v23
	s_andn2_b64 exec, exec, s[8:9]
	s_cbranch_execnz .LBB80_371
; %bb.372:
	s_or_b64 exec, exec, s[8:9]
.LBB80_373:
	s_or_b64 exec, exec, s[6:7]
	v_mov_b32_e32 v15, 0
	ds_read_b32 v15, v15 offset:52
	s_waitcnt lgkmcnt(0)
	v_mul_f32_e32 v15, v21, v15
.LBB80_374:
	s_or_b64 exec, exec, s[4:5]
	v_cmp_gt_u32_e32 vcc, 14, v0
	ds_write_b32 v100, v16
	s_waitcnt lgkmcnt(0)
	; wave barrier
	s_and_saveexec_b64 s[4:5], vcc
	s_cbranch_execz .LBB80_384
; %bb.375:
	s_and_b64 vcc, exec, s[0:1]
	s_cbranch_vccnz .LBB80_377
; %bb.376:
	v_cmp_eq_u32_e32 vcc, 1, v0
	v_cndmask_b32_e32 v19, v2, v3, vcc
	v_cmp_eq_u32_e32 vcc, 2, v0
	v_cndmask_b32_e32 v19, v19, v4, vcc
	;; [unrolled: 2-line block ×12, first 2 shown]
	v_cmp_eq_u32_e32 vcc, 13, v0
	ds_read_b32 v20, v100
	v_cndmask_b32_e32 v19, v19, v15, vcc
	v_cmp_eq_u32_e32 vcc, 14, v0
	v_cndmask_b32_e32 v19, v19, v16, vcc
	v_cmp_eq_u32_e32 vcc, 15, v0
	;; [unrolled: 2-line block ×3, first 2 shown]
	v_cndmask_b32_e32 v19, v19, v18, vcc
	s_waitcnt lgkmcnt(0)
	v_mul_f32_e32 v21, v19, v20
	s_cbranch_execz .LBB80_378
	s_branch .LBB80_379
.LBB80_377:
                                        ; implicit-def: $vgpr21
.LBB80_378:
	ds_read_b32 v21, v100
.LBB80_379:
	v_cmp_ne_u32_e32 vcc, 13, v0
	s_and_saveexec_b64 s[6:7], vcc
	s_cbranch_execz .LBB80_383
; %bb.380:
	v_mov_b32_e32 v19, 0x54
	v_lshl_add_u32 v22, v0, 2, v19
	v_mov_b32_e32 v20, v1
	s_mov_b64 s[8:9], 0
	v_mov_b32_e32 v19, v0
.LBB80_381:                             ; =>This Inner Loop Header: Depth=1
	v_add_co_u32_e32 v19, vcc, 1, v19
	v_addc_co_u32_e32 v20, vcc, 0, v20, vcc
	v_cmp_eq_u32_e32 vcc, 1, v19
	v_cndmask_b32_e32 v24, v2, v3, vcc
	v_cmp_lt_u32_e32 vcc, 12, v19
	v_cmp_eq_u32_e64 s[2:3], 2, v19
	v_cndmask_b32_e64 v24, v24, v4, s[2:3]
	s_or_b64 s[8:9], vcc, s[8:9]
	v_cmp_eq_u32_e32 vcc, 3, v19
	v_cndmask_b32_e32 v24, v24, v5, vcc
	v_cmp_eq_u32_e32 vcc, 4, v19
	v_cndmask_b32_e32 v24, v24, v6, vcc
	;; [unrolled: 2-line block ×9, first 2 shown]
	v_cmp_eq_u32_e32 vcc, 12, v19
	ds_read_b32 v23, v22
	v_cndmask_b32_e32 v24, v24, v14, vcc
	v_cmp_eq_u32_e32 vcc, 13, v19
	v_cndmask_b32_e32 v24, v24, v15, vcc
	v_cmp_eq_u32_e32 vcc, 14, v19
	;; [unrolled: 2-line block ×4, first 2 shown]
	v_cndmask_b32_e32 v24, v24, v18, vcc
	v_add_u32_e32 v22, 4, v22
	s_waitcnt lgkmcnt(0)
	v_fmac_f32_e32 v21, v24, v23
	s_andn2_b64 exec, exec, s[8:9]
	s_cbranch_execnz .LBB80_381
; %bb.382:
	s_or_b64 exec, exec, s[8:9]
.LBB80_383:
	s_or_b64 exec, exec, s[6:7]
	v_mov_b32_e32 v16, 0
	ds_read_b32 v16, v16 offset:56
	s_waitcnt lgkmcnt(0)
	v_mul_f32_e32 v16, v21, v16
.LBB80_384:
	s_or_b64 exec, exec, s[4:5]
	v_cmp_gt_u32_e64 s[2:3], 15, v0
	ds_write_b32 v100, v17
	s_waitcnt lgkmcnt(0)
	; wave barrier
	s_and_saveexec_b64 s[6:7], s[2:3]
	s_cbranch_execz .LBB80_394
; %bb.385:
	s_and_b64 vcc, exec, s[0:1]
	s_cbranch_vccnz .LBB80_387
; %bb.386:
	v_cmp_eq_u32_e32 vcc, 1, v0
	v_cndmask_b32_e32 v19, v2, v3, vcc
	v_cmp_eq_u32_e32 vcc, 2, v0
	v_cndmask_b32_e32 v19, v19, v4, vcc
	;; [unrolled: 2-line block ×12, first 2 shown]
	v_cmp_eq_u32_e32 vcc, 13, v0
	ds_read_b32 v20, v100
	v_cndmask_b32_e32 v19, v19, v15, vcc
	v_cmp_eq_u32_e32 vcc, 14, v0
	v_cndmask_b32_e32 v19, v19, v16, vcc
	v_cmp_eq_u32_e32 vcc, 15, v0
	;; [unrolled: 2-line block ×3, first 2 shown]
	v_cndmask_b32_e32 v19, v19, v18, vcc
	s_waitcnt lgkmcnt(0)
	v_mul_f32_e32 v21, v19, v20
	s_cbranch_execz .LBB80_388
	s_branch .LBB80_389
.LBB80_387:
                                        ; implicit-def: $vgpr21
.LBB80_388:
	ds_read_b32 v21, v100
.LBB80_389:
	v_cmp_ne_u32_e32 vcc, 14, v0
	s_and_saveexec_b64 s[8:9], vcc
	s_cbranch_execz .LBB80_393
; %bb.390:
	v_mov_b32_e32 v19, 0x54
	v_lshl_add_u32 v22, v0, 2, v19
	v_mov_b32_e32 v20, v1
	s_mov_b64 s[10:11], 0
	v_mov_b32_e32 v19, v0
.LBB80_391:                             ; =>This Inner Loop Header: Depth=1
	v_add_co_u32_e32 v19, vcc, 1, v19
	v_addc_co_u32_e32 v20, vcc, 0, v20, vcc
	v_cmp_eq_u32_e32 vcc, 1, v19
	v_cndmask_b32_e32 v24, v2, v3, vcc
	v_cmp_lt_u32_e32 vcc, 13, v19
	v_cmp_eq_u32_e64 s[4:5], 2, v19
	v_cndmask_b32_e64 v24, v24, v4, s[4:5]
	s_or_b64 s[10:11], vcc, s[10:11]
	v_cmp_eq_u32_e32 vcc, 3, v19
	v_cndmask_b32_e32 v24, v24, v5, vcc
	v_cmp_eq_u32_e32 vcc, 4, v19
	v_cndmask_b32_e32 v24, v24, v6, vcc
	;; [unrolled: 2-line block ×9, first 2 shown]
	v_cmp_eq_u32_e32 vcc, 12, v19
	ds_read_b32 v23, v22
	v_cndmask_b32_e32 v24, v24, v14, vcc
	v_cmp_eq_u32_e32 vcc, 13, v19
	v_cndmask_b32_e32 v24, v24, v15, vcc
	v_cmp_eq_u32_e32 vcc, 14, v19
	;; [unrolled: 2-line block ×4, first 2 shown]
	v_cndmask_b32_e32 v24, v24, v18, vcc
	v_add_u32_e32 v22, 4, v22
	s_waitcnt lgkmcnt(0)
	v_fmac_f32_e32 v21, v24, v23
	s_andn2_b64 exec, exec, s[10:11]
	s_cbranch_execnz .LBB80_391
; %bb.392:
	s_or_b64 exec, exec, s[10:11]
.LBB80_393:
	s_or_b64 exec, exec, s[8:9]
	v_mov_b32_e32 v17, 0
	ds_read_b32 v17, v17 offset:60
	s_waitcnt lgkmcnt(0)
	v_mul_f32_e32 v17, v21, v17
.LBB80_394:
	s_or_b64 exec, exec, s[6:7]
	v_cmp_ne_u32_e32 vcc, 16, v0
	ds_write_b32 v100, v18
	s_waitcnt lgkmcnt(0)
	; wave barrier
	s_and_saveexec_b64 s[4:5], vcc
	s_cbranch_execz .LBB80_404
; %bb.395:
	s_and_b64 vcc, exec, s[0:1]
	s_cbranch_vccnz .LBB80_397
; %bb.396:
	v_cmp_eq_u32_e32 vcc, 1, v0
	v_cndmask_b32_e32 v19, v2, v3, vcc
	v_cmp_eq_u32_e32 vcc, 2, v0
	v_cndmask_b32_e32 v19, v19, v4, vcc
	;; [unrolled: 2-line block ×12, first 2 shown]
	v_cmp_eq_u32_e32 vcc, 13, v0
	ds_read_b32 v20, v100
	v_cndmask_b32_e32 v19, v19, v15, vcc
	v_cmp_eq_u32_e32 vcc, 14, v0
	v_cndmask_b32_e32 v19, v19, v16, vcc
	v_cmp_eq_u32_e32 vcc, 15, v0
	;; [unrolled: 2-line block ×3, first 2 shown]
	v_cndmask_b32_e32 v19, v19, v18, vcc
	s_waitcnt lgkmcnt(0)
	v_mul_f32_e32 v19, v19, v20
	s_cbranch_execz .LBB80_398
	s_branch .LBB80_399
.LBB80_397:
                                        ; implicit-def: $vgpr19
.LBB80_398:
	ds_read_b32 v19, v100
.LBB80_399:
	s_and_saveexec_b64 s[6:7], s[2:3]
	s_cbranch_execz .LBB80_403
; %bb.400:
	v_mov_b32_e32 v20, 0x54
	v_lshl_add_u32 v20, v0, 2, v20
	s_mov_b64 s[2:3], 0
.LBB80_401:                             ; =>This Inner Loop Header: Depth=1
	v_add_co_u32_e32 v0, vcc, 1, v0
	v_addc_co_u32_e32 v1, vcc, 0, v1, vcc
	v_cmp_eq_u32_e32 vcc, 1, v0
	v_cndmask_b32_e32 v22, v2, v3, vcc
	v_cmp_lt_u32_e32 vcc, 14, v0
	v_cmp_eq_u32_e64 s[0:1], 2, v0
	v_cndmask_b32_e64 v22, v22, v4, s[0:1]
	s_or_b64 s[2:3], vcc, s[2:3]
	v_cmp_eq_u32_e32 vcc, 3, v0
	v_cndmask_b32_e32 v22, v22, v5, vcc
	v_cmp_eq_u32_e32 vcc, 4, v0
	v_cndmask_b32_e32 v22, v22, v6, vcc
	;; [unrolled: 2-line block ×9, first 2 shown]
	v_cmp_eq_u32_e32 vcc, 12, v0
	ds_read_b32 v21, v20
	v_cndmask_b32_e32 v22, v22, v14, vcc
	v_cmp_eq_u32_e32 vcc, 13, v0
	v_cndmask_b32_e32 v22, v22, v15, vcc
	v_cmp_eq_u32_e32 vcc, 14, v0
	;; [unrolled: 2-line block ×4, first 2 shown]
	v_cndmask_b32_e32 v22, v22, v18, vcc
	v_add_u32_e32 v20, 4, v20
	s_waitcnt lgkmcnt(0)
	v_fmac_f32_e32 v19, v22, v21
	s_andn2_b64 exec, exec, s[2:3]
	s_cbranch_execnz .LBB80_401
; %bb.402:
	s_or_b64 exec, exec, s[2:3]
.LBB80_403:
	s_or_b64 exec, exec, s[6:7]
	v_mov_b32_e32 v0, 0
	ds_read_b32 v0, v0 offset:64
	s_waitcnt lgkmcnt(0)
	v_mul_f32_e32 v18, v19, v0
.LBB80_404:
	s_or_b64 exec, exec, s[4:5]
	v_mov_b32_e32 v65, v33
	v_mov_b32_e32 v64, v32
	v_mov_b32_e32 v63, v31
	v_mov_b32_e32 v62, v30
	v_mov_b32_e32 v61, v29
	v_mov_b32_e32 v60, v28
	v_mov_b32_e32 v59, v27
	v_mov_b32_e32 v58, v26
	v_mov_b32_e32 v57, v25
	v_mov_b32_e32 v56, v24
	v_mov_b32_e32 v55, v23
	v_mov_b32_e32 v54, v22
	v_mov_b32_e32 v53, v21
	v_mov_b32_e32 v52, v20
	v_mov_b32_e32 v51, v19
	v_mov_b32_e32 v50, v18
	v_mov_b32_e32 v49, v17
	v_mov_b32_e32 v48, v16
	v_mov_b32_e32 v47, v15
	v_mov_b32_e32 v46, v14
	v_mov_b32_e32 v45, v13
	v_mov_b32_e32 v44, v12
	v_mov_b32_e32 v43, v11
	v_mov_b32_e32 v42, v10
	v_mov_b32_e32 v41, v9
	v_mov_b32_e32 v40, v8
	v_mov_b32_e32 v39, v7
	v_mov_b32_e32 v38, v6
	v_mov_b32_e32 v37, v5
	v_mov_b32_e32 v36, v4
	v_mov_b32_e32 v35, v3
	v_mov_b32_e32 v34, v2
.LBB80_405:
	flat_store_dword v[96:97], v34
	flat_store_dword v[98:99], v35
	;; [unrolled: 1-line block ×17, first 2 shown]
.LBB80_406:
	s_endpgm
	.section	.rodata,"a",@progbits
	.p2align	6, 0x0
	.amdhsa_kernel _ZN9rocsolver6v33100L18trti2_kernel_smallILi17EfPKPfEEv13rocblas_fill_17rocblas_diagonal_T1_iil
		.amdhsa_group_segment_fixed_size 148
		.amdhsa_private_segment_fixed_size 0
		.amdhsa_kernarg_size 32
		.amdhsa_user_sgpr_count 6
		.amdhsa_user_sgpr_private_segment_buffer 1
		.amdhsa_user_sgpr_dispatch_ptr 0
		.amdhsa_user_sgpr_queue_ptr 0
		.amdhsa_user_sgpr_kernarg_segment_ptr 1
		.amdhsa_user_sgpr_dispatch_id 0
		.amdhsa_user_sgpr_flat_scratch_init 0
		.amdhsa_user_sgpr_private_segment_size 0
		.amdhsa_uses_dynamic_stack 0
		.amdhsa_system_sgpr_private_segment_wavefront_offset 0
		.amdhsa_system_sgpr_workgroup_id_x 1
		.amdhsa_system_sgpr_workgroup_id_y 0
		.amdhsa_system_sgpr_workgroup_id_z 0
		.amdhsa_system_sgpr_workgroup_info 0
		.amdhsa_system_vgpr_workitem_id 0
		.amdhsa_next_free_vgpr 118
		.amdhsa_next_free_sgpr 42
		.amdhsa_reserve_vcc 1
		.amdhsa_reserve_flat_scratch 0
		.amdhsa_float_round_mode_32 0
		.amdhsa_float_round_mode_16_64 0
		.amdhsa_float_denorm_mode_32 3
		.amdhsa_float_denorm_mode_16_64 3
		.amdhsa_dx10_clamp 1
		.amdhsa_ieee_mode 1
		.amdhsa_fp16_overflow 0
		.amdhsa_exception_fp_ieee_invalid_op 0
		.amdhsa_exception_fp_denorm_src 0
		.amdhsa_exception_fp_ieee_div_zero 0
		.amdhsa_exception_fp_ieee_overflow 0
		.amdhsa_exception_fp_ieee_underflow 0
		.amdhsa_exception_fp_ieee_inexact 0
		.amdhsa_exception_int_div_zero 0
	.end_amdhsa_kernel
	.section	.text._ZN9rocsolver6v33100L18trti2_kernel_smallILi17EfPKPfEEv13rocblas_fill_17rocblas_diagonal_T1_iil,"axG",@progbits,_ZN9rocsolver6v33100L18trti2_kernel_smallILi17EfPKPfEEv13rocblas_fill_17rocblas_diagonal_T1_iil,comdat
.Lfunc_end80:
	.size	_ZN9rocsolver6v33100L18trti2_kernel_smallILi17EfPKPfEEv13rocblas_fill_17rocblas_diagonal_T1_iil, .Lfunc_end80-_ZN9rocsolver6v33100L18trti2_kernel_smallILi17EfPKPfEEv13rocblas_fill_17rocblas_diagonal_T1_iil
                                        ; -- End function
	.set _ZN9rocsolver6v33100L18trti2_kernel_smallILi17EfPKPfEEv13rocblas_fill_17rocblas_diagonal_T1_iil.num_vgpr, 118
	.set _ZN9rocsolver6v33100L18trti2_kernel_smallILi17EfPKPfEEv13rocblas_fill_17rocblas_diagonal_T1_iil.num_agpr, 0
	.set _ZN9rocsolver6v33100L18trti2_kernel_smallILi17EfPKPfEEv13rocblas_fill_17rocblas_diagonal_T1_iil.numbered_sgpr, 42
	.set _ZN9rocsolver6v33100L18trti2_kernel_smallILi17EfPKPfEEv13rocblas_fill_17rocblas_diagonal_T1_iil.num_named_barrier, 0
	.set _ZN9rocsolver6v33100L18trti2_kernel_smallILi17EfPKPfEEv13rocblas_fill_17rocblas_diagonal_T1_iil.private_seg_size, 0
	.set _ZN9rocsolver6v33100L18trti2_kernel_smallILi17EfPKPfEEv13rocblas_fill_17rocblas_diagonal_T1_iil.uses_vcc, 1
	.set _ZN9rocsolver6v33100L18trti2_kernel_smallILi17EfPKPfEEv13rocblas_fill_17rocblas_diagonal_T1_iil.uses_flat_scratch, 0
	.set _ZN9rocsolver6v33100L18trti2_kernel_smallILi17EfPKPfEEv13rocblas_fill_17rocblas_diagonal_T1_iil.has_dyn_sized_stack, 0
	.set _ZN9rocsolver6v33100L18trti2_kernel_smallILi17EfPKPfEEv13rocblas_fill_17rocblas_diagonal_T1_iil.has_recursion, 0
	.set _ZN9rocsolver6v33100L18trti2_kernel_smallILi17EfPKPfEEv13rocblas_fill_17rocblas_diagonal_T1_iil.has_indirect_call, 0
	.section	.AMDGPU.csdata,"",@progbits
; Kernel info:
; codeLenInByte = 20316
; TotalNumSgprs: 46
; NumVgprs: 118
; ScratchSize: 0
; MemoryBound: 0
; FloatMode: 240
; IeeeMode: 1
; LDSByteSize: 148 bytes/workgroup (compile time only)
; SGPRBlocks: 5
; VGPRBlocks: 29
; NumSGPRsForWavesPerEU: 46
; NumVGPRsForWavesPerEU: 118
; Occupancy: 2
; WaveLimiterHint : 1
; COMPUTE_PGM_RSRC2:SCRATCH_EN: 0
; COMPUTE_PGM_RSRC2:USER_SGPR: 6
; COMPUTE_PGM_RSRC2:TRAP_HANDLER: 0
; COMPUTE_PGM_RSRC2:TGID_X_EN: 1
; COMPUTE_PGM_RSRC2:TGID_Y_EN: 0
; COMPUTE_PGM_RSRC2:TGID_Z_EN: 0
; COMPUTE_PGM_RSRC2:TIDIG_COMP_CNT: 0
	.section	.text._ZN9rocsolver6v33100L18trti2_kernel_smallILi18EfPKPfEEv13rocblas_fill_17rocblas_diagonal_T1_iil,"axG",@progbits,_ZN9rocsolver6v33100L18trti2_kernel_smallILi18EfPKPfEEv13rocblas_fill_17rocblas_diagonal_T1_iil,comdat
	.globl	_ZN9rocsolver6v33100L18trti2_kernel_smallILi18EfPKPfEEv13rocblas_fill_17rocblas_diagonal_T1_iil ; -- Begin function _ZN9rocsolver6v33100L18trti2_kernel_smallILi18EfPKPfEEv13rocblas_fill_17rocblas_diagonal_T1_iil
	.p2align	8
	.type	_ZN9rocsolver6v33100L18trti2_kernel_smallILi18EfPKPfEEv13rocblas_fill_17rocblas_diagonal_T1_iil,@function
_ZN9rocsolver6v33100L18trti2_kernel_smallILi18EfPKPfEEv13rocblas_fill_17rocblas_diagonal_T1_iil: ; @_ZN9rocsolver6v33100L18trti2_kernel_smallILi18EfPKPfEEv13rocblas_fill_17rocblas_diagonal_T1_iil
; %bb.0:
	v_cmp_gt_u32_e32 vcc, 18, v0
	s_and_saveexec_b64 s[0:1], vcc
	s_cbranch_execz .LBB81_432
; %bb.1:
	s_load_dwordx2 s[0:1], s[4:5], 0x10
	s_load_dwordx4 s[40:43], s[4:5], 0x0
	s_ashr_i32 s7, s6, 31
	s_lshl_b64 s[2:3], s[6:7], 3
	v_lshlrev_b32_e32 v34, 2, v0
	s_waitcnt lgkmcnt(0)
	s_ashr_i32 s5, s0, 31
	s_add_u32 s2, s42, s2
	s_addc_u32 s3, s43, s3
	s_load_dwordx2 s[2:3], s[2:3], 0x0
	s_mov_b32 s4, s0
	s_lshl_b64 s[4:5], s[4:5], 2
	v_mov_b32_e32 v35, -1.0
	s_waitcnt lgkmcnt(0)
	s_add_u32 s0, s2, s4
	s_addc_u32 s2, s3, s5
	s_add_i32 s3, s1, s1
	v_add_u32_e32 v1, s3, v0
	v_ashrrev_i32_e32 v2, 31, v1
	v_lshlrev_b64 v[2:3], 2, v[1:2]
	v_add_u32_e32 v1, s1, v1
	v_mov_b32_e32 v4, s2
	v_add_co_u32_e32 v66, vcc, s0, v2
	v_ashrrev_i32_e32 v2, 31, v1
	v_addc_co_u32_e32 v67, vcc, v4, v3, vcc
	v_lshlrev_b64 v[2:3], 2, v[1:2]
	v_add_u32_e32 v1, s1, v1
	v_add_co_u32_e32 v68, vcc, s0, v2
	v_ashrrev_i32_e32 v2, 31, v1
	v_addc_co_u32_e32 v69, vcc, v4, v3, vcc
	v_lshlrev_b64 v[2:3], 2, v[1:2]
	v_add_u32_e32 v1, s1, v1
	;; [unrolled: 5-line block ×14, first 2 shown]
	v_add_co_u32_e32 v94, vcc, s0, v2
	v_ashrrev_i32_e32 v2, 31, v1
	v_lshlrev_b64 v[1:2], 2, v[1:2]
	v_addc_co_u32_e32 v95, vcc, v4, v3, vcc
	v_mov_b32_e32 v3, s2
	v_add_co_u32_e32 v96, vcc, s0, v1
	v_addc_co_u32_e32 v97, vcc, v3, v2, vcc
	v_mov_b32_e32 v1, s2
	v_add_co_u32_e32 v98, vcc, s0, v34
	s_ashr_i32 s3, s1, 31
	s_mov_b32 s2, s1
	v_addc_co_u32_e32 v99, vcc, 0, v1, vcc
	s_lshl_b64 s[0:1], s[2:3], 2
	v_mov_b32_e32 v1, s1
	v_add_co_u32_e32 v100, vcc, s0, v98
	v_addc_co_u32_e32 v101, vcc, v99, v1, vcc
	flat_load_dword v2, v[98:99]
	flat_load_dword v3, v[100:101]
	;; [unrolled: 1-line block ×18, first 2 shown]
	s_cmpk_lg_i32 s41, 0x84
	v_mov_b32_e32 v1, 0
	s_cselect_b64 s[38:39], -1, 0
	s_cmpk_eq_i32 s41, 0x84
	v_cmp_eq_u32_e64 s[0:1], 0, v0
	s_cbranch_scc1 .LBB81_3
; %bb.2:
	v_cmp_eq_u32_e64 s[2:3], 1, v0
	s_waitcnt vmcnt(0) lgkmcnt(0)
	v_cndmask_b32_e64 v20, v2, v3, s[2:3]
	v_cmp_eq_u32_e64 s[4:5], 2, v0
	v_cndmask_b32_e64 v20, v20, v4, s[4:5]
	v_cmp_eq_u32_e64 s[6:7], 3, v0
	;; [unrolled: 2-line block ×16, first 2 shown]
	v_cndmask_b32_e64 v20, v20, v19, s[36:37]
	v_div_scale_f32 v21, s[42:43], v20, v20, 1.0
	v_div_scale_f32 v22, vcc, 1.0, v20, 1.0
	v_rcp_f32_e32 v23, v21
	v_fma_f32 v24, -v21, v23, 1.0
	v_fmac_f32_e32 v23, v24, v23
	v_mul_f32_e32 v24, v22, v23
	v_fma_f32 v25, -v21, v24, v22
	v_fmac_f32_e32 v24, v25, v23
	v_fma_f32 v21, -v21, v24, v22
	v_div_fmas_f32 v21, v21, v23, v24
	v_div_fixup_f32 v20, v21, v20, 1.0
	v_cndmask_b32_e64 v19, v19, v20, s[36:37]
	v_cndmask_b32_e64 v18, v18, v20, s[34:35]
	;; [unrolled: 1-line block ×18, first 2 shown]
	v_xor_b32_e32 v35, 0x80000000, v20
.LBB81_3:
	s_cmpk_eq_i32 s40, 0x79
	v_add_u32_e32 v102, 0x50, v34
	ds_write_b32 v34, v35
	s_cbranch_scc1 .LBB81_7
; %bb.4:
	s_waitcnt vmcnt(0) lgkmcnt(0)
	v_mov_b32_e32 v65, v33
	v_mov_b32_e32 v64, v32
	;; [unrolled: 1-line block ×32, first 2 shown]
	v_cmp_eq_u32_e64 s[0:1], 17, v0
	ds_write_b32 v102, v18
	s_waitcnt lgkmcnt(0)
	; wave barrier
	s_and_saveexec_b64 s[2:3], s[0:1]
	s_cbranch_execz .LBB81_11
; %bb.5:
	s_and_b64 vcc, exec, s[38:39]
	s_cbranch_vccz .LBB81_8
; %bb.6:
	v_cmp_eq_u32_e32 vcc, 1, v0
	v_cndmask_b32_e32 v34, v2, v3, vcc
	v_cmp_eq_u32_e32 vcc, 2, v0
	v_cndmask_b32_e32 v34, v34, v4, vcc
	;; [unrolled: 2-line block ×13, first 2 shown]
	v_cmp_eq_u32_e32 vcc, 14, v0
	ds_read_b32 v35, v102
	v_cndmask_b32_e32 v34, v34, v16, vcc
	v_cmp_eq_u32_e32 vcc, 15, v0
	v_cndmask_b32_e32 v34, v34, v17, vcc
	v_cmp_eq_u32_e32 vcc, 16, v0
	;; [unrolled: 2-line block ×3, first 2 shown]
	v_cndmask_b32_e32 v34, v34, v19, vcc
	s_waitcnt lgkmcnt(0)
	v_mul_f32_e32 v38, v34, v35
	s_cbranch_execz .LBB81_9
	s_branch .LBB81_10
.LBB81_7:
                                        ; implicit-def: $vgpr34_vgpr35_vgpr36_vgpr37_vgpr38_vgpr39_vgpr40_vgpr41_vgpr42_vgpr43_vgpr44_vgpr45_vgpr46_vgpr47_vgpr48_vgpr49_vgpr50_vgpr51_vgpr52_vgpr53_vgpr54_vgpr55_vgpr56_vgpr57_vgpr58_vgpr59_vgpr60_vgpr61_vgpr62_vgpr63_vgpr64_vgpr65
	s_cbranch_execnz .LBB81_258
	s_branch .LBB81_431
.LBB81_8:
                                        ; implicit-def: $vgpr38
.LBB81_9:
	ds_read_b32 v38, v102
.LBB81_10:
	v_mov_b32_e32 v34, 0
	ds_read_b32 v39, v34 offset:64
	v_mov_b32_e32 v34, v2
	v_mov_b32_e32 v35, v3
	;; [unrolled: 1-line block ×4, first 2 shown]
	s_waitcnt lgkmcnt(0)
	v_mul_f32_e32 v50, v38, v39
	v_mov_b32_e32 v38, v6
	v_mov_b32_e32 v39, v7
	;; [unrolled: 1-line block ×13, first 2 shown]
.LBB81_11:
	s_or_b64 exec, exec, s[2:3]
	v_cmp_lt_u32_e64 s[2:3], 15, v0
	ds_write_b32 v102, v49
	s_waitcnt lgkmcnt(0)
	; wave barrier
	s_and_saveexec_b64 s[4:5], s[2:3]
	s_cbranch_execz .LBB81_17
; %bb.12:
	s_andn2_b64 vcc, exec, s[38:39]
	s_cbranch_vccnz .LBB81_14
; %bb.13:
	v_cmp_eq_u32_e32 vcc, 1, v0
	v_cndmask_b32_e32 v52, v34, v35, vcc
	v_cmp_eq_u32_e32 vcc, 2, v0
	v_cndmask_b32_e32 v52, v52, v36, vcc
	;; [unrolled: 2-line block ×15, first 2 shown]
	ds_read_b32 v52, v102
	v_cmp_eq_u32_e32 vcc, 16, v0
	v_cndmask_b32_e32 v49, v49, v50, vcc
	v_cmp_eq_u32_e32 vcc, 17, v0
	v_cndmask_b32_e32 v49, v49, v51, vcc
	s_waitcnt lgkmcnt(0)
	v_mul_f32_e32 v49, v49, v52
	s_cbranch_execz .LBB81_15
	s_branch .LBB81_16
.LBB81_14:
                                        ; implicit-def: $vgpr49
.LBB81_15:
	ds_read_b32 v49, v102
.LBB81_16:
	v_mov_b32_e32 v52, 0
	ds_read2_b32 v[52:53], v52 offset0:15 offset1:36
	s_waitcnt lgkmcnt(0)
	v_fma_f32 v53, v50, v53, v49
	v_cndmask_b32_e64 v49, v49, v53, s[0:1]
	v_mul_f32_e32 v49, v49, v52
.LBB81_17:
	s_or_b64 exec, exec, s[4:5]
	v_cmp_lt_u32_e64 s[0:1], 14, v0
	ds_write_b32 v102, v48
	s_waitcnt lgkmcnt(0)
	; wave barrier
	s_and_saveexec_b64 s[4:5], s[0:1]
	s_cbranch_execz .LBB81_33
; %bb.18:
	s_andn2_b64 vcc, exec, s[38:39]
	s_cbranch_vccnz .LBB81_20
; %bb.19:
	v_cmp_eq_u32_e32 vcc, 1, v0
	v_cndmask_b32_e32 v103, v34, v35, vcc
	v_cmp_eq_u32_e32 vcc, 2, v0
	v_cndmask_b32_e32 v103, v103, v36, vcc
	;; [unrolled: 2-line block ×13, first 2 shown]
	v_cmp_eq_u32_e32 vcc, 14, v0
	ds_read_b32 v104, v102
	v_cndmask_b32_e32 v103, v103, v48, vcc
	v_cmp_eq_u32_e32 vcc, 15, v0
	v_cndmask_b32_e32 v103, v103, v49, vcc
	v_cmp_eq_u32_e32 vcc, 16, v0
	;; [unrolled: 2-line block ×3, first 2 shown]
	v_cndmask_b32_e32 v103, v103, v51, vcc
	s_waitcnt lgkmcnt(0)
	v_mul_f32_e32 v103, v103, v104
	s_cbranch_execz .LBB81_21
	s_branch .LBB81_22
.LBB81_20:
                                        ; implicit-def: $vgpr103
.LBB81_21:
	ds_read_b32 v103, v102
.LBB81_22:
	s_and_saveexec_b64 s[6:7], s[2:3]
	s_cbranch_execz .LBB81_32
; %bb.23:
	v_add_u32_e32 v104, -16, v0
	v_add_u32_e32 v105, -15, v0
	v_cmp_lt_u32_e32 vcc, 6, v104
	v_mov_b32_e32 v104, 15
	s_and_saveexec_b64 s[2:3], vcc
	s_cbranch_execz .LBB81_27
; %bb.24:
	v_and_b32_e32 v104, -8, v105
	v_sub_u32_e32 v106, 0, v104
	s_mov_b64 s[8:9], 22
	s_movk_i32 s12, 0x8c
	s_mov_b64 s[10:11], 0
.LBB81_25:                              ; =>This Inner Loop Header: Depth=1
	s_add_i32 s13, s8, -7
	v_mov_b32_e32 v104, s12
	s_add_i32 s14, s8, -6
	s_set_gpr_idx_on s13, gpr_idx(SRC0)
	v_mov_b32_e32 v113, v34
	s_set_gpr_idx_off
	ds_read2_b32 v[107:108], v104 offset1:1
	s_add_i32 s15, s8, -5
	s_set_gpr_idx_on s14, gpr_idx(SRC0)
	v_mov_b32_e32 v114, v34
	s_set_gpr_idx_off
	s_add_i32 s16, s8, -4
	s_set_gpr_idx_on s15, gpr_idx(SRC0)
	v_mov_b32_e32 v115, v34
	s_set_gpr_idx_off
	ds_read2_b32 v[109:110], v104 offset0:2 offset1:3
	s_add_i32 s17, s8, -3
	s_set_gpr_idx_on s16, gpr_idx(SRC0)
	v_mov_b32_e32 v116, v34
	s_set_gpr_idx_off
	s_add_i32 s18, s8, -2
	s_set_gpr_idx_on s17, gpr_idx(SRC0)
	v_mov_b32_e32 v117, v34
	s_set_gpr_idx_off
	ds_read2_b32 v[111:112], v104 offset0:4 offset1:5
	s_add_i32 s19, s8, -1
	s_waitcnt lgkmcnt(2)
	v_fmac_f32_e32 v103, v113, v107
	s_set_gpr_idx_on s18, gpr_idx(SRC0)
	v_mov_b32_e32 v113, v34
	s_set_gpr_idx_off
	v_fmac_f32_e32 v103, v114, v108
	s_set_gpr_idx_on s19, gpr_idx(SRC0)
	v_mov_b32_e32 v114, v34
	s_set_gpr_idx_off
	ds_read2_b32 v[107:108], v104 offset0:6 offset1:7
	s_waitcnt lgkmcnt(2)
	v_fmac_f32_e32 v103, v115, v109
	s_set_gpr_idx_on s8, gpr_idx(SRC0)
	v_mov_b32_e32 v109, v34
	s_set_gpr_idx_off
	v_fmac_f32_e32 v103, v116, v110
	s_add_u32 s8, s8, 8
	s_waitcnt lgkmcnt(1)
	v_fmac_f32_e32 v103, v117, v111
	v_add_u32_e32 v104, s8, v106
	v_fmac_f32_e32 v103, v113, v112
	s_addc_u32 s9, s9, 0
	s_add_i32 s12, s12, 32
	s_add_i32 s13, s8, -7
	v_cmp_eq_u32_e32 vcc, 22, v104
	s_waitcnt lgkmcnt(0)
	v_fmac_f32_e32 v103, v114, v107
	v_mov_b32_e32 v104, s13
	s_or_b64 s[10:11], vcc, s[10:11]
	v_fmac_f32_e32 v103, v109, v108
	s_andn2_b64 exec, exec, s[10:11]
	s_cbranch_execnz .LBB81_25
; %bb.26:
	s_or_b64 exec, exec, s[10:11]
.LBB81_27:
	s_or_b64 exec, exec, s[2:3]
	v_and_b32_e32 v52, 7, v105
	v_cmp_ne_u32_e32 vcc, 0, v52
	s_and_saveexec_b64 s[8:9], vcc
	s_cbranch_execz .LBB81_31
; %bb.28:
	v_mov_b32_e32 v53, 0x50
	v_lshl_add_u32 v53, v104, 2, v53
	v_mov_b32_e32 v54, 0
	s_mov_b64 s[10:11], 0
.LBB81_29:                              ; =>This Inner Loop Header: Depth=1
	v_cmp_eq_u32_e32 vcc, 1, v104
	v_cndmask_b32_e32 v55, v34, v35, vcc
	v_add_u32_e32 v52, -1, v52
	v_cmp_eq_u32_e32 vcc, 2, v104
	v_cndmask_b32_e32 v55, v55, v36, vcc
	v_cmp_eq_u32_e32 vcc, 0, v52
	v_cmp_eq_u32_e64 s[2:3], 3, v104
	v_cndmask_b32_e64 v55, v55, v37, s[2:3]
	s_or_b64 s[10:11], vcc, s[10:11]
	v_cmp_eq_u32_e32 vcc, 4, v104
	v_cndmask_b32_e32 v55, v55, v38, vcc
	v_cmp_eq_u32_e32 vcc, 5, v104
	v_cndmask_b32_e32 v55, v55, v39, vcc
	;; [unrolled: 2-line block ×9, first 2 shown]
	v_cmp_eq_u32_e32 vcc, 13, v104
	ds_read_b32 v56, v53
	v_cndmask_b32_e32 v55, v55, v47, vcc
	v_cmp_eq_u32_e32 vcc, 14, v104
	v_cndmask_b32_e32 v55, v55, v48, vcc
	v_cmp_eq_u32_e32 vcc, 15, v104
	;; [unrolled: 2-line block ×4, first 2 shown]
	v_add_co_u32_e64 v104, s[2:3], 1, v104
	v_cndmask_b32_e32 v55, v55, v51, vcc
	v_add_u32_e32 v53, 4, v53
	v_addc_co_u32_e64 v54, s[2:3], 0, v54, s[2:3]
	s_waitcnt lgkmcnt(0)
	v_fmac_f32_e32 v103, v55, v56
	s_andn2_b64 exec, exec, s[10:11]
	s_cbranch_execnz .LBB81_29
; %bb.30:
	s_or_b64 exec, exec, s[10:11]
.LBB81_31:
	s_or_b64 exec, exec, s[8:9]
.LBB81_32:
	s_or_b64 exec, exec, s[6:7]
	v_mov_b32_e32 v48, 0
	ds_read_b32 v48, v48 offset:56
	s_waitcnt lgkmcnt(0)
	v_mul_f32_e32 v48, v103, v48
.LBB81_33:
	s_or_b64 exec, exec, s[4:5]
	v_cmp_lt_u32_e64 s[2:3], 13, v0
	ds_write_b32 v102, v47
	s_waitcnt lgkmcnt(0)
	; wave barrier
	s_and_saveexec_b64 s[4:5], s[2:3]
	s_cbranch_execz .LBB81_49
; %bb.34:
	s_andn2_b64 vcc, exec, s[38:39]
	s_cbranch_vccnz .LBB81_36
; %bb.35:
	v_cmp_eq_u32_e32 vcc, 1, v0
	v_cndmask_b32_e32 v103, v34, v35, vcc
	v_cmp_eq_u32_e32 vcc, 2, v0
	v_cndmask_b32_e32 v103, v103, v36, vcc
	;; [unrolled: 2-line block ×13, first 2 shown]
	v_cmp_eq_u32_e32 vcc, 14, v0
	ds_read_b32 v104, v102
	v_cndmask_b32_e32 v103, v103, v48, vcc
	v_cmp_eq_u32_e32 vcc, 15, v0
	v_cndmask_b32_e32 v103, v103, v49, vcc
	v_cmp_eq_u32_e32 vcc, 16, v0
	;; [unrolled: 2-line block ×3, first 2 shown]
	v_cndmask_b32_e32 v103, v103, v51, vcc
	s_waitcnt lgkmcnt(0)
	v_mul_f32_e32 v103, v103, v104
	s_cbranch_execz .LBB81_37
	s_branch .LBB81_38
.LBB81_36:
                                        ; implicit-def: $vgpr103
.LBB81_37:
	ds_read_b32 v103, v102
.LBB81_38:
	s_and_saveexec_b64 s[6:7], s[0:1]
	s_cbranch_execz .LBB81_48
; %bb.39:
	v_add_u32_e32 v104, -15, v0
	v_add_u32_e32 v105, -14, v0
	v_cmp_lt_u32_e32 vcc, 6, v104
	v_mov_b32_e32 v104, 14
	s_and_saveexec_b64 s[0:1], vcc
	s_cbranch_execz .LBB81_43
; %bb.40:
	v_and_b32_e32 v104, -8, v105
	v_sub_u32_e32 v106, 0, v104
	s_mov_b64 s[8:9], 21
	s_movk_i32 s12, 0x88
	s_mov_b64 s[10:11], 0
.LBB81_41:                              ; =>This Inner Loop Header: Depth=1
	s_add_i32 s13, s8, -7
	v_mov_b32_e32 v104, s12
	s_add_i32 s14, s8, -6
	s_set_gpr_idx_on s13, gpr_idx(SRC0)
	v_mov_b32_e32 v115, v34
	s_set_gpr_idx_off
	ds_read2_b64 v[107:110], v104 offset1:1
	s_add_i32 s15, s8, -5
	s_set_gpr_idx_on s14, gpr_idx(SRC0)
	v_mov_b32_e32 v116, v34
	s_set_gpr_idx_off
	s_add_i32 s16, s8, -4
	s_set_gpr_idx_on s15, gpr_idx(SRC0)
	v_mov_b32_e32 v117, v34
	s_set_gpr_idx_off
	;; [unrolled: 4-line block ×4, first 2 shown]
	ds_read2_b64 v[111:114], v104 offset0:2 offset1:3
	s_add_i32 s19, s8, -1
	s_waitcnt lgkmcnt(1)
	v_fmac_f32_e32 v103, v115, v107
	s_set_gpr_idx_on s18, gpr_idx(SRC0)
	v_mov_b32_e32 v107, v34
	s_set_gpr_idx_off
	v_fmac_f32_e32 v103, v116, v108
	s_set_gpr_idx_on s19, gpr_idx(SRC0)
	v_mov_b32_e32 v108, v34
	s_set_gpr_idx_off
	;; [unrolled: 4-line block ×3, first 2 shown]
	v_fmac_f32_e32 v103, v118, v110
	s_add_u32 s8, s8, 8
	s_waitcnt lgkmcnt(0)
	v_fmac_f32_e32 v103, v119, v111
	v_add_u32_e32 v104, s8, v106
	v_fmac_f32_e32 v103, v107, v112
	s_addc_u32 s9, s9, 0
	s_add_i32 s12, s12, 32
	s_add_i32 s13, s8, -7
	v_cmp_eq_u32_e32 vcc, 21, v104
	v_fmac_f32_e32 v103, v108, v113
	v_mov_b32_e32 v104, s13
	s_or_b64 s[10:11], vcc, s[10:11]
	v_fmac_f32_e32 v103, v109, v114
	s_andn2_b64 exec, exec, s[10:11]
	s_cbranch_execnz .LBB81_41
; %bb.42:
	s_or_b64 exec, exec, s[10:11]
.LBB81_43:
	s_or_b64 exec, exec, s[0:1]
	v_and_b32_e32 v52, 7, v105
	v_cmp_ne_u32_e32 vcc, 0, v52
	s_and_saveexec_b64 s[8:9], vcc
	s_cbranch_execz .LBB81_47
; %bb.44:
	v_mov_b32_e32 v53, 0x50
	v_lshl_add_u32 v53, v104, 2, v53
	v_mov_b32_e32 v54, 0
	s_mov_b64 s[10:11], 0
.LBB81_45:                              ; =>This Inner Loop Header: Depth=1
	v_cmp_eq_u32_e32 vcc, 1, v104
	v_cndmask_b32_e32 v55, v34, v35, vcc
	v_add_u32_e32 v52, -1, v52
	v_cmp_eq_u32_e32 vcc, 2, v104
	v_cndmask_b32_e32 v55, v55, v36, vcc
	v_cmp_eq_u32_e32 vcc, 0, v52
	v_cmp_eq_u32_e64 s[0:1], 3, v104
	v_cndmask_b32_e64 v55, v55, v37, s[0:1]
	s_or_b64 s[10:11], vcc, s[10:11]
	v_cmp_eq_u32_e32 vcc, 4, v104
	v_cndmask_b32_e32 v55, v55, v38, vcc
	v_cmp_eq_u32_e32 vcc, 5, v104
	v_cndmask_b32_e32 v55, v55, v39, vcc
	;; [unrolled: 2-line block ×9, first 2 shown]
	v_cmp_eq_u32_e32 vcc, 13, v104
	ds_read_b32 v56, v53
	v_cndmask_b32_e32 v55, v55, v47, vcc
	v_cmp_eq_u32_e32 vcc, 14, v104
	v_cndmask_b32_e32 v55, v55, v48, vcc
	v_cmp_eq_u32_e32 vcc, 15, v104
	;; [unrolled: 2-line block ×4, first 2 shown]
	v_add_co_u32_e64 v104, s[0:1], 1, v104
	v_cndmask_b32_e32 v55, v55, v51, vcc
	v_add_u32_e32 v53, 4, v53
	v_addc_co_u32_e64 v54, s[0:1], 0, v54, s[0:1]
	s_waitcnt lgkmcnt(0)
	v_fmac_f32_e32 v103, v55, v56
	s_andn2_b64 exec, exec, s[10:11]
	s_cbranch_execnz .LBB81_45
; %bb.46:
	s_or_b64 exec, exec, s[10:11]
.LBB81_47:
	s_or_b64 exec, exec, s[8:9]
.LBB81_48:
	s_or_b64 exec, exec, s[6:7]
	v_mov_b32_e32 v47, 0
	ds_read_b32 v47, v47 offset:52
	s_waitcnt lgkmcnt(0)
	v_mul_f32_e32 v47, v103, v47
.LBB81_49:
	s_or_b64 exec, exec, s[4:5]
	v_cmp_lt_u32_e64 s[0:1], 12, v0
	ds_write_b32 v102, v46
	s_waitcnt lgkmcnt(0)
	; wave barrier
	s_and_saveexec_b64 s[4:5], s[0:1]
	s_cbranch_execz .LBB81_65
; %bb.50:
	s_andn2_b64 vcc, exec, s[38:39]
	s_cbranch_vccnz .LBB81_52
; %bb.51:
	v_cmp_eq_u32_e32 vcc, 1, v0
	v_cndmask_b32_e32 v103, v34, v35, vcc
	v_cmp_eq_u32_e32 vcc, 2, v0
	v_cndmask_b32_e32 v103, v103, v36, vcc
	;; [unrolled: 2-line block ×13, first 2 shown]
	v_cmp_eq_u32_e32 vcc, 14, v0
	ds_read_b32 v104, v102
	v_cndmask_b32_e32 v103, v103, v48, vcc
	v_cmp_eq_u32_e32 vcc, 15, v0
	v_cndmask_b32_e32 v103, v103, v49, vcc
	v_cmp_eq_u32_e32 vcc, 16, v0
	;; [unrolled: 2-line block ×3, first 2 shown]
	v_cndmask_b32_e32 v103, v103, v51, vcc
	s_waitcnt lgkmcnt(0)
	v_mul_f32_e32 v103, v103, v104
	s_cbranch_execz .LBB81_53
	s_branch .LBB81_54
.LBB81_52:
                                        ; implicit-def: $vgpr103
.LBB81_53:
	ds_read_b32 v103, v102
.LBB81_54:
	s_and_saveexec_b64 s[6:7], s[2:3]
	s_cbranch_execz .LBB81_64
; %bb.55:
	v_add_u32_e32 v104, -14, v0
	v_add_u32_e32 v105, -13, v0
	v_cmp_lt_u32_e32 vcc, 6, v104
	v_mov_b32_e32 v104, 13
	s_and_saveexec_b64 s[2:3], vcc
	s_cbranch_execz .LBB81_59
; %bb.56:
	v_and_b32_e32 v104, -8, v105
	v_sub_u32_e32 v106, 0, v104
	s_mov_b64 s[8:9], 20
	s_movk_i32 s12, 0x84
	s_mov_b64 s[10:11], 0
.LBB81_57:                              ; =>This Inner Loop Header: Depth=1
	s_add_i32 s13, s8, -7
	v_mov_b32_e32 v104, s12
	s_add_i32 s14, s8, -6
	s_set_gpr_idx_on s13, gpr_idx(SRC0)
	v_mov_b32_e32 v113, v34
	s_set_gpr_idx_off
	ds_read2_b32 v[107:108], v104 offset1:1
	s_add_i32 s15, s8, -5
	s_set_gpr_idx_on s14, gpr_idx(SRC0)
	v_mov_b32_e32 v114, v34
	s_set_gpr_idx_off
	s_add_i32 s16, s8, -4
	s_set_gpr_idx_on s15, gpr_idx(SRC0)
	v_mov_b32_e32 v115, v34
	s_set_gpr_idx_off
	ds_read2_b32 v[109:110], v104 offset0:2 offset1:3
	s_add_i32 s17, s8, -3
	s_set_gpr_idx_on s16, gpr_idx(SRC0)
	v_mov_b32_e32 v116, v34
	s_set_gpr_idx_off
	s_add_i32 s18, s8, -2
	s_set_gpr_idx_on s17, gpr_idx(SRC0)
	v_mov_b32_e32 v117, v34
	s_set_gpr_idx_off
	ds_read2_b32 v[111:112], v104 offset0:4 offset1:5
	s_add_i32 s19, s8, -1
	s_waitcnt lgkmcnt(2)
	v_fmac_f32_e32 v103, v113, v107
	s_set_gpr_idx_on s18, gpr_idx(SRC0)
	v_mov_b32_e32 v113, v34
	s_set_gpr_idx_off
	v_fmac_f32_e32 v103, v114, v108
	s_set_gpr_idx_on s19, gpr_idx(SRC0)
	v_mov_b32_e32 v114, v34
	s_set_gpr_idx_off
	ds_read2_b32 v[107:108], v104 offset0:6 offset1:7
	s_waitcnt lgkmcnt(2)
	v_fmac_f32_e32 v103, v115, v109
	s_set_gpr_idx_on s8, gpr_idx(SRC0)
	v_mov_b32_e32 v109, v34
	s_set_gpr_idx_off
	v_fmac_f32_e32 v103, v116, v110
	s_add_u32 s8, s8, 8
	s_waitcnt lgkmcnt(1)
	v_fmac_f32_e32 v103, v117, v111
	v_add_u32_e32 v104, s8, v106
	v_fmac_f32_e32 v103, v113, v112
	s_addc_u32 s9, s9, 0
	s_add_i32 s12, s12, 32
	s_add_i32 s13, s8, -7
	v_cmp_eq_u32_e32 vcc, 20, v104
	s_waitcnt lgkmcnt(0)
	v_fmac_f32_e32 v103, v114, v107
	v_mov_b32_e32 v104, s13
	s_or_b64 s[10:11], vcc, s[10:11]
	v_fmac_f32_e32 v103, v109, v108
	s_andn2_b64 exec, exec, s[10:11]
	s_cbranch_execnz .LBB81_57
; %bb.58:
	s_or_b64 exec, exec, s[10:11]
.LBB81_59:
	s_or_b64 exec, exec, s[2:3]
	v_and_b32_e32 v52, 7, v105
	v_cmp_ne_u32_e32 vcc, 0, v52
	s_and_saveexec_b64 s[8:9], vcc
	s_cbranch_execz .LBB81_63
; %bb.60:
	v_mov_b32_e32 v53, 0x50
	v_lshl_add_u32 v53, v104, 2, v53
	v_mov_b32_e32 v54, 0
	s_mov_b64 s[10:11], 0
.LBB81_61:                              ; =>This Inner Loop Header: Depth=1
	v_cmp_eq_u32_e32 vcc, 1, v104
	v_cndmask_b32_e32 v55, v34, v35, vcc
	v_add_u32_e32 v52, -1, v52
	v_cmp_eq_u32_e32 vcc, 2, v104
	v_cndmask_b32_e32 v55, v55, v36, vcc
	v_cmp_eq_u32_e32 vcc, 0, v52
	v_cmp_eq_u32_e64 s[2:3], 3, v104
	v_cndmask_b32_e64 v55, v55, v37, s[2:3]
	s_or_b64 s[10:11], vcc, s[10:11]
	v_cmp_eq_u32_e32 vcc, 4, v104
	v_cndmask_b32_e32 v55, v55, v38, vcc
	v_cmp_eq_u32_e32 vcc, 5, v104
	v_cndmask_b32_e32 v55, v55, v39, vcc
	;; [unrolled: 2-line block ×9, first 2 shown]
	v_cmp_eq_u32_e32 vcc, 13, v104
	ds_read_b32 v56, v53
	v_cndmask_b32_e32 v55, v55, v47, vcc
	v_cmp_eq_u32_e32 vcc, 14, v104
	v_cndmask_b32_e32 v55, v55, v48, vcc
	v_cmp_eq_u32_e32 vcc, 15, v104
	;; [unrolled: 2-line block ×4, first 2 shown]
	v_add_co_u32_e64 v104, s[2:3], 1, v104
	v_cndmask_b32_e32 v55, v55, v51, vcc
	v_add_u32_e32 v53, 4, v53
	v_addc_co_u32_e64 v54, s[2:3], 0, v54, s[2:3]
	s_waitcnt lgkmcnt(0)
	v_fmac_f32_e32 v103, v55, v56
	s_andn2_b64 exec, exec, s[10:11]
	s_cbranch_execnz .LBB81_61
; %bb.62:
	s_or_b64 exec, exec, s[10:11]
.LBB81_63:
	s_or_b64 exec, exec, s[8:9]
.LBB81_64:
	s_or_b64 exec, exec, s[6:7]
	v_mov_b32_e32 v46, 0
	ds_read_b32 v46, v46 offset:48
	s_waitcnt lgkmcnt(0)
	v_mul_f32_e32 v46, v103, v46
.LBB81_65:
	s_or_b64 exec, exec, s[4:5]
	v_cmp_lt_u32_e64 s[2:3], 11, v0
	ds_write_b32 v102, v45
	s_waitcnt lgkmcnt(0)
	; wave barrier
	s_and_saveexec_b64 s[4:5], s[2:3]
	s_cbranch_execz .LBB81_81
; %bb.66:
	s_andn2_b64 vcc, exec, s[38:39]
	s_cbranch_vccnz .LBB81_68
; %bb.67:
	v_cmp_eq_u32_e32 vcc, 1, v0
	v_cndmask_b32_e32 v103, v34, v35, vcc
	v_cmp_eq_u32_e32 vcc, 2, v0
	v_cndmask_b32_e32 v103, v103, v36, vcc
	;; [unrolled: 2-line block ×13, first 2 shown]
	v_cmp_eq_u32_e32 vcc, 14, v0
	ds_read_b32 v104, v102
	v_cndmask_b32_e32 v103, v103, v48, vcc
	v_cmp_eq_u32_e32 vcc, 15, v0
	v_cndmask_b32_e32 v103, v103, v49, vcc
	v_cmp_eq_u32_e32 vcc, 16, v0
	;; [unrolled: 2-line block ×3, first 2 shown]
	v_cndmask_b32_e32 v103, v103, v51, vcc
	s_waitcnt lgkmcnt(0)
	v_mul_f32_e32 v103, v103, v104
	s_cbranch_execz .LBB81_69
	s_branch .LBB81_70
.LBB81_68:
                                        ; implicit-def: $vgpr103
.LBB81_69:
	ds_read_b32 v103, v102
.LBB81_70:
	s_and_saveexec_b64 s[6:7], s[0:1]
	s_cbranch_execz .LBB81_80
; %bb.71:
	v_add_u32_e32 v104, -13, v0
	v_add_u32_e32 v105, -12, v0
	v_cmp_lt_u32_e32 vcc, 6, v104
	v_mov_b32_e32 v104, 12
	s_and_saveexec_b64 s[0:1], vcc
	s_cbranch_execz .LBB81_75
; %bb.72:
	v_and_b32_e32 v104, -8, v105
	v_sub_u32_e32 v106, 0, v104
	s_mov_b64 s[8:9], 19
	s_movk_i32 s12, 0x80
	s_mov_b64 s[10:11], 0
.LBB81_73:                              ; =>This Inner Loop Header: Depth=1
	s_add_i32 s13, s8, -7
	v_mov_b32_e32 v104, s12
	s_add_i32 s14, s8, -6
	s_set_gpr_idx_on s13, gpr_idx(SRC0)
	v_mov_b32_e32 v115, v34
	s_set_gpr_idx_off
	s_add_i32 s15, s8, -5
	ds_read_b128 v[107:110], v104
	ds_read_b128 v[111:114], v104 offset:16
	s_set_gpr_idx_on s14, gpr_idx(SRC0)
	v_mov_b32_e32 v104, v34
	s_set_gpr_idx_off
	s_add_i32 s16, s8, -4
	s_set_gpr_idx_on s15, gpr_idx(SRC0)
	v_mov_b32_e32 v116, v34
	s_set_gpr_idx_off
	s_add_i32 s17, s8, -3
	;; [unrolled: 4-line block ×4, first 2 shown]
	s_waitcnt lgkmcnt(1)
	v_fmac_f32_e32 v103, v115, v107
	s_set_gpr_idx_on s18, gpr_idx(SRC0)
	v_mov_b32_e32 v107, v34
	s_set_gpr_idx_off
	v_fmac_f32_e32 v103, v104, v108
	s_set_gpr_idx_on s19, gpr_idx(SRC0)
	v_mov_b32_e32 v108, v34
	s_set_gpr_idx_off
	;; [unrolled: 4-line block ×3, first 2 shown]
	v_fmac_f32_e32 v103, v117, v110
	s_add_u32 s8, s8, 8
	s_waitcnt lgkmcnt(0)
	v_fmac_f32_e32 v103, v118, v111
	v_add_u32_e32 v104, s8, v106
	v_fmac_f32_e32 v103, v107, v112
	s_addc_u32 s9, s9, 0
	s_add_i32 s12, s12, 32
	s_add_i32 s13, s8, -7
	v_cmp_eq_u32_e32 vcc, 19, v104
	v_fmac_f32_e32 v103, v108, v113
	v_mov_b32_e32 v104, s13
	s_or_b64 s[10:11], vcc, s[10:11]
	v_fmac_f32_e32 v103, v109, v114
	s_andn2_b64 exec, exec, s[10:11]
	s_cbranch_execnz .LBB81_73
; %bb.74:
	s_or_b64 exec, exec, s[10:11]
.LBB81_75:
	s_or_b64 exec, exec, s[0:1]
	v_and_b32_e32 v52, 7, v105
	v_cmp_ne_u32_e32 vcc, 0, v52
	s_and_saveexec_b64 s[8:9], vcc
	s_cbranch_execz .LBB81_79
; %bb.76:
	v_mov_b32_e32 v53, 0x50
	v_lshl_add_u32 v53, v104, 2, v53
	v_mov_b32_e32 v54, 0
	s_mov_b64 s[10:11], 0
.LBB81_77:                              ; =>This Inner Loop Header: Depth=1
	v_cmp_eq_u32_e32 vcc, 1, v104
	v_cndmask_b32_e32 v55, v34, v35, vcc
	v_add_u32_e32 v52, -1, v52
	v_cmp_eq_u32_e32 vcc, 2, v104
	v_cndmask_b32_e32 v55, v55, v36, vcc
	v_cmp_eq_u32_e32 vcc, 0, v52
	v_cmp_eq_u32_e64 s[0:1], 3, v104
	v_cndmask_b32_e64 v55, v55, v37, s[0:1]
	s_or_b64 s[10:11], vcc, s[10:11]
	v_cmp_eq_u32_e32 vcc, 4, v104
	v_cndmask_b32_e32 v55, v55, v38, vcc
	v_cmp_eq_u32_e32 vcc, 5, v104
	v_cndmask_b32_e32 v55, v55, v39, vcc
	;; [unrolled: 2-line block ×9, first 2 shown]
	v_cmp_eq_u32_e32 vcc, 13, v104
	ds_read_b32 v56, v53
	v_cndmask_b32_e32 v55, v55, v47, vcc
	v_cmp_eq_u32_e32 vcc, 14, v104
	v_cndmask_b32_e32 v55, v55, v48, vcc
	v_cmp_eq_u32_e32 vcc, 15, v104
	;; [unrolled: 2-line block ×4, first 2 shown]
	v_add_co_u32_e64 v104, s[0:1], 1, v104
	v_cndmask_b32_e32 v55, v55, v51, vcc
	v_add_u32_e32 v53, 4, v53
	v_addc_co_u32_e64 v54, s[0:1], 0, v54, s[0:1]
	s_waitcnt lgkmcnt(0)
	v_fmac_f32_e32 v103, v55, v56
	s_andn2_b64 exec, exec, s[10:11]
	s_cbranch_execnz .LBB81_77
; %bb.78:
	s_or_b64 exec, exec, s[10:11]
.LBB81_79:
	s_or_b64 exec, exec, s[8:9]
.LBB81_80:
	s_or_b64 exec, exec, s[6:7]
	v_mov_b32_e32 v45, 0
	ds_read_b32 v45, v45 offset:44
	s_waitcnt lgkmcnt(0)
	v_mul_f32_e32 v45, v103, v45
.LBB81_81:
	s_or_b64 exec, exec, s[4:5]
	v_cmp_lt_u32_e64 s[0:1], 10, v0
	ds_write_b32 v102, v44
	s_waitcnt lgkmcnt(0)
	; wave barrier
	s_and_saveexec_b64 s[4:5], s[0:1]
	s_cbranch_execz .LBB81_97
; %bb.82:
	s_andn2_b64 vcc, exec, s[38:39]
	s_cbranch_vccnz .LBB81_84
; %bb.83:
	v_cmp_eq_u32_e32 vcc, 1, v0
	v_cndmask_b32_e32 v103, v34, v35, vcc
	v_cmp_eq_u32_e32 vcc, 2, v0
	v_cndmask_b32_e32 v103, v103, v36, vcc
	v_cmp_eq_u32_e32 vcc, 3, v0
	v_cndmask_b32_e32 v103, v103, v37, vcc
	v_cmp_eq_u32_e32 vcc, 4, v0
	v_cndmask_b32_e32 v103, v103, v38, vcc
	v_cmp_eq_u32_e32 vcc, 5, v0
	v_cndmask_b32_e32 v103, v103, v39, vcc
	v_cmp_eq_u32_e32 vcc, 6, v0
	v_cndmask_b32_e32 v103, v103, v40, vcc
	v_cmp_eq_u32_e32 vcc, 7, v0
	v_cndmask_b32_e32 v103, v103, v41, vcc
	v_cmp_eq_u32_e32 vcc, 8, v0
	v_cndmask_b32_e32 v103, v103, v42, vcc
	v_cmp_eq_u32_e32 vcc, 9, v0
	v_cndmask_b32_e32 v103, v103, v43, vcc
	v_cmp_eq_u32_e32 vcc, 10, v0
	v_cndmask_b32_e32 v103, v103, v44, vcc
	v_cmp_eq_u32_e32 vcc, 11, v0
	v_cndmask_b32_e32 v103, v103, v45, vcc
	v_cmp_eq_u32_e32 vcc, 12, v0
	v_cndmask_b32_e32 v103, v103, v46, vcc
	v_cmp_eq_u32_e32 vcc, 13, v0
	v_cndmask_b32_e32 v103, v103, v47, vcc
	v_cmp_eq_u32_e32 vcc, 14, v0
	ds_read_b32 v104, v102
	v_cndmask_b32_e32 v103, v103, v48, vcc
	v_cmp_eq_u32_e32 vcc, 15, v0
	v_cndmask_b32_e32 v103, v103, v49, vcc
	v_cmp_eq_u32_e32 vcc, 16, v0
	;; [unrolled: 2-line block ×3, first 2 shown]
	v_cndmask_b32_e32 v103, v103, v51, vcc
	s_waitcnt lgkmcnt(0)
	v_mul_f32_e32 v103, v103, v104
	s_cbranch_execz .LBB81_85
	s_branch .LBB81_86
.LBB81_84:
                                        ; implicit-def: $vgpr103
.LBB81_85:
	ds_read_b32 v103, v102
.LBB81_86:
	s_and_saveexec_b64 s[6:7], s[2:3]
	s_cbranch_execz .LBB81_96
; %bb.87:
	v_add_u32_e32 v104, -12, v0
	v_add_u32_e32 v105, -11, v0
	v_cmp_lt_u32_e32 vcc, 6, v104
	v_mov_b32_e32 v104, 11
	s_and_saveexec_b64 s[2:3], vcc
	s_cbranch_execz .LBB81_91
; %bb.88:
	v_and_b32_e32 v104, -8, v105
	v_sub_u32_e32 v106, 0, v104
	s_mov_b64 s[8:9], 18
	s_movk_i32 s12, 0x7c
	s_mov_b64 s[10:11], 0
.LBB81_89:                              ; =>This Inner Loop Header: Depth=1
	s_add_i32 s13, s8, -7
	v_mov_b32_e32 v104, s12
	s_add_i32 s14, s8, -6
	s_set_gpr_idx_on s13, gpr_idx(SRC0)
	v_mov_b32_e32 v113, v34
	s_set_gpr_idx_off
	ds_read2_b32 v[107:108], v104 offset1:1
	s_add_i32 s15, s8, -5
	s_set_gpr_idx_on s14, gpr_idx(SRC0)
	v_mov_b32_e32 v114, v34
	s_set_gpr_idx_off
	s_add_i32 s16, s8, -4
	s_set_gpr_idx_on s15, gpr_idx(SRC0)
	v_mov_b32_e32 v115, v34
	s_set_gpr_idx_off
	ds_read2_b32 v[109:110], v104 offset0:2 offset1:3
	s_add_i32 s17, s8, -3
	s_set_gpr_idx_on s16, gpr_idx(SRC0)
	v_mov_b32_e32 v116, v34
	s_set_gpr_idx_off
	s_add_i32 s18, s8, -2
	s_set_gpr_idx_on s17, gpr_idx(SRC0)
	v_mov_b32_e32 v117, v34
	s_set_gpr_idx_off
	ds_read2_b32 v[111:112], v104 offset0:4 offset1:5
	s_add_i32 s19, s8, -1
	s_waitcnt lgkmcnt(2)
	v_fmac_f32_e32 v103, v113, v107
	s_set_gpr_idx_on s18, gpr_idx(SRC0)
	v_mov_b32_e32 v113, v34
	s_set_gpr_idx_off
	v_fmac_f32_e32 v103, v114, v108
	s_set_gpr_idx_on s19, gpr_idx(SRC0)
	v_mov_b32_e32 v114, v34
	s_set_gpr_idx_off
	ds_read2_b32 v[107:108], v104 offset0:6 offset1:7
	s_waitcnt lgkmcnt(2)
	v_fmac_f32_e32 v103, v115, v109
	s_set_gpr_idx_on s8, gpr_idx(SRC0)
	v_mov_b32_e32 v109, v34
	s_set_gpr_idx_off
	v_fmac_f32_e32 v103, v116, v110
	s_add_u32 s8, s8, 8
	s_waitcnt lgkmcnt(1)
	v_fmac_f32_e32 v103, v117, v111
	v_add_u32_e32 v104, s8, v106
	v_fmac_f32_e32 v103, v113, v112
	s_addc_u32 s9, s9, 0
	s_add_i32 s12, s12, 32
	s_add_i32 s13, s8, -7
	v_cmp_eq_u32_e32 vcc, 18, v104
	s_waitcnt lgkmcnt(0)
	v_fmac_f32_e32 v103, v114, v107
	v_mov_b32_e32 v104, s13
	s_or_b64 s[10:11], vcc, s[10:11]
	v_fmac_f32_e32 v103, v109, v108
	s_andn2_b64 exec, exec, s[10:11]
	s_cbranch_execnz .LBB81_89
; %bb.90:
	s_or_b64 exec, exec, s[10:11]
.LBB81_91:
	s_or_b64 exec, exec, s[2:3]
	v_and_b32_e32 v52, 7, v105
	v_cmp_ne_u32_e32 vcc, 0, v52
	s_and_saveexec_b64 s[8:9], vcc
	s_cbranch_execz .LBB81_95
; %bb.92:
	v_mov_b32_e32 v53, 0x50
	v_lshl_add_u32 v53, v104, 2, v53
	v_mov_b32_e32 v54, 0
	s_mov_b64 s[10:11], 0
.LBB81_93:                              ; =>This Inner Loop Header: Depth=1
	v_cmp_eq_u32_e32 vcc, 1, v104
	v_cndmask_b32_e32 v55, v34, v35, vcc
	v_add_u32_e32 v52, -1, v52
	v_cmp_eq_u32_e32 vcc, 2, v104
	v_cndmask_b32_e32 v55, v55, v36, vcc
	v_cmp_eq_u32_e32 vcc, 0, v52
	v_cmp_eq_u32_e64 s[2:3], 3, v104
	v_cndmask_b32_e64 v55, v55, v37, s[2:3]
	s_or_b64 s[10:11], vcc, s[10:11]
	v_cmp_eq_u32_e32 vcc, 4, v104
	v_cndmask_b32_e32 v55, v55, v38, vcc
	v_cmp_eq_u32_e32 vcc, 5, v104
	v_cndmask_b32_e32 v55, v55, v39, vcc
	;; [unrolled: 2-line block ×9, first 2 shown]
	v_cmp_eq_u32_e32 vcc, 13, v104
	ds_read_b32 v56, v53
	v_cndmask_b32_e32 v55, v55, v47, vcc
	v_cmp_eq_u32_e32 vcc, 14, v104
	v_cndmask_b32_e32 v55, v55, v48, vcc
	v_cmp_eq_u32_e32 vcc, 15, v104
	;; [unrolled: 2-line block ×4, first 2 shown]
	v_add_co_u32_e64 v104, s[2:3], 1, v104
	v_cndmask_b32_e32 v55, v55, v51, vcc
	v_add_u32_e32 v53, 4, v53
	v_addc_co_u32_e64 v54, s[2:3], 0, v54, s[2:3]
	s_waitcnt lgkmcnt(0)
	v_fmac_f32_e32 v103, v55, v56
	s_andn2_b64 exec, exec, s[10:11]
	s_cbranch_execnz .LBB81_93
; %bb.94:
	s_or_b64 exec, exec, s[10:11]
.LBB81_95:
	s_or_b64 exec, exec, s[8:9]
.LBB81_96:
	s_or_b64 exec, exec, s[6:7]
	v_mov_b32_e32 v44, 0
	ds_read_b32 v44, v44 offset:40
	s_waitcnt lgkmcnt(0)
	v_mul_f32_e32 v44, v103, v44
.LBB81_97:
	s_or_b64 exec, exec, s[4:5]
	v_cmp_lt_u32_e64 s[2:3], 9, v0
	ds_write_b32 v102, v43
	s_waitcnt lgkmcnt(0)
	; wave barrier
	s_and_saveexec_b64 s[4:5], s[2:3]
	s_cbranch_execz .LBB81_113
; %bb.98:
	s_andn2_b64 vcc, exec, s[38:39]
	s_cbranch_vccnz .LBB81_100
; %bb.99:
	v_cmp_eq_u32_e32 vcc, 1, v0
	v_cndmask_b32_e32 v103, v34, v35, vcc
	v_cmp_eq_u32_e32 vcc, 2, v0
	v_cndmask_b32_e32 v103, v103, v36, vcc
	;; [unrolled: 2-line block ×13, first 2 shown]
	v_cmp_eq_u32_e32 vcc, 14, v0
	ds_read_b32 v104, v102
	v_cndmask_b32_e32 v103, v103, v48, vcc
	v_cmp_eq_u32_e32 vcc, 15, v0
	v_cndmask_b32_e32 v103, v103, v49, vcc
	v_cmp_eq_u32_e32 vcc, 16, v0
	;; [unrolled: 2-line block ×3, first 2 shown]
	v_cndmask_b32_e32 v103, v103, v51, vcc
	s_waitcnt lgkmcnt(0)
	v_mul_f32_e32 v103, v103, v104
	s_cbranch_execz .LBB81_101
	s_branch .LBB81_102
.LBB81_100:
                                        ; implicit-def: $vgpr103
.LBB81_101:
	ds_read_b32 v103, v102
.LBB81_102:
	s_and_saveexec_b64 s[6:7], s[0:1]
	s_cbranch_execz .LBB81_112
; %bb.103:
	v_add_u32_e32 v104, -11, v0
	v_add_u32_e32 v105, -10, v0
	v_cmp_lt_u32_e32 vcc, 6, v104
	v_mov_b32_e32 v104, 10
	s_and_saveexec_b64 s[0:1], vcc
	s_cbranch_execz .LBB81_107
; %bb.104:
	v_and_b32_e32 v104, -8, v105
	v_sub_u32_e32 v106, 0, v104
	s_mov_b64 s[8:9], 17
	s_movk_i32 s12, 0x78
	s_mov_b64 s[10:11], 0
.LBB81_105:                             ; =>This Inner Loop Header: Depth=1
	s_add_i32 s13, s8, -7
	v_mov_b32_e32 v104, s12
	s_add_i32 s14, s8, -6
	s_set_gpr_idx_on s13, gpr_idx(SRC0)
	v_mov_b32_e32 v115, v34
	s_set_gpr_idx_off
	ds_read2_b64 v[107:110], v104 offset1:1
	s_add_i32 s15, s8, -5
	s_set_gpr_idx_on s14, gpr_idx(SRC0)
	v_mov_b32_e32 v116, v34
	s_set_gpr_idx_off
	s_add_i32 s16, s8, -4
	s_set_gpr_idx_on s15, gpr_idx(SRC0)
	v_mov_b32_e32 v117, v34
	s_set_gpr_idx_off
	;; [unrolled: 4-line block ×4, first 2 shown]
	ds_read2_b64 v[111:114], v104 offset0:2 offset1:3
	s_add_i32 s19, s8, -1
	s_waitcnt lgkmcnt(1)
	v_fmac_f32_e32 v103, v115, v107
	s_set_gpr_idx_on s18, gpr_idx(SRC0)
	v_mov_b32_e32 v107, v34
	s_set_gpr_idx_off
	v_fmac_f32_e32 v103, v116, v108
	s_set_gpr_idx_on s19, gpr_idx(SRC0)
	v_mov_b32_e32 v108, v34
	s_set_gpr_idx_off
	;; [unrolled: 4-line block ×3, first 2 shown]
	v_fmac_f32_e32 v103, v118, v110
	s_add_u32 s8, s8, 8
	s_waitcnt lgkmcnt(0)
	v_fmac_f32_e32 v103, v119, v111
	v_add_u32_e32 v104, s8, v106
	v_fmac_f32_e32 v103, v107, v112
	s_addc_u32 s9, s9, 0
	s_add_i32 s12, s12, 32
	s_add_i32 s13, s8, -7
	v_cmp_eq_u32_e32 vcc, 17, v104
	v_fmac_f32_e32 v103, v108, v113
	v_mov_b32_e32 v104, s13
	s_or_b64 s[10:11], vcc, s[10:11]
	v_fmac_f32_e32 v103, v109, v114
	s_andn2_b64 exec, exec, s[10:11]
	s_cbranch_execnz .LBB81_105
; %bb.106:
	s_or_b64 exec, exec, s[10:11]
.LBB81_107:
	s_or_b64 exec, exec, s[0:1]
	v_and_b32_e32 v52, 7, v105
	v_cmp_ne_u32_e32 vcc, 0, v52
	s_and_saveexec_b64 s[8:9], vcc
	s_cbranch_execz .LBB81_111
; %bb.108:
	v_mov_b32_e32 v53, 0x50
	v_lshl_add_u32 v53, v104, 2, v53
	v_mov_b32_e32 v54, 0
	s_mov_b64 s[10:11], 0
.LBB81_109:                             ; =>This Inner Loop Header: Depth=1
	v_cmp_eq_u32_e32 vcc, 1, v104
	v_cndmask_b32_e32 v55, v34, v35, vcc
	v_add_u32_e32 v52, -1, v52
	v_cmp_eq_u32_e32 vcc, 2, v104
	v_cndmask_b32_e32 v55, v55, v36, vcc
	v_cmp_eq_u32_e32 vcc, 0, v52
	v_cmp_eq_u32_e64 s[0:1], 3, v104
	v_cndmask_b32_e64 v55, v55, v37, s[0:1]
	s_or_b64 s[10:11], vcc, s[10:11]
	v_cmp_eq_u32_e32 vcc, 4, v104
	v_cndmask_b32_e32 v55, v55, v38, vcc
	v_cmp_eq_u32_e32 vcc, 5, v104
	v_cndmask_b32_e32 v55, v55, v39, vcc
	;; [unrolled: 2-line block ×9, first 2 shown]
	v_cmp_eq_u32_e32 vcc, 13, v104
	ds_read_b32 v56, v53
	v_cndmask_b32_e32 v55, v55, v47, vcc
	v_cmp_eq_u32_e32 vcc, 14, v104
	v_cndmask_b32_e32 v55, v55, v48, vcc
	v_cmp_eq_u32_e32 vcc, 15, v104
	;; [unrolled: 2-line block ×4, first 2 shown]
	v_add_co_u32_e64 v104, s[0:1], 1, v104
	v_cndmask_b32_e32 v55, v55, v51, vcc
	v_add_u32_e32 v53, 4, v53
	v_addc_co_u32_e64 v54, s[0:1], 0, v54, s[0:1]
	s_waitcnt lgkmcnt(0)
	v_fmac_f32_e32 v103, v55, v56
	s_andn2_b64 exec, exec, s[10:11]
	s_cbranch_execnz .LBB81_109
; %bb.110:
	s_or_b64 exec, exec, s[10:11]
.LBB81_111:
	s_or_b64 exec, exec, s[8:9]
.LBB81_112:
	s_or_b64 exec, exec, s[6:7]
	v_mov_b32_e32 v43, 0
	ds_read_b32 v43, v43 offset:36
	s_waitcnt lgkmcnt(0)
	v_mul_f32_e32 v43, v103, v43
.LBB81_113:
	s_or_b64 exec, exec, s[4:5]
	v_cmp_lt_u32_e64 s[0:1], 8, v0
	ds_write_b32 v102, v42
	s_waitcnt lgkmcnt(0)
	; wave barrier
	s_and_saveexec_b64 s[4:5], s[0:1]
	s_cbranch_execz .LBB81_129
; %bb.114:
	s_andn2_b64 vcc, exec, s[38:39]
	s_cbranch_vccnz .LBB81_116
; %bb.115:
	v_cmp_eq_u32_e32 vcc, 1, v0
	v_cndmask_b32_e32 v103, v34, v35, vcc
	v_cmp_eq_u32_e32 vcc, 2, v0
	v_cndmask_b32_e32 v103, v103, v36, vcc
	;; [unrolled: 2-line block ×13, first 2 shown]
	v_cmp_eq_u32_e32 vcc, 14, v0
	ds_read_b32 v104, v102
	v_cndmask_b32_e32 v103, v103, v48, vcc
	v_cmp_eq_u32_e32 vcc, 15, v0
	v_cndmask_b32_e32 v103, v103, v49, vcc
	v_cmp_eq_u32_e32 vcc, 16, v0
	;; [unrolled: 2-line block ×3, first 2 shown]
	v_cndmask_b32_e32 v103, v103, v51, vcc
	s_waitcnt lgkmcnt(0)
	v_mul_f32_e32 v103, v103, v104
	s_cbranch_execz .LBB81_117
	s_branch .LBB81_118
.LBB81_116:
                                        ; implicit-def: $vgpr103
.LBB81_117:
	ds_read_b32 v103, v102
.LBB81_118:
	s_and_saveexec_b64 s[6:7], s[2:3]
	s_cbranch_execz .LBB81_128
; %bb.119:
	v_add_u32_e32 v104, -10, v0
	v_add_u32_e32 v105, -9, v0
	v_cmp_lt_u32_e32 vcc, 6, v104
	v_mov_b32_e32 v104, 9
	s_and_saveexec_b64 s[2:3], vcc
	s_cbranch_execz .LBB81_123
; %bb.120:
	v_and_b32_e32 v104, -8, v105
	v_sub_u32_e32 v106, 0, v104
	s_mov_b64 s[8:9], 16
	s_movk_i32 s12, 0x74
	s_mov_b64 s[10:11], 0
.LBB81_121:                             ; =>This Inner Loop Header: Depth=1
	s_add_i32 s13, s8, -7
	v_mov_b32_e32 v104, s12
	s_add_i32 s14, s8, -6
	s_set_gpr_idx_on s13, gpr_idx(SRC0)
	v_mov_b32_e32 v113, v34
	s_set_gpr_idx_off
	ds_read2_b32 v[107:108], v104 offset1:1
	s_add_i32 s15, s8, -5
	s_set_gpr_idx_on s14, gpr_idx(SRC0)
	v_mov_b32_e32 v114, v34
	s_set_gpr_idx_off
	s_add_i32 s16, s8, -4
	s_set_gpr_idx_on s15, gpr_idx(SRC0)
	v_mov_b32_e32 v115, v34
	s_set_gpr_idx_off
	ds_read2_b32 v[109:110], v104 offset0:2 offset1:3
	s_add_i32 s17, s8, -3
	s_set_gpr_idx_on s16, gpr_idx(SRC0)
	v_mov_b32_e32 v116, v34
	s_set_gpr_idx_off
	s_add_i32 s18, s8, -2
	s_set_gpr_idx_on s17, gpr_idx(SRC0)
	v_mov_b32_e32 v117, v34
	s_set_gpr_idx_off
	ds_read2_b32 v[111:112], v104 offset0:4 offset1:5
	s_add_i32 s19, s8, -1
	s_waitcnt lgkmcnt(2)
	v_fmac_f32_e32 v103, v113, v107
	s_set_gpr_idx_on s18, gpr_idx(SRC0)
	v_mov_b32_e32 v113, v34
	s_set_gpr_idx_off
	v_fmac_f32_e32 v103, v114, v108
	s_set_gpr_idx_on s19, gpr_idx(SRC0)
	v_mov_b32_e32 v114, v34
	s_set_gpr_idx_off
	ds_read2_b32 v[107:108], v104 offset0:6 offset1:7
	s_waitcnt lgkmcnt(2)
	v_fmac_f32_e32 v103, v115, v109
	s_set_gpr_idx_on s8, gpr_idx(SRC0)
	v_mov_b32_e32 v109, v34
	s_set_gpr_idx_off
	v_fmac_f32_e32 v103, v116, v110
	s_add_u32 s8, s8, 8
	s_waitcnt lgkmcnt(1)
	v_fmac_f32_e32 v103, v117, v111
	v_add_u32_e32 v104, s8, v106
	v_fmac_f32_e32 v103, v113, v112
	s_addc_u32 s9, s9, 0
	s_add_i32 s12, s12, 32
	s_add_i32 s13, s8, -7
	v_cmp_eq_u32_e32 vcc, 16, v104
	s_waitcnt lgkmcnt(0)
	v_fmac_f32_e32 v103, v114, v107
	v_mov_b32_e32 v104, s13
	s_or_b64 s[10:11], vcc, s[10:11]
	v_fmac_f32_e32 v103, v109, v108
	s_andn2_b64 exec, exec, s[10:11]
	s_cbranch_execnz .LBB81_121
; %bb.122:
	s_or_b64 exec, exec, s[10:11]
.LBB81_123:
	s_or_b64 exec, exec, s[2:3]
	v_and_b32_e32 v52, 7, v105
	v_cmp_ne_u32_e32 vcc, 0, v52
	s_and_saveexec_b64 s[8:9], vcc
	s_cbranch_execz .LBB81_127
; %bb.124:
	v_mov_b32_e32 v53, 0x50
	v_lshl_add_u32 v53, v104, 2, v53
	v_mov_b32_e32 v54, 0
	s_mov_b64 s[10:11], 0
.LBB81_125:                             ; =>This Inner Loop Header: Depth=1
	v_cmp_eq_u32_e32 vcc, 1, v104
	v_cndmask_b32_e32 v55, v34, v35, vcc
	v_add_u32_e32 v52, -1, v52
	v_cmp_eq_u32_e32 vcc, 2, v104
	v_cndmask_b32_e32 v55, v55, v36, vcc
	v_cmp_eq_u32_e32 vcc, 0, v52
	v_cmp_eq_u32_e64 s[2:3], 3, v104
	v_cndmask_b32_e64 v55, v55, v37, s[2:3]
	s_or_b64 s[10:11], vcc, s[10:11]
	v_cmp_eq_u32_e32 vcc, 4, v104
	v_cndmask_b32_e32 v55, v55, v38, vcc
	v_cmp_eq_u32_e32 vcc, 5, v104
	v_cndmask_b32_e32 v55, v55, v39, vcc
	;; [unrolled: 2-line block ×9, first 2 shown]
	v_cmp_eq_u32_e32 vcc, 13, v104
	ds_read_b32 v56, v53
	v_cndmask_b32_e32 v55, v55, v47, vcc
	v_cmp_eq_u32_e32 vcc, 14, v104
	v_cndmask_b32_e32 v55, v55, v48, vcc
	v_cmp_eq_u32_e32 vcc, 15, v104
	;; [unrolled: 2-line block ×4, first 2 shown]
	v_add_co_u32_e64 v104, s[2:3], 1, v104
	v_cndmask_b32_e32 v55, v55, v51, vcc
	v_add_u32_e32 v53, 4, v53
	v_addc_co_u32_e64 v54, s[2:3], 0, v54, s[2:3]
	s_waitcnt lgkmcnt(0)
	v_fmac_f32_e32 v103, v55, v56
	s_andn2_b64 exec, exec, s[10:11]
	s_cbranch_execnz .LBB81_125
; %bb.126:
	s_or_b64 exec, exec, s[10:11]
.LBB81_127:
	s_or_b64 exec, exec, s[8:9]
.LBB81_128:
	s_or_b64 exec, exec, s[6:7]
	v_mov_b32_e32 v42, 0
	ds_read_b32 v42, v42 offset:32
	s_waitcnt lgkmcnt(0)
	v_mul_f32_e32 v42, v103, v42
.LBB81_129:
	s_or_b64 exec, exec, s[4:5]
	v_cmp_lt_u32_e64 s[2:3], 7, v0
	ds_write_b32 v102, v41
	s_waitcnt lgkmcnt(0)
	; wave barrier
	s_and_saveexec_b64 s[4:5], s[2:3]
	s_cbranch_execz .LBB81_145
; %bb.130:
	s_andn2_b64 vcc, exec, s[38:39]
	s_cbranch_vccnz .LBB81_132
; %bb.131:
	v_cmp_eq_u32_e32 vcc, 1, v0
	v_cndmask_b32_e32 v103, v34, v35, vcc
	v_cmp_eq_u32_e32 vcc, 2, v0
	v_cndmask_b32_e32 v103, v103, v36, vcc
	;; [unrolled: 2-line block ×13, first 2 shown]
	v_cmp_eq_u32_e32 vcc, 14, v0
	ds_read_b32 v104, v102
	v_cndmask_b32_e32 v103, v103, v48, vcc
	v_cmp_eq_u32_e32 vcc, 15, v0
	v_cndmask_b32_e32 v103, v103, v49, vcc
	v_cmp_eq_u32_e32 vcc, 16, v0
	;; [unrolled: 2-line block ×3, first 2 shown]
	v_cndmask_b32_e32 v103, v103, v51, vcc
	s_waitcnt lgkmcnt(0)
	v_mul_f32_e32 v103, v103, v104
	s_cbranch_execz .LBB81_133
	s_branch .LBB81_134
.LBB81_132:
                                        ; implicit-def: $vgpr103
.LBB81_133:
	ds_read_b32 v103, v102
.LBB81_134:
	s_and_saveexec_b64 s[6:7], s[0:1]
	s_cbranch_execz .LBB81_144
; %bb.135:
	v_add_u32_e32 v104, -9, v0
	v_cmp_lt_u32_e32 vcc, 6, v104
	v_mov_b32_e32 v104, 8
	s_and_saveexec_b64 s[0:1], vcc
	s_cbranch_execz .LBB81_139
; %bb.136:
	v_and_b32_e32 v104, 24, v0
	v_sub_u32_e32 v105, 0, v104
	s_mov_b64 s[8:9], 15
	s_movk_i32 s12, 0x70
	s_mov_b64 s[10:11], 0
.LBB81_137:                             ; =>This Inner Loop Header: Depth=1
	s_add_i32 s13, s8, -7
	v_mov_b32_e32 v104, s12
	s_add_i32 s14, s8, -6
	s_set_gpr_idx_on s13, gpr_idx(SRC0)
	v_mov_b32_e32 v114, v34
	s_set_gpr_idx_off
	s_add_i32 s15, s8, -5
	ds_read_b128 v[106:109], v104
	ds_read_b128 v[110:113], v104 offset:16
	s_set_gpr_idx_on s14, gpr_idx(SRC0)
	v_mov_b32_e32 v104, v34
	s_set_gpr_idx_off
	s_add_i32 s16, s8, -4
	s_set_gpr_idx_on s15, gpr_idx(SRC0)
	v_mov_b32_e32 v115, v34
	s_set_gpr_idx_off
	s_add_i32 s17, s8, -3
	;; [unrolled: 4-line block ×4, first 2 shown]
	s_waitcnt lgkmcnt(1)
	v_fmac_f32_e32 v103, v114, v106
	s_set_gpr_idx_on s18, gpr_idx(SRC0)
	v_mov_b32_e32 v106, v34
	s_set_gpr_idx_off
	v_fmac_f32_e32 v103, v104, v107
	s_set_gpr_idx_on s19, gpr_idx(SRC0)
	v_mov_b32_e32 v107, v34
	s_set_gpr_idx_off
	;; [unrolled: 4-line block ×3, first 2 shown]
	v_fmac_f32_e32 v103, v116, v109
	s_add_u32 s8, s8, 8
	s_waitcnt lgkmcnt(0)
	v_fmac_f32_e32 v103, v117, v110
	v_add_u32_e32 v104, s8, v105
	v_fmac_f32_e32 v103, v106, v111
	s_addc_u32 s9, s9, 0
	s_add_i32 s12, s12, 32
	s_add_i32 s13, s8, -7
	v_cmp_eq_u32_e32 vcc, 7, v104
	v_fmac_f32_e32 v103, v107, v112
	v_mov_b32_e32 v104, s13
	s_or_b64 s[10:11], vcc, s[10:11]
	v_fmac_f32_e32 v103, v108, v113
	s_andn2_b64 exec, exec, s[10:11]
	s_cbranch_execnz .LBB81_137
; %bb.138:
	s_or_b64 exec, exec, s[10:11]
.LBB81_139:
	s_or_b64 exec, exec, s[0:1]
	v_and_b32_e32 v52, 7, v0
	v_cmp_ne_u32_e32 vcc, 0, v52
	s_and_saveexec_b64 s[8:9], vcc
	s_cbranch_execz .LBB81_143
; %bb.140:
	v_mov_b32_e32 v53, 0x50
	v_lshl_add_u32 v53, v104, 2, v53
	v_mov_b32_e32 v54, 0
	s_mov_b64 s[10:11], 0
.LBB81_141:                             ; =>This Inner Loop Header: Depth=1
	v_cmp_eq_u32_e32 vcc, 1, v104
	v_cndmask_b32_e32 v55, v34, v35, vcc
	v_add_u32_e32 v52, -1, v52
	v_cmp_eq_u32_e32 vcc, 2, v104
	v_cndmask_b32_e32 v55, v55, v36, vcc
	v_cmp_eq_u32_e32 vcc, 0, v52
	v_cmp_eq_u32_e64 s[0:1], 3, v104
	v_cndmask_b32_e64 v55, v55, v37, s[0:1]
	s_or_b64 s[10:11], vcc, s[10:11]
	v_cmp_eq_u32_e32 vcc, 4, v104
	v_cndmask_b32_e32 v55, v55, v38, vcc
	v_cmp_eq_u32_e32 vcc, 5, v104
	v_cndmask_b32_e32 v55, v55, v39, vcc
	;; [unrolled: 2-line block ×9, first 2 shown]
	v_cmp_eq_u32_e32 vcc, 13, v104
	ds_read_b32 v56, v53
	v_cndmask_b32_e32 v55, v55, v47, vcc
	v_cmp_eq_u32_e32 vcc, 14, v104
	v_cndmask_b32_e32 v55, v55, v48, vcc
	v_cmp_eq_u32_e32 vcc, 15, v104
	;; [unrolled: 2-line block ×4, first 2 shown]
	v_add_co_u32_e64 v104, s[0:1], 1, v104
	v_cndmask_b32_e32 v55, v55, v51, vcc
	v_add_u32_e32 v53, 4, v53
	v_addc_co_u32_e64 v54, s[0:1], 0, v54, s[0:1]
	s_waitcnt lgkmcnt(0)
	v_fmac_f32_e32 v103, v55, v56
	s_andn2_b64 exec, exec, s[10:11]
	s_cbranch_execnz .LBB81_141
; %bb.142:
	s_or_b64 exec, exec, s[10:11]
.LBB81_143:
	s_or_b64 exec, exec, s[8:9]
.LBB81_144:
	s_or_b64 exec, exec, s[6:7]
	v_mov_b32_e32 v41, 0
	ds_read_b32 v41, v41 offset:28
	s_waitcnt lgkmcnt(0)
	v_mul_f32_e32 v41, v103, v41
.LBB81_145:
	s_or_b64 exec, exec, s[4:5]
	v_cmp_lt_u32_e64 s[0:1], 6, v0
	ds_write_b32 v102, v40
	s_waitcnt lgkmcnt(0)
	; wave barrier
	s_and_saveexec_b64 s[4:5], s[0:1]
	s_cbranch_execz .LBB81_161
; %bb.146:
	s_andn2_b64 vcc, exec, s[38:39]
	s_cbranch_vccnz .LBB81_148
; %bb.147:
	v_cmp_eq_u32_e32 vcc, 1, v0
	v_cndmask_b32_e32 v103, v34, v35, vcc
	v_cmp_eq_u32_e32 vcc, 2, v0
	v_cndmask_b32_e32 v103, v103, v36, vcc
	;; [unrolled: 2-line block ×13, first 2 shown]
	v_cmp_eq_u32_e32 vcc, 14, v0
	ds_read_b32 v104, v102
	v_cndmask_b32_e32 v103, v103, v48, vcc
	v_cmp_eq_u32_e32 vcc, 15, v0
	v_cndmask_b32_e32 v103, v103, v49, vcc
	v_cmp_eq_u32_e32 vcc, 16, v0
	;; [unrolled: 2-line block ×3, first 2 shown]
	v_cndmask_b32_e32 v103, v103, v51, vcc
	s_waitcnt lgkmcnt(0)
	v_mul_f32_e32 v103, v103, v104
	s_cbranch_execz .LBB81_149
	s_branch .LBB81_150
.LBB81_148:
                                        ; implicit-def: $vgpr103
.LBB81_149:
	ds_read_b32 v103, v102
.LBB81_150:
	s_and_saveexec_b64 s[6:7], s[2:3]
	s_cbranch_execz .LBB81_160
; %bb.151:
	v_add_u32_e32 v104, -8, v0
	v_add_u32_e32 v105, -7, v0
	v_cmp_lt_u32_e32 vcc, 6, v104
	v_mov_b32_e32 v104, 7
	s_and_saveexec_b64 s[2:3], vcc
	s_cbranch_execz .LBB81_155
; %bb.152:
	v_and_b32_e32 v104, -8, v105
	v_sub_u32_e32 v106, 0, v104
	s_mov_b64 s[8:9], 14
	s_movk_i32 s12, 0x6c
	s_mov_b64 s[10:11], 0
.LBB81_153:                             ; =>This Inner Loop Header: Depth=1
	s_add_i32 s13, s8, -7
	v_mov_b32_e32 v104, s12
	s_add_i32 s14, s8, -6
	s_set_gpr_idx_on s13, gpr_idx(SRC0)
	v_mov_b32_e32 v113, v34
	s_set_gpr_idx_off
	ds_read2_b32 v[107:108], v104 offset1:1
	s_add_i32 s15, s8, -5
	s_set_gpr_idx_on s14, gpr_idx(SRC0)
	v_mov_b32_e32 v114, v34
	s_set_gpr_idx_off
	s_add_i32 s16, s8, -4
	s_set_gpr_idx_on s15, gpr_idx(SRC0)
	v_mov_b32_e32 v115, v34
	s_set_gpr_idx_off
	ds_read2_b32 v[109:110], v104 offset0:2 offset1:3
	s_add_i32 s17, s8, -3
	s_set_gpr_idx_on s16, gpr_idx(SRC0)
	v_mov_b32_e32 v116, v34
	s_set_gpr_idx_off
	s_add_i32 s18, s8, -2
	s_set_gpr_idx_on s17, gpr_idx(SRC0)
	v_mov_b32_e32 v117, v34
	s_set_gpr_idx_off
	ds_read2_b32 v[111:112], v104 offset0:4 offset1:5
	s_add_i32 s19, s8, -1
	s_waitcnt lgkmcnt(2)
	v_fmac_f32_e32 v103, v113, v107
	s_set_gpr_idx_on s18, gpr_idx(SRC0)
	v_mov_b32_e32 v113, v34
	s_set_gpr_idx_off
	v_fmac_f32_e32 v103, v114, v108
	s_set_gpr_idx_on s19, gpr_idx(SRC0)
	v_mov_b32_e32 v114, v34
	s_set_gpr_idx_off
	ds_read2_b32 v[107:108], v104 offset0:6 offset1:7
	s_waitcnt lgkmcnt(2)
	v_fmac_f32_e32 v103, v115, v109
	s_set_gpr_idx_on s8, gpr_idx(SRC0)
	v_mov_b32_e32 v109, v34
	s_set_gpr_idx_off
	v_fmac_f32_e32 v103, v116, v110
	s_add_u32 s8, s8, 8
	s_waitcnt lgkmcnt(1)
	v_fmac_f32_e32 v103, v117, v111
	v_add_u32_e32 v104, s8, v106
	v_fmac_f32_e32 v103, v113, v112
	s_addc_u32 s9, s9, 0
	s_add_i32 s12, s12, 32
	s_add_i32 s13, s8, -7
	v_cmp_eq_u32_e32 vcc, 14, v104
	s_waitcnt lgkmcnt(0)
	v_fmac_f32_e32 v103, v114, v107
	v_mov_b32_e32 v104, s13
	s_or_b64 s[10:11], vcc, s[10:11]
	v_fmac_f32_e32 v103, v109, v108
	s_andn2_b64 exec, exec, s[10:11]
	s_cbranch_execnz .LBB81_153
; %bb.154:
	s_or_b64 exec, exec, s[10:11]
.LBB81_155:
	s_or_b64 exec, exec, s[2:3]
	v_and_b32_e32 v52, 7, v105
	v_cmp_ne_u32_e32 vcc, 0, v52
	s_and_saveexec_b64 s[8:9], vcc
	s_cbranch_execz .LBB81_159
; %bb.156:
	v_mov_b32_e32 v53, 0x50
	v_lshl_add_u32 v53, v104, 2, v53
	v_mov_b32_e32 v54, 0
	s_mov_b64 s[10:11], 0
.LBB81_157:                             ; =>This Inner Loop Header: Depth=1
	v_cmp_eq_u32_e32 vcc, 1, v104
	v_cndmask_b32_e32 v55, v34, v35, vcc
	v_add_u32_e32 v52, -1, v52
	v_cmp_eq_u32_e32 vcc, 2, v104
	v_cndmask_b32_e32 v55, v55, v36, vcc
	v_cmp_eq_u32_e32 vcc, 0, v52
	v_cmp_eq_u32_e64 s[2:3], 3, v104
	v_cndmask_b32_e64 v55, v55, v37, s[2:3]
	s_or_b64 s[10:11], vcc, s[10:11]
	v_cmp_eq_u32_e32 vcc, 4, v104
	v_cndmask_b32_e32 v55, v55, v38, vcc
	v_cmp_eq_u32_e32 vcc, 5, v104
	v_cndmask_b32_e32 v55, v55, v39, vcc
	;; [unrolled: 2-line block ×9, first 2 shown]
	v_cmp_eq_u32_e32 vcc, 13, v104
	ds_read_b32 v56, v53
	v_cndmask_b32_e32 v55, v55, v47, vcc
	v_cmp_eq_u32_e32 vcc, 14, v104
	v_cndmask_b32_e32 v55, v55, v48, vcc
	v_cmp_eq_u32_e32 vcc, 15, v104
	;; [unrolled: 2-line block ×4, first 2 shown]
	v_add_co_u32_e64 v104, s[2:3], 1, v104
	v_cndmask_b32_e32 v55, v55, v51, vcc
	v_add_u32_e32 v53, 4, v53
	v_addc_co_u32_e64 v54, s[2:3], 0, v54, s[2:3]
	s_waitcnt lgkmcnt(0)
	v_fmac_f32_e32 v103, v55, v56
	s_andn2_b64 exec, exec, s[10:11]
	s_cbranch_execnz .LBB81_157
; %bb.158:
	s_or_b64 exec, exec, s[10:11]
.LBB81_159:
	s_or_b64 exec, exec, s[8:9]
.LBB81_160:
	s_or_b64 exec, exec, s[6:7]
	v_mov_b32_e32 v40, 0
	ds_read_b32 v40, v40 offset:24
	s_waitcnt lgkmcnt(0)
	v_mul_f32_e32 v40, v103, v40
.LBB81_161:
	s_or_b64 exec, exec, s[4:5]
	v_cmp_lt_u32_e64 s[2:3], 5, v0
	ds_write_b32 v102, v39
	s_waitcnt lgkmcnt(0)
	; wave barrier
	s_and_saveexec_b64 s[4:5], s[2:3]
	s_cbranch_execz .LBB81_177
; %bb.162:
	s_andn2_b64 vcc, exec, s[38:39]
	s_cbranch_vccnz .LBB81_164
; %bb.163:
	v_cmp_eq_u32_e32 vcc, 1, v0
	v_cndmask_b32_e32 v103, v34, v35, vcc
	v_cmp_eq_u32_e32 vcc, 2, v0
	v_cndmask_b32_e32 v103, v103, v36, vcc
	;; [unrolled: 2-line block ×13, first 2 shown]
	v_cmp_eq_u32_e32 vcc, 14, v0
	ds_read_b32 v104, v102
	v_cndmask_b32_e32 v103, v103, v48, vcc
	v_cmp_eq_u32_e32 vcc, 15, v0
	v_cndmask_b32_e32 v103, v103, v49, vcc
	v_cmp_eq_u32_e32 vcc, 16, v0
	;; [unrolled: 2-line block ×3, first 2 shown]
	v_cndmask_b32_e32 v103, v103, v51, vcc
	s_waitcnt lgkmcnt(0)
	v_mul_f32_e32 v103, v103, v104
	s_cbranch_execz .LBB81_165
	s_branch .LBB81_166
.LBB81_164:
                                        ; implicit-def: $vgpr103
.LBB81_165:
	ds_read_b32 v103, v102
.LBB81_166:
	s_and_saveexec_b64 s[6:7], s[0:1]
	s_cbranch_execz .LBB81_176
; %bb.167:
	v_add_u32_e32 v106, -7, v0
	v_add_u32_e32 v105, -6, v0
	v_mov_b32_e32 v104, 6
	v_cmp_lt_u32_e32 vcc, 6, v106
	s_and_saveexec_b64 s[0:1], vcc
	s_cbranch_execz .LBB81_171
; %bb.168:
	v_and_b32_e32 v104, -8, v105
	v_sub_u32_e32 v106, 0, v104
	s_mov_b64 s[8:9], 13
	s_movk_i32 s12, 0x68
	s_mov_b64 s[10:11], 0
.LBB81_169:                             ; =>This Inner Loop Header: Depth=1
	s_add_i32 s13, s8, -7
	v_mov_b32_e32 v104, s12
	s_add_i32 s14, s8, -6
	s_set_gpr_idx_on s13, gpr_idx(SRC0)
	v_mov_b32_e32 v115, v34
	s_set_gpr_idx_off
	ds_read2_b64 v[107:110], v104 offset1:1
	s_add_i32 s15, s8, -5
	s_set_gpr_idx_on s14, gpr_idx(SRC0)
	v_mov_b32_e32 v116, v34
	s_set_gpr_idx_off
	s_add_i32 s16, s8, -4
	s_set_gpr_idx_on s15, gpr_idx(SRC0)
	v_mov_b32_e32 v117, v34
	s_set_gpr_idx_off
	;; [unrolled: 4-line block ×4, first 2 shown]
	ds_read2_b64 v[111:114], v104 offset0:2 offset1:3
	s_add_i32 s19, s8, -1
	s_waitcnt lgkmcnt(1)
	v_fmac_f32_e32 v103, v115, v107
	s_set_gpr_idx_on s18, gpr_idx(SRC0)
	v_mov_b32_e32 v107, v34
	s_set_gpr_idx_off
	v_fmac_f32_e32 v103, v116, v108
	s_set_gpr_idx_on s19, gpr_idx(SRC0)
	v_mov_b32_e32 v108, v34
	s_set_gpr_idx_off
	;; [unrolled: 4-line block ×3, first 2 shown]
	v_fmac_f32_e32 v103, v118, v110
	s_add_u32 s8, s8, 8
	s_waitcnt lgkmcnt(0)
	v_fmac_f32_e32 v103, v119, v111
	v_add_u32_e32 v104, s8, v106
	v_fmac_f32_e32 v103, v107, v112
	s_addc_u32 s9, s9, 0
	s_add_i32 s12, s12, 32
	s_add_i32 s13, s8, -7
	v_cmp_eq_u32_e32 vcc, 13, v104
	v_fmac_f32_e32 v103, v108, v113
	v_mov_b32_e32 v104, s13
	s_or_b64 s[10:11], vcc, s[10:11]
	v_fmac_f32_e32 v103, v109, v114
	s_andn2_b64 exec, exec, s[10:11]
	s_cbranch_execnz .LBB81_169
; %bb.170:
	s_or_b64 exec, exec, s[10:11]
.LBB81_171:
	s_or_b64 exec, exec, s[0:1]
	v_and_b32_e32 v52, 7, v105
	v_cmp_ne_u32_e32 vcc, 0, v52
	s_and_saveexec_b64 s[8:9], vcc
	s_cbranch_execz .LBB81_175
; %bb.172:
	v_mov_b32_e32 v53, 0x50
	v_lshl_add_u32 v53, v104, 2, v53
	v_mov_b32_e32 v54, 0
	s_mov_b64 s[10:11], 0
.LBB81_173:                             ; =>This Inner Loop Header: Depth=1
	v_cmp_eq_u32_e32 vcc, 1, v104
	v_cndmask_b32_e32 v55, v34, v35, vcc
	v_add_u32_e32 v52, -1, v52
	v_cmp_eq_u32_e32 vcc, 2, v104
	v_cndmask_b32_e32 v55, v55, v36, vcc
	v_cmp_eq_u32_e32 vcc, 0, v52
	v_cmp_eq_u32_e64 s[0:1], 3, v104
	v_cndmask_b32_e64 v55, v55, v37, s[0:1]
	s_or_b64 s[10:11], vcc, s[10:11]
	v_cmp_eq_u32_e32 vcc, 4, v104
	v_cndmask_b32_e32 v55, v55, v38, vcc
	v_cmp_eq_u32_e32 vcc, 5, v104
	v_cndmask_b32_e32 v55, v55, v39, vcc
	;; [unrolled: 2-line block ×9, first 2 shown]
	v_cmp_eq_u32_e32 vcc, 13, v104
	ds_read_b32 v56, v53
	v_cndmask_b32_e32 v55, v55, v47, vcc
	v_cmp_eq_u32_e32 vcc, 14, v104
	v_cndmask_b32_e32 v55, v55, v48, vcc
	v_cmp_eq_u32_e32 vcc, 15, v104
	;; [unrolled: 2-line block ×4, first 2 shown]
	v_add_co_u32_e64 v104, s[0:1], 1, v104
	v_cndmask_b32_e32 v55, v55, v51, vcc
	v_add_u32_e32 v53, 4, v53
	v_addc_co_u32_e64 v54, s[0:1], 0, v54, s[0:1]
	s_waitcnt lgkmcnt(0)
	v_fmac_f32_e32 v103, v55, v56
	s_andn2_b64 exec, exec, s[10:11]
	s_cbranch_execnz .LBB81_173
; %bb.174:
	s_or_b64 exec, exec, s[10:11]
.LBB81_175:
	s_or_b64 exec, exec, s[8:9]
.LBB81_176:
	s_or_b64 exec, exec, s[6:7]
	v_mov_b32_e32 v39, 0
	ds_read_b32 v39, v39 offset:20
	s_waitcnt lgkmcnt(0)
	v_mul_f32_e32 v39, v103, v39
.LBB81_177:
	s_or_b64 exec, exec, s[4:5]
	v_cmp_lt_u32_e64 s[0:1], 4, v0
	ds_write_b32 v102, v38
	s_waitcnt lgkmcnt(0)
	; wave barrier
	s_and_saveexec_b64 s[4:5], s[0:1]
	s_cbranch_execz .LBB81_193
; %bb.178:
	s_andn2_b64 vcc, exec, s[38:39]
	s_cbranch_vccnz .LBB81_180
; %bb.179:
	v_cmp_eq_u32_e32 vcc, 1, v0
	v_cndmask_b32_e32 v103, v34, v35, vcc
	v_cmp_eq_u32_e32 vcc, 2, v0
	v_cndmask_b32_e32 v103, v103, v36, vcc
	;; [unrolled: 2-line block ×13, first 2 shown]
	v_cmp_eq_u32_e32 vcc, 14, v0
	ds_read_b32 v104, v102
	v_cndmask_b32_e32 v103, v103, v48, vcc
	v_cmp_eq_u32_e32 vcc, 15, v0
	v_cndmask_b32_e32 v103, v103, v49, vcc
	v_cmp_eq_u32_e32 vcc, 16, v0
	;; [unrolled: 2-line block ×3, first 2 shown]
	v_cndmask_b32_e32 v103, v103, v51, vcc
	s_waitcnt lgkmcnt(0)
	v_mul_f32_e32 v103, v103, v104
	s_cbranch_execz .LBB81_181
	s_branch .LBB81_182
.LBB81_180:
                                        ; implicit-def: $vgpr103
.LBB81_181:
	ds_read_b32 v103, v102
.LBB81_182:
	s_and_saveexec_b64 s[6:7], s[2:3]
	s_cbranch_execz .LBB81_192
; %bb.183:
	v_add_u32_e32 v104, -6, v0
	v_add_u32_e32 v105, -5, v0
	v_cmp_lt_u32_e32 vcc, 6, v104
	v_mov_b32_e32 v104, 5
	s_and_saveexec_b64 s[2:3], vcc
	s_cbranch_execz .LBB81_187
; %bb.184:
	v_and_b32_e32 v104, -8, v105
	v_sub_u32_e32 v106, 0, v104
	s_mov_b64 s[8:9], 12
	s_movk_i32 s12, 0x64
	s_mov_b64 s[10:11], 0
.LBB81_185:                             ; =>This Inner Loop Header: Depth=1
	s_add_i32 s13, s8, -7
	v_mov_b32_e32 v104, s12
	s_add_i32 s14, s8, -6
	s_set_gpr_idx_on s13, gpr_idx(SRC0)
	v_mov_b32_e32 v113, v34
	s_set_gpr_idx_off
	ds_read2_b32 v[107:108], v104 offset1:1
	s_add_i32 s15, s8, -5
	s_set_gpr_idx_on s14, gpr_idx(SRC0)
	v_mov_b32_e32 v114, v34
	s_set_gpr_idx_off
	s_add_i32 s16, s8, -4
	s_set_gpr_idx_on s15, gpr_idx(SRC0)
	v_mov_b32_e32 v115, v34
	s_set_gpr_idx_off
	ds_read2_b32 v[109:110], v104 offset0:2 offset1:3
	s_add_i32 s17, s8, -3
	s_set_gpr_idx_on s16, gpr_idx(SRC0)
	v_mov_b32_e32 v116, v34
	s_set_gpr_idx_off
	s_add_i32 s18, s8, -2
	s_set_gpr_idx_on s17, gpr_idx(SRC0)
	v_mov_b32_e32 v117, v34
	s_set_gpr_idx_off
	ds_read2_b32 v[111:112], v104 offset0:4 offset1:5
	s_add_i32 s19, s8, -1
	s_waitcnt lgkmcnt(2)
	v_fmac_f32_e32 v103, v113, v107
	s_set_gpr_idx_on s18, gpr_idx(SRC0)
	v_mov_b32_e32 v113, v34
	s_set_gpr_idx_off
	v_fmac_f32_e32 v103, v114, v108
	s_set_gpr_idx_on s19, gpr_idx(SRC0)
	v_mov_b32_e32 v114, v34
	s_set_gpr_idx_off
	ds_read2_b32 v[107:108], v104 offset0:6 offset1:7
	s_waitcnt lgkmcnt(2)
	v_fmac_f32_e32 v103, v115, v109
	s_set_gpr_idx_on s8, gpr_idx(SRC0)
	v_mov_b32_e32 v109, v34
	s_set_gpr_idx_off
	v_fmac_f32_e32 v103, v116, v110
	s_add_u32 s8, s8, 8
	s_waitcnt lgkmcnt(1)
	v_fmac_f32_e32 v103, v117, v111
	v_add_u32_e32 v104, s8, v106
	v_fmac_f32_e32 v103, v113, v112
	s_addc_u32 s9, s9, 0
	s_add_i32 s12, s12, 32
	s_add_i32 s13, s8, -7
	v_cmp_eq_u32_e32 vcc, 12, v104
	s_waitcnt lgkmcnt(0)
	v_fmac_f32_e32 v103, v114, v107
	v_mov_b32_e32 v104, s13
	s_or_b64 s[10:11], vcc, s[10:11]
	v_fmac_f32_e32 v103, v109, v108
	s_andn2_b64 exec, exec, s[10:11]
	s_cbranch_execnz .LBB81_185
; %bb.186:
	s_or_b64 exec, exec, s[10:11]
.LBB81_187:
	s_or_b64 exec, exec, s[2:3]
	v_and_b32_e32 v52, 7, v105
	v_cmp_ne_u32_e32 vcc, 0, v52
	s_and_saveexec_b64 s[8:9], vcc
	s_cbranch_execz .LBB81_191
; %bb.188:
	v_mov_b32_e32 v53, 0x50
	v_lshl_add_u32 v53, v104, 2, v53
	v_mov_b32_e32 v54, 0
	s_mov_b64 s[10:11], 0
.LBB81_189:                             ; =>This Inner Loop Header: Depth=1
	v_cmp_eq_u32_e32 vcc, 1, v104
	v_cndmask_b32_e32 v55, v34, v35, vcc
	v_add_u32_e32 v52, -1, v52
	v_cmp_eq_u32_e32 vcc, 2, v104
	v_cndmask_b32_e32 v55, v55, v36, vcc
	v_cmp_eq_u32_e32 vcc, 0, v52
	v_cmp_eq_u32_e64 s[2:3], 3, v104
	v_cndmask_b32_e64 v55, v55, v37, s[2:3]
	s_or_b64 s[10:11], vcc, s[10:11]
	v_cmp_eq_u32_e32 vcc, 4, v104
	v_cndmask_b32_e32 v55, v55, v38, vcc
	v_cmp_eq_u32_e32 vcc, 5, v104
	v_cndmask_b32_e32 v55, v55, v39, vcc
	;; [unrolled: 2-line block ×9, first 2 shown]
	v_cmp_eq_u32_e32 vcc, 13, v104
	ds_read_b32 v56, v53
	v_cndmask_b32_e32 v55, v55, v47, vcc
	v_cmp_eq_u32_e32 vcc, 14, v104
	v_cndmask_b32_e32 v55, v55, v48, vcc
	v_cmp_eq_u32_e32 vcc, 15, v104
	;; [unrolled: 2-line block ×4, first 2 shown]
	v_add_co_u32_e64 v104, s[2:3], 1, v104
	v_cndmask_b32_e32 v55, v55, v51, vcc
	v_add_u32_e32 v53, 4, v53
	v_addc_co_u32_e64 v54, s[2:3], 0, v54, s[2:3]
	s_waitcnt lgkmcnt(0)
	v_fmac_f32_e32 v103, v55, v56
	s_andn2_b64 exec, exec, s[10:11]
	s_cbranch_execnz .LBB81_189
; %bb.190:
	s_or_b64 exec, exec, s[10:11]
.LBB81_191:
	s_or_b64 exec, exec, s[8:9]
.LBB81_192:
	s_or_b64 exec, exec, s[6:7]
	v_mov_b32_e32 v38, 0
	ds_read_b32 v38, v38 offset:16
	s_waitcnt lgkmcnt(0)
	v_mul_f32_e32 v38, v103, v38
.LBB81_193:
	s_or_b64 exec, exec, s[4:5]
	v_cmp_lt_u32_e64 s[2:3], 3, v0
	ds_write_b32 v102, v37
	s_waitcnt lgkmcnt(0)
	; wave barrier
	s_and_saveexec_b64 s[4:5], s[2:3]
	s_cbranch_execz .LBB81_209
; %bb.194:
	s_andn2_b64 vcc, exec, s[38:39]
	s_cbranch_vccnz .LBB81_196
; %bb.195:
	v_cmp_eq_u32_e32 vcc, 1, v0
	v_cndmask_b32_e32 v103, v34, v35, vcc
	v_cmp_eq_u32_e32 vcc, 2, v0
	v_cndmask_b32_e32 v103, v103, v36, vcc
	;; [unrolled: 2-line block ×13, first 2 shown]
	v_cmp_eq_u32_e32 vcc, 14, v0
	ds_read_b32 v104, v102
	v_cndmask_b32_e32 v103, v103, v48, vcc
	v_cmp_eq_u32_e32 vcc, 15, v0
	v_cndmask_b32_e32 v103, v103, v49, vcc
	v_cmp_eq_u32_e32 vcc, 16, v0
	;; [unrolled: 2-line block ×3, first 2 shown]
	v_cndmask_b32_e32 v103, v103, v51, vcc
	s_waitcnt lgkmcnt(0)
	v_mul_f32_e32 v103, v103, v104
	s_cbranch_execz .LBB81_197
	s_branch .LBB81_198
.LBB81_196:
                                        ; implicit-def: $vgpr103
.LBB81_197:
	ds_read_b32 v103, v102
.LBB81_198:
	s_and_saveexec_b64 s[6:7], s[0:1]
	s_cbranch_execz .LBB81_208
; %bb.199:
	v_add_u32_e32 v104, -5, v0
	v_add_u32_e32 v105, -4, v0
	v_cmp_lt_u32_e32 vcc, 6, v104
	v_mov_b32_e32 v104, 4
	s_and_saveexec_b64 s[0:1], vcc
	s_cbranch_execz .LBB81_203
; %bb.200:
	v_and_b32_e32 v104, -8, v105
	v_sub_u32_e32 v106, 0, v104
	s_mov_b64 s[8:9], 5
	s_movk_i32 s12, 0x60
	s_mov_b64 s[10:11], 0
.LBB81_201:                             ; =>This Inner Loop Header: Depth=1
	s_add_i32 s13, s8, -1
	v_mov_b32_e32 v104, s12
	s_set_gpr_idx_on s13, gpr_idx(SRC0)
	v_mov_b32_e32 v115, v34
	s_set_gpr_idx_off
	s_add_i32 s14, s8, 1
	ds_read_b128 v[107:110], v104
	ds_read_b128 v[111:114], v104 offset:16
	s_set_gpr_idx_on s8, gpr_idx(SRC0)
	v_mov_b32_e32 v116, v34
	s_set_gpr_idx_off
	s_add_i32 s15, s8, 2
	s_set_gpr_idx_on s14, gpr_idx(SRC0)
	v_mov_b32_e32 v117, v34
	s_set_gpr_idx_off
	s_add_i32 s16, s8, 3
	;; [unrolled: 4-line block ×4, first 2 shown]
	s_waitcnt lgkmcnt(1)
	v_fmac_f32_e32 v103, v115, v107
	s_set_gpr_idx_on s17, gpr_idx(SRC0)
	v_mov_b32_e32 v107, v34
	s_set_gpr_idx_off
	s_add_i32 s19, s8, 6
	v_fmac_f32_e32 v103, v116, v108
	s_set_gpr_idx_on s18, gpr_idx(SRC0)
	v_mov_b32_e32 v108, v34
	s_set_gpr_idx_off
	v_fmac_f32_e32 v103, v117, v109
	s_set_gpr_idx_on s19, gpr_idx(SRC0)
	v_mov_b32_e32 v109, v34
	s_set_gpr_idx_off
	v_fmac_f32_e32 v103, v118, v110
	s_add_u32 s8, s8, 8
	s_waitcnt lgkmcnt(0)
	v_fmac_f32_e32 v103, v119, v111
	v_add_u32_e32 v104, s8, v106
	v_fmac_f32_e32 v103, v107, v112
	s_addc_u32 s9, s9, 0
	s_add_i32 s12, s12, 32
	s_add_i32 s13, s8, -1
	v_cmp_eq_u32_e32 vcc, 5, v104
	v_fmac_f32_e32 v103, v108, v113
	v_mov_b32_e32 v104, s13
	s_or_b64 s[10:11], vcc, s[10:11]
	v_fmac_f32_e32 v103, v109, v114
	s_andn2_b64 exec, exec, s[10:11]
	s_cbranch_execnz .LBB81_201
; %bb.202:
	s_or_b64 exec, exec, s[10:11]
.LBB81_203:
	s_or_b64 exec, exec, s[0:1]
	v_and_b32_e32 v52, 7, v105
	v_cmp_ne_u32_e32 vcc, 0, v52
	s_and_saveexec_b64 s[8:9], vcc
	s_cbranch_execz .LBB81_207
; %bb.204:
	v_mov_b32_e32 v53, 0x50
	v_lshl_add_u32 v53, v104, 2, v53
	v_mov_b32_e32 v54, 0
	s_mov_b64 s[10:11], 0
.LBB81_205:                             ; =>This Inner Loop Header: Depth=1
	v_cmp_eq_u32_e32 vcc, 1, v104
	v_cndmask_b32_e32 v55, v34, v35, vcc
	v_add_u32_e32 v52, -1, v52
	v_cmp_eq_u32_e32 vcc, 2, v104
	v_cndmask_b32_e32 v55, v55, v36, vcc
	v_cmp_eq_u32_e32 vcc, 0, v52
	v_cmp_eq_u32_e64 s[0:1], 3, v104
	v_cndmask_b32_e64 v55, v55, v37, s[0:1]
	s_or_b64 s[10:11], vcc, s[10:11]
	v_cmp_eq_u32_e32 vcc, 4, v104
	v_cndmask_b32_e32 v55, v55, v38, vcc
	v_cmp_eq_u32_e32 vcc, 5, v104
	v_cndmask_b32_e32 v55, v55, v39, vcc
	;; [unrolled: 2-line block ×9, first 2 shown]
	v_cmp_eq_u32_e32 vcc, 13, v104
	ds_read_b32 v56, v53
	v_cndmask_b32_e32 v55, v55, v47, vcc
	v_cmp_eq_u32_e32 vcc, 14, v104
	v_cndmask_b32_e32 v55, v55, v48, vcc
	v_cmp_eq_u32_e32 vcc, 15, v104
	;; [unrolled: 2-line block ×4, first 2 shown]
	v_add_co_u32_e64 v104, s[0:1], 1, v104
	v_cndmask_b32_e32 v55, v55, v51, vcc
	v_add_u32_e32 v53, 4, v53
	v_addc_co_u32_e64 v54, s[0:1], 0, v54, s[0:1]
	s_waitcnt lgkmcnt(0)
	v_fmac_f32_e32 v103, v55, v56
	s_andn2_b64 exec, exec, s[10:11]
	s_cbranch_execnz .LBB81_205
; %bb.206:
	s_or_b64 exec, exec, s[10:11]
.LBB81_207:
	s_or_b64 exec, exec, s[8:9]
.LBB81_208:
	s_or_b64 exec, exec, s[6:7]
	v_mov_b32_e32 v37, 0
	ds_read_b32 v37, v37 offset:12
	s_waitcnt lgkmcnt(0)
	v_mul_f32_e32 v37, v103, v37
.LBB81_209:
	s_or_b64 exec, exec, s[4:5]
	v_cmp_lt_u32_e64 s[0:1], 2, v0
	ds_write_b32 v102, v36
	s_waitcnt lgkmcnt(0)
	; wave barrier
	s_and_saveexec_b64 s[4:5], s[0:1]
	s_cbranch_execz .LBB81_225
; %bb.210:
	s_andn2_b64 vcc, exec, s[38:39]
	s_cbranch_vccnz .LBB81_212
; %bb.211:
	v_cmp_eq_u32_e32 vcc, 1, v0
	v_cndmask_b32_e32 v103, v34, v35, vcc
	v_cmp_eq_u32_e32 vcc, 2, v0
	v_cndmask_b32_e32 v103, v103, v36, vcc
	;; [unrolled: 2-line block ×13, first 2 shown]
	v_cmp_eq_u32_e32 vcc, 14, v0
	ds_read_b32 v104, v102
	v_cndmask_b32_e32 v103, v103, v48, vcc
	v_cmp_eq_u32_e32 vcc, 15, v0
	v_cndmask_b32_e32 v103, v103, v49, vcc
	v_cmp_eq_u32_e32 vcc, 16, v0
	;; [unrolled: 2-line block ×3, first 2 shown]
	v_cndmask_b32_e32 v103, v103, v51, vcc
	s_waitcnt lgkmcnt(0)
	v_mul_f32_e32 v103, v103, v104
	s_cbranch_execz .LBB81_213
	s_branch .LBB81_214
.LBB81_212:
                                        ; implicit-def: $vgpr103
.LBB81_213:
	ds_read_b32 v103, v102
.LBB81_214:
	s_and_saveexec_b64 s[6:7], s[2:3]
	s_cbranch_execz .LBB81_224
; %bb.215:
	v_add_u32_e32 v104, -4, v0
	v_add_u32_e32 v105, -3, v0
	v_cmp_lt_u32_e32 vcc, 6, v104
	v_mov_b32_e32 v104, 3
	s_and_saveexec_b64 s[2:3], vcc
	s_cbranch_execz .LBB81_219
; %bb.216:
	v_and_b32_e32 v104, -8, v105
	v_sub_u32_e32 v106, 0, v104
	s_mov_b64 s[8:9], 10
	s_movk_i32 s12, 0x5c
	s_mov_b64 s[10:11], 0
.LBB81_217:                             ; =>This Inner Loop Header: Depth=1
	s_add_i32 s13, s8, -7
	v_mov_b32_e32 v104, s12
	s_add_i32 s14, s8, -6
	s_set_gpr_idx_on s13, gpr_idx(SRC0)
	v_mov_b32_e32 v113, v34
	s_set_gpr_idx_off
	ds_read2_b32 v[107:108], v104 offset1:1
	s_add_i32 s15, s8, -5
	s_set_gpr_idx_on s14, gpr_idx(SRC0)
	v_mov_b32_e32 v114, v34
	s_set_gpr_idx_off
	s_add_i32 s16, s8, -4
	s_set_gpr_idx_on s15, gpr_idx(SRC0)
	v_mov_b32_e32 v115, v34
	s_set_gpr_idx_off
	ds_read2_b32 v[109:110], v104 offset0:2 offset1:3
	s_add_i32 s17, s8, -3
	s_set_gpr_idx_on s16, gpr_idx(SRC0)
	v_mov_b32_e32 v116, v34
	s_set_gpr_idx_off
	s_add_i32 s18, s8, -2
	s_set_gpr_idx_on s17, gpr_idx(SRC0)
	v_mov_b32_e32 v117, v34
	s_set_gpr_idx_off
	ds_read2_b32 v[111:112], v104 offset0:4 offset1:5
	s_add_i32 s19, s8, -1
	s_waitcnt lgkmcnt(2)
	v_fmac_f32_e32 v103, v113, v107
	s_set_gpr_idx_on s18, gpr_idx(SRC0)
	v_mov_b32_e32 v113, v34
	s_set_gpr_idx_off
	v_fmac_f32_e32 v103, v114, v108
	s_set_gpr_idx_on s19, gpr_idx(SRC0)
	v_mov_b32_e32 v114, v34
	s_set_gpr_idx_off
	ds_read2_b32 v[107:108], v104 offset0:6 offset1:7
	s_waitcnt lgkmcnt(2)
	v_fmac_f32_e32 v103, v115, v109
	s_set_gpr_idx_on s8, gpr_idx(SRC0)
	v_mov_b32_e32 v109, v34
	s_set_gpr_idx_off
	v_fmac_f32_e32 v103, v116, v110
	s_add_u32 s8, s8, 8
	s_waitcnt lgkmcnt(1)
	v_fmac_f32_e32 v103, v117, v111
	v_add_u32_e32 v104, s8, v106
	v_fmac_f32_e32 v103, v113, v112
	s_addc_u32 s9, s9, 0
	s_add_i32 s12, s12, 32
	s_add_i32 s13, s8, -7
	v_cmp_eq_u32_e32 vcc, 10, v104
	s_waitcnt lgkmcnt(0)
	v_fmac_f32_e32 v103, v114, v107
	v_mov_b32_e32 v104, s13
	s_or_b64 s[10:11], vcc, s[10:11]
	v_fmac_f32_e32 v103, v109, v108
	s_andn2_b64 exec, exec, s[10:11]
	s_cbranch_execnz .LBB81_217
; %bb.218:
	s_or_b64 exec, exec, s[10:11]
.LBB81_219:
	s_or_b64 exec, exec, s[2:3]
	v_and_b32_e32 v52, 7, v105
	v_cmp_ne_u32_e32 vcc, 0, v52
	s_and_saveexec_b64 s[8:9], vcc
	s_cbranch_execz .LBB81_223
; %bb.220:
	v_mov_b32_e32 v53, 0x50
	v_lshl_add_u32 v53, v104, 2, v53
	v_mov_b32_e32 v54, 0
	s_mov_b64 s[10:11], 0
.LBB81_221:                             ; =>This Inner Loop Header: Depth=1
	v_cmp_eq_u32_e32 vcc, 1, v104
	v_cndmask_b32_e32 v55, v34, v35, vcc
	v_add_u32_e32 v52, -1, v52
	v_cmp_eq_u32_e32 vcc, 2, v104
	v_cndmask_b32_e32 v55, v55, v36, vcc
	v_cmp_eq_u32_e32 vcc, 0, v52
	v_cmp_eq_u32_e64 s[2:3], 3, v104
	v_cndmask_b32_e64 v55, v55, v37, s[2:3]
	s_or_b64 s[10:11], vcc, s[10:11]
	v_cmp_eq_u32_e32 vcc, 4, v104
	v_cndmask_b32_e32 v55, v55, v38, vcc
	v_cmp_eq_u32_e32 vcc, 5, v104
	v_cndmask_b32_e32 v55, v55, v39, vcc
	;; [unrolled: 2-line block ×9, first 2 shown]
	v_cmp_eq_u32_e32 vcc, 13, v104
	ds_read_b32 v56, v53
	v_cndmask_b32_e32 v55, v55, v47, vcc
	v_cmp_eq_u32_e32 vcc, 14, v104
	v_cndmask_b32_e32 v55, v55, v48, vcc
	v_cmp_eq_u32_e32 vcc, 15, v104
	;; [unrolled: 2-line block ×4, first 2 shown]
	v_add_co_u32_e64 v104, s[2:3], 1, v104
	v_cndmask_b32_e32 v55, v55, v51, vcc
	v_add_u32_e32 v53, 4, v53
	v_addc_co_u32_e64 v54, s[2:3], 0, v54, s[2:3]
	s_waitcnt lgkmcnt(0)
	v_fmac_f32_e32 v103, v55, v56
	s_andn2_b64 exec, exec, s[10:11]
	s_cbranch_execnz .LBB81_221
; %bb.222:
	s_or_b64 exec, exec, s[10:11]
.LBB81_223:
	s_or_b64 exec, exec, s[8:9]
.LBB81_224:
	s_or_b64 exec, exec, s[6:7]
	v_mov_b32_e32 v36, 0
	ds_read_b32 v36, v36 offset:8
	s_waitcnt lgkmcnt(0)
	v_mul_f32_e32 v36, v103, v36
.LBB81_225:
	s_or_b64 exec, exec, s[4:5]
	v_cmp_lt_u32_e64 s[2:3], 1, v0
	ds_write_b32 v102, v35
	s_waitcnt lgkmcnt(0)
	; wave barrier
	s_and_saveexec_b64 s[4:5], s[2:3]
	s_cbranch_execz .LBB81_241
; %bb.226:
	s_andn2_b64 vcc, exec, s[38:39]
	s_cbranch_vccnz .LBB81_228
; %bb.227:
	v_cmp_eq_u32_e32 vcc, 1, v0
	v_cndmask_b32_e32 v103, v34, v35, vcc
	v_cmp_eq_u32_e32 vcc, 2, v0
	v_cndmask_b32_e32 v103, v103, v36, vcc
	;; [unrolled: 2-line block ×13, first 2 shown]
	v_cmp_eq_u32_e32 vcc, 14, v0
	ds_read_b32 v104, v102
	v_cndmask_b32_e32 v103, v103, v48, vcc
	v_cmp_eq_u32_e32 vcc, 15, v0
	v_cndmask_b32_e32 v103, v103, v49, vcc
	v_cmp_eq_u32_e32 vcc, 16, v0
	;; [unrolled: 2-line block ×3, first 2 shown]
	v_cndmask_b32_e32 v103, v103, v51, vcc
	s_waitcnt lgkmcnt(0)
	v_mul_f32_e32 v103, v103, v104
	s_cbranch_execz .LBB81_229
	s_branch .LBB81_230
.LBB81_228:
                                        ; implicit-def: $vgpr103
.LBB81_229:
	ds_read_b32 v103, v102
.LBB81_230:
	s_and_saveexec_b64 s[6:7], s[0:1]
	s_cbranch_execz .LBB81_240
; %bb.231:
	v_add_u32_e32 v104, -3, v0
	v_add_u32_e32 v105, -2, v0
	v_cmp_lt_u32_e32 vcc, 6, v104
	v_mov_b32_e32 v104, 2
	s_and_saveexec_b64 s[0:1], vcc
	s_cbranch_execz .LBB81_235
; %bb.232:
	v_and_b32_e32 v104, -8, v105
	v_sub_u32_e32 v106, 0, v104
	s_mov_b64 s[8:9], 9
	s_movk_i32 s12, 0x58
	s_mov_b64 s[10:11], 0
.LBB81_233:                             ; =>This Inner Loop Header: Depth=1
	s_add_i32 s13, s8, -7
	v_mov_b32_e32 v104, s12
	s_add_i32 s14, s8, -6
	s_set_gpr_idx_on s13, gpr_idx(SRC0)
	v_mov_b32_e32 v115, v34
	s_set_gpr_idx_off
	ds_read2_b64 v[107:110], v104 offset1:1
	s_add_i32 s15, s8, -5
	s_set_gpr_idx_on s14, gpr_idx(SRC0)
	v_mov_b32_e32 v116, v34
	s_set_gpr_idx_off
	s_add_i32 s16, s8, -4
	s_set_gpr_idx_on s15, gpr_idx(SRC0)
	v_mov_b32_e32 v117, v34
	s_set_gpr_idx_off
	;; [unrolled: 4-line block ×4, first 2 shown]
	ds_read2_b64 v[111:114], v104 offset0:2 offset1:3
	s_add_i32 s19, s8, -1
	s_waitcnt lgkmcnt(1)
	v_fmac_f32_e32 v103, v115, v107
	s_set_gpr_idx_on s18, gpr_idx(SRC0)
	v_mov_b32_e32 v107, v34
	s_set_gpr_idx_off
	v_fmac_f32_e32 v103, v116, v108
	s_set_gpr_idx_on s19, gpr_idx(SRC0)
	v_mov_b32_e32 v108, v34
	s_set_gpr_idx_off
	;; [unrolled: 4-line block ×3, first 2 shown]
	v_fmac_f32_e32 v103, v118, v110
	s_add_u32 s8, s8, 8
	s_waitcnt lgkmcnt(0)
	v_fmac_f32_e32 v103, v119, v111
	v_add_u32_e32 v104, s8, v106
	v_fmac_f32_e32 v103, v107, v112
	s_addc_u32 s9, s9, 0
	s_add_i32 s12, s12, 32
	s_add_i32 s13, s8, -7
	v_cmp_eq_u32_e32 vcc, 9, v104
	v_fmac_f32_e32 v103, v108, v113
	v_mov_b32_e32 v104, s13
	s_or_b64 s[10:11], vcc, s[10:11]
	v_fmac_f32_e32 v103, v109, v114
	s_andn2_b64 exec, exec, s[10:11]
	s_cbranch_execnz .LBB81_233
; %bb.234:
	s_or_b64 exec, exec, s[10:11]
.LBB81_235:
	s_or_b64 exec, exec, s[0:1]
	v_and_b32_e32 v52, 7, v105
	v_cmp_ne_u32_e32 vcc, 0, v52
	s_and_saveexec_b64 s[8:9], vcc
	s_cbranch_execz .LBB81_239
; %bb.236:
	v_mov_b32_e32 v53, 0x50
	v_lshl_add_u32 v53, v104, 2, v53
	v_mov_b32_e32 v54, 0
	s_mov_b64 s[10:11], 0
.LBB81_237:                             ; =>This Inner Loop Header: Depth=1
	v_cmp_eq_u32_e32 vcc, 1, v104
	v_cndmask_b32_e32 v55, v34, v35, vcc
	v_add_u32_e32 v52, -1, v52
	v_cmp_eq_u32_e32 vcc, 2, v104
	v_cndmask_b32_e32 v55, v55, v36, vcc
	v_cmp_eq_u32_e32 vcc, 0, v52
	v_cmp_eq_u32_e64 s[0:1], 3, v104
	v_cndmask_b32_e64 v55, v55, v37, s[0:1]
	s_or_b64 s[10:11], vcc, s[10:11]
	v_cmp_eq_u32_e32 vcc, 4, v104
	v_cndmask_b32_e32 v55, v55, v38, vcc
	v_cmp_eq_u32_e32 vcc, 5, v104
	v_cndmask_b32_e32 v55, v55, v39, vcc
	;; [unrolled: 2-line block ×9, first 2 shown]
	v_cmp_eq_u32_e32 vcc, 13, v104
	ds_read_b32 v56, v53
	v_cndmask_b32_e32 v55, v55, v47, vcc
	v_cmp_eq_u32_e32 vcc, 14, v104
	v_cndmask_b32_e32 v55, v55, v48, vcc
	v_cmp_eq_u32_e32 vcc, 15, v104
	;; [unrolled: 2-line block ×4, first 2 shown]
	v_add_co_u32_e64 v104, s[0:1], 1, v104
	v_cndmask_b32_e32 v55, v55, v51, vcc
	v_add_u32_e32 v53, 4, v53
	v_addc_co_u32_e64 v54, s[0:1], 0, v54, s[0:1]
	s_waitcnt lgkmcnt(0)
	v_fmac_f32_e32 v103, v55, v56
	s_andn2_b64 exec, exec, s[10:11]
	s_cbranch_execnz .LBB81_237
; %bb.238:
	s_or_b64 exec, exec, s[10:11]
.LBB81_239:
	s_or_b64 exec, exec, s[8:9]
.LBB81_240:
	s_or_b64 exec, exec, s[6:7]
	v_mov_b32_e32 v35, 0
	ds_read_b32 v35, v35 offset:4
	s_waitcnt lgkmcnt(0)
	v_mul_f32_e32 v35, v103, v35
.LBB81_241:
	s_or_b64 exec, exec, s[4:5]
	v_cmp_ne_u32_e32 vcc, 0, v0
	ds_write_b32 v102, v34
	s_waitcnt lgkmcnt(0)
	; wave barrier
	s_and_saveexec_b64 s[4:5], vcc
	s_cbranch_execz .LBB81_257
; %bb.242:
	s_andn2_b64 vcc, exec, s[38:39]
	s_cbranch_vccnz .LBB81_244
; %bb.243:
	v_cmp_eq_u32_e32 vcc, 1, v0
	v_cndmask_b32_e32 v103, v34, v35, vcc
	v_cmp_eq_u32_e32 vcc, 2, v0
	v_cndmask_b32_e32 v103, v103, v36, vcc
	;; [unrolled: 2-line block ×13, first 2 shown]
	v_cmp_eq_u32_e32 vcc, 14, v0
	ds_read_b32 v104, v102
	v_cndmask_b32_e32 v103, v103, v48, vcc
	v_cmp_eq_u32_e32 vcc, 15, v0
	v_cndmask_b32_e32 v103, v103, v49, vcc
	v_cmp_eq_u32_e32 vcc, 16, v0
	;; [unrolled: 2-line block ×3, first 2 shown]
	v_cndmask_b32_e32 v103, v103, v51, vcc
	s_waitcnt lgkmcnt(0)
	v_mul_f32_e32 v103, v103, v104
	s_cbranch_execz .LBB81_245
	s_branch .LBB81_246
.LBB81_244:
                                        ; implicit-def: $vgpr103
.LBB81_245:
	ds_read_b32 v103, v102
.LBB81_246:
	s_and_saveexec_b64 s[6:7], s[2:3]
	s_cbranch_execz .LBB81_256
; %bb.247:
	v_add_u32_e32 v104, -2, v0
	v_add_u32_e32 v105, -1, v0
	v_cmp_lt_u32_e32 vcc, 6, v104
	v_mov_b32_e32 v104, 1
	s_and_saveexec_b64 s[0:1], vcc
	s_cbranch_execz .LBB81_251
; %bb.248:
	v_and_b32_e32 v104, -8, v105
	v_sub_u32_e32 v106, 0, v104
	s_mov_b64 s[2:3], 8
	s_movk_i32 s10, 0x54
	s_mov_b64 s[8:9], 0
.LBB81_249:                             ; =>This Inner Loop Header: Depth=1
	s_add_i32 s11, s2, -7
	v_mov_b32_e32 v104, s10
	s_add_i32 s12, s2, -6
	s_set_gpr_idx_on s11, gpr_idx(SRC0)
	v_mov_b32_e32 v113, v34
	s_set_gpr_idx_off
	ds_read2_b32 v[107:108], v104 offset1:1
	s_add_i32 s13, s2, -5
	s_set_gpr_idx_on s12, gpr_idx(SRC0)
	v_mov_b32_e32 v114, v34
	s_set_gpr_idx_off
	s_add_i32 s14, s2, -4
	s_set_gpr_idx_on s13, gpr_idx(SRC0)
	v_mov_b32_e32 v115, v34
	s_set_gpr_idx_off
	ds_read2_b32 v[109:110], v104 offset0:2 offset1:3
	s_add_i32 s15, s2, -3
	s_set_gpr_idx_on s14, gpr_idx(SRC0)
	v_mov_b32_e32 v116, v34
	s_set_gpr_idx_off
	s_add_i32 s16, s2, -2
	s_set_gpr_idx_on s15, gpr_idx(SRC0)
	v_mov_b32_e32 v117, v34
	s_set_gpr_idx_off
	ds_read2_b32 v[111:112], v104 offset0:4 offset1:5
	s_add_i32 s17, s2, -1
	s_waitcnt lgkmcnt(2)
	v_fmac_f32_e32 v103, v113, v107
	s_set_gpr_idx_on s16, gpr_idx(SRC0)
	v_mov_b32_e32 v113, v34
	s_set_gpr_idx_off
	v_fmac_f32_e32 v103, v114, v108
	s_set_gpr_idx_on s17, gpr_idx(SRC0)
	v_mov_b32_e32 v114, v34
	s_set_gpr_idx_off
	ds_read2_b32 v[107:108], v104 offset0:6 offset1:7
	s_waitcnt lgkmcnt(2)
	v_fmac_f32_e32 v103, v115, v109
	s_set_gpr_idx_on s2, gpr_idx(SRC0)
	v_mov_b32_e32 v109, v34
	s_set_gpr_idx_off
	v_fmac_f32_e32 v103, v116, v110
	s_add_u32 s2, s2, 8
	s_waitcnt lgkmcnt(1)
	v_fmac_f32_e32 v103, v117, v111
	v_add_u32_e32 v104, s2, v106
	v_fmac_f32_e32 v103, v113, v112
	s_addc_u32 s3, s3, 0
	s_add_i32 s10, s10, 32
	s_add_i32 s11, s2, -7
	v_cmp_eq_u32_e32 vcc, 8, v104
	s_waitcnt lgkmcnt(0)
	v_fmac_f32_e32 v103, v114, v107
	v_mov_b32_e32 v104, s11
	s_or_b64 s[8:9], vcc, s[8:9]
	v_fmac_f32_e32 v103, v109, v108
	s_andn2_b64 exec, exec, s[8:9]
	s_cbranch_execnz .LBB81_249
; %bb.250:
	s_or_b64 exec, exec, s[8:9]
.LBB81_251:
	s_or_b64 exec, exec, s[0:1]
	v_and_b32_e32 v52, 7, v105
	v_cmp_ne_u32_e32 vcc, 0, v52
	s_and_saveexec_b64 s[2:3], vcc
	s_cbranch_execz .LBB81_255
; %bb.252:
	v_mov_b32_e32 v53, 0x50
	v_lshl_add_u32 v53, v104, 2, v53
	v_mov_b32_e32 v54, 0
	s_mov_b64 s[8:9], 0
.LBB81_253:                             ; =>This Inner Loop Header: Depth=1
	v_cmp_eq_u32_e32 vcc, 1, v104
	v_cndmask_b32_e32 v55, v34, v35, vcc
	v_add_u32_e32 v52, -1, v52
	v_cmp_eq_u32_e32 vcc, 2, v104
	v_cndmask_b32_e32 v55, v55, v36, vcc
	v_cmp_eq_u32_e32 vcc, 0, v52
	v_cmp_eq_u32_e64 s[0:1], 3, v104
	v_cndmask_b32_e64 v55, v55, v37, s[0:1]
	s_or_b64 s[8:9], vcc, s[8:9]
	v_cmp_eq_u32_e32 vcc, 4, v104
	v_cndmask_b32_e32 v55, v55, v38, vcc
	v_cmp_eq_u32_e32 vcc, 5, v104
	v_cndmask_b32_e32 v55, v55, v39, vcc
	;; [unrolled: 2-line block ×9, first 2 shown]
	v_cmp_eq_u32_e32 vcc, 13, v104
	ds_read_b32 v56, v53
	v_cndmask_b32_e32 v55, v55, v47, vcc
	v_cmp_eq_u32_e32 vcc, 14, v104
	v_cndmask_b32_e32 v55, v55, v48, vcc
	v_cmp_eq_u32_e32 vcc, 15, v104
	;; [unrolled: 2-line block ×4, first 2 shown]
	v_add_co_u32_e64 v104, s[0:1], 1, v104
	v_cndmask_b32_e32 v55, v55, v51, vcc
	v_add_u32_e32 v53, 4, v53
	v_addc_co_u32_e64 v54, s[0:1], 0, v54, s[0:1]
	s_waitcnt lgkmcnt(0)
	v_fmac_f32_e32 v103, v55, v56
	s_andn2_b64 exec, exec, s[8:9]
	s_cbranch_execnz .LBB81_253
; %bb.254:
	s_or_b64 exec, exec, s[8:9]
.LBB81_255:
	s_or_b64 exec, exec, s[2:3]
.LBB81_256:
	s_or_b64 exec, exec, s[6:7]
	v_mov_b32_e32 v34, 0
	ds_read_b32 v34, v34
	s_waitcnt lgkmcnt(0)
	v_mul_f32_e32 v34, v103, v34
.LBB81_257:
	s_or_b64 exec, exec, s[4:5]
	s_branch .LBB81_431
.LBB81_258:
	v_cmp_eq_u32_e64 s[2:3], 0, v0
	s_waitcnt vmcnt(0) lgkmcnt(0)
	ds_write_b32 v102, v3
	s_waitcnt lgkmcnt(0)
	; wave barrier
	s_and_saveexec_b64 s[0:1], s[2:3]
	s_cbranch_execz .LBB81_264
; %bb.259:
	s_and_b64 vcc, exec, s[38:39]
	s_cbranch_vccz .LBB81_261
; %bb.260:
	v_cmp_eq_u32_e32 vcc, 1, v0
	v_cndmask_b32_e32 v3, v2, v3, vcc
	v_cmp_eq_u32_e32 vcc, 2, v0
	v_cndmask_b32_e32 v3, v3, v4, vcc
	;; [unrolled: 2-line block ×13, first 2 shown]
	v_cmp_eq_u32_e32 vcc, 14, v0
	ds_read_b32 v20, v102
	v_cndmask_b32_e32 v3, v3, v16, vcc
	v_cmp_eq_u32_e32 vcc, 15, v0
	v_cndmask_b32_e32 v3, v3, v17, vcc
	v_cmp_eq_u32_e32 vcc, 16, v0
	;; [unrolled: 2-line block ×3, first 2 shown]
	v_cndmask_b32_e32 v3, v3, v19, vcc
	s_waitcnt lgkmcnt(0)
	v_mul_f32_e32 v3, v3, v20
	s_cbranch_execz .LBB81_262
	s_branch .LBB81_263
.LBB81_261:
                                        ; implicit-def: $vgpr3
.LBB81_262:
	ds_read_b32 v3, v102
.LBB81_263:
	v_mov_b32_e32 v20, 0
	ds_read_b32 v20, v20 offset:4
	s_waitcnt lgkmcnt(0)
	v_mul_f32_e32 v3, v3, v20
.LBB81_264:
	s_or_b64 exec, exec, s[0:1]
	v_cndmask_b32_e64 v34, 0, 1, s[38:39]
	v_cmp_gt_u32_e32 vcc, 2, v0
	v_cmp_ne_u32_e64 s[0:1], 1, v34
	ds_write_b32 v102, v4
	s_waitcnt lgkmcnt(0)
	; wave barrier
	s_and_saveexec_b64 s[4:5], vcc
	s_cbranch_execz .LBB81_270
; %bb.265:
	s_and_b64 vcc, exec, s[0:1]
	s_cbranch_vccnz .LBB81_267
; %bb.266:
	v_cmp_eq_u32_e32 vcc, 1, v0
	v_cndmask_b32_e32 v20, v2, v3, vcc
	v_cmp_eq_u32_e32 vcc, 2, v0
	v_cndmask_b32_e32 v4, v20, v4, vcc
	;; [unrolled: 2-line block ×13, first 2 shown]
	v_cmp_eq_u32_e32 vcc, 14, v0
	ds_read_b32 v20, v102
	v_cndmask_b32_e32 v4, v4, v16, vcc
	v_cmp_eq_u32_e32 vcc, 15, v0
	v_cndmask_b32_e32 v4, v4, v17, vcc
	v_cmp_eq_u32_e32 vcc, 16, v0
	;; [unrolled: 2-line block ×3, first 2 shown]
	v_cndmask_b32_e32 v4, v4, v19, vcc
	s_waitcnt lgkmcnt(0)
	v_mul_f32_e32 v4, v4, v20
	s_cbranch_execz .LBB81_268
	s_branch .LBB81_269
.LBB81_267:
                                        ; implicit-def: $vgpr4
.LBB81_268:
	ds_read_b32 v4, v102
.LBB81_269:
	v_mov_b32_e32 v20, 0
	ds_read2_b32 v[20:21], v20 offset0:2 offset1:21
	s_waitcnt lgkmcnt(0)
	v_fma_f32 v21, v3, v21, v4
	v_cndmask_b32_e64 v4, v4, v21, s[2:3]
	v_mul_f32_e32 v4, v4, v20
.LBB81_270:
	s_or_b64 exec, exec, s[4:5]
	v_add_u32_e32 v34, 1, v0
	v_cmp_gt_u32_e64 s[4:5], 3, v0
	ds_write_b32 v102, v5
	s_waitcnt lgkmcnt(0)
	; wave barrier
	s_and_saveexec_b64 s[6:7], s[4:5]
	s_cbranch_execz .LBB81_278
; %bb.271:
	s_and_b64 vcc, exec, s[0:1]
	s_cbranch_vccnz .LBB81_273
; %bb.272:
	v_cmp_eq_u32_e32 vcc, 1, v0
	v_cndmask_b32_e32 v20, v2, v3, vcc
	v_cmp_eq_u32_e32 vcc, 2, v0
	v_cndmask_b32_e32 v20, v20, v4, vcc
	;; [unrolled: 2-line block ×13, first 2 shown]
	v_cmp_eq_u32_e32 vcc, 14, v0
	ds_read_b32 v21, v102
	v_cndmask_b32_e32 v20, v20, v16, vcc
	v_cmp_eq_u32_e32 vcc, 15, v0
	v_cndmask_b32_e32 v20, v20, v17, vcc
	v_cmp_eq_u32_e32 vcc, 16, v0
	;; [unrolled: 2-line block ×3, first 2 shown]
	v_cndmask_b32_e32 v20, v20, v19, vcc
	s_waitcnt lgkmcnt(0)
	v_mul_f32_e32 v20, v20, v21
	s_cbranch_execz .LBB81_274
	s_branch .LBB81_275
.LBB81_273:
                                        ; implicit-def: $vgpr20
.LBB81_274:
	ds_read_b32 v20, v102
.LBB81_275:
	v_cmp_ne_u32_e32 vcc, 2, v0
	s_and_saveexec_b64 s[8:9], vcc
	s_cbranch_execz .LBB81_277
; %bb.276:
	v_cmp_eq_u32_e32 vcc, 1, v34
	v_cndmask_b32_e32 v21, v2, v3, vcc
	v_cmp_eq_u32_e32 vcc, 2, v34
	v_cndmask_b32_e32 v21, v21, v4, vcc
	;; [unrolled: 2-line block ×13, first 2 shown]
	v_cmp_eq_u32_e32 vcc, 14, v34
	v_mov_b32_e32 v21, 0
	v_cndmask_b32_e32 v5, v5, v16, vcc
	v_cmp_eq_u32_e32 vcc, 15, v34
	ds_read_b32 v22, v102 offset:4
	ds_read_b32 v21, v21 offset:88
	v_cndmask_b32_e32 v5, v5, v17, vcc
	v_cmp_eq_u32_e32 vcc, 16, v34
	v_cndmask_b32_e32 v5, v5, v18, vcc
	v_cmp_eq_u32_e32 vcc, 17, v34
	v_cndmask_b32_e32 v5, v5, v19, vcc
	s_waitcnt lgkmcnt(1)
	v_fmac_f32_e32 v20, v5, v22
	s_waitcnt lgkmcnt(0)
	v_fma_f32 v5, v4, v21, v20
	v_cndmask_b32_e64 v20, v20, v5, s[2:3]
.LBB81_277:
	s_or_b64 exec, exec, s[8:9]
	v_mov_b32_e32 v5, 0
	ds_read_b32 v5, v5 offset:12
	s_waitcnt lgkmcnt(0)
	v_mul_f32_e32 v5, v20, v5
.LBB81_278:
	s_or_b64 exec, exec, s[6:7]
	v_cmp_gt_u32_e32 vcc, 4, v0
	ds_write_b32 v102, v6
	s_waitcnt lgkmcnt(0)
	; wave barrier
	s_and_saveexec_b64 s[8:9], vcc
	s_cbranch_execz .LBB81_288
; %bb.279:
	s_and_b64 vcc, exec, s[0:1]
	s_cbranch_vccnz .LBB81_281
; %bb.280:
	v_cmp_eq_u32_e32 vcc, 1, v0
	v_cndmask_b32_e32 v20, v2, v3, vcc
	v_cmp_eq_u32_e32 vcc, 2, v0
	v_cndmask_b32_e32 v20, v20, v4, vcc
	;; [unrolled: 2-line block ×13, first 2 shown]
	v_cmp_eq_u32_e32 vcc, 14, v0
	ds_read_b32 v21, v102
	v_cndmask_b32_e32 v20, v20, v16, vcc
	v_cmp_eq_u32_e32 vcc, 15, v0
	v_cndmask_b32_e32 v20, v20, v17, vcc
	v_cmp_eq_u32_e32 vcc, 16, v0
	;; [unrolled: 2-line block ×3, first 2 shown]
	v_cndmask_b32_e32 v20, v20, v19, vcc
	s_waitcnt lgkmcnt(0)
	v_mul_f32_e32 v22, v20, v21
	s_cbranch_execz .LBB81_282
	s_branch .LBB81_283
.LBB81_281:
                                        ; implicit-def: $vgpr22
.LBB81_282:
	ds_read_b32 v22, v102
.LBB81_283:
	v_cmp_ne_u32_e32 vcc, 3, v0
	s_and_saveexec_b64 s[10:11], vcc
	s_cbranch_execz .LBB81_287
; %bb.284:
	v_mov_b32_e32 v20, 0x54
	v_lshl_add_u32 v23, v0, 2, v20
	v_mov_b32_e32 v21, v1
	s_mov_b64 s[12:13], 0
	v_mov_b32_e32 v20, v0
.LBB81_285:                             ; =>This Inner Loop Header: Depth=1
	v_add_co_u32_e32 v20, vcc, 1, v20
	v_addc_co_u32_e32 v21, vcc, 0, v21, vcc
	v_cmp_eq_u32_e32 vcc, 1, v20
	v_cndmask_b32_e32 v25, v2, v3, vcc
	v_cmp_lt_u32_e32 vcc, 2, v20
	v_cmp_eq_u32_e64 s[6:7], 2, v20
	v_cndmask_b32_e64 v25, v25, v4, s[6:7]
	s_or_b64 s[12:13], vcc, s[12:13]
	v_cmp_eq_u32_e32 vcc, 3, v20
	v_cndmask_b32_e32 v25, v25, v5, vcc
	v_cmp_eq_u32_e32 vcc, 4, v20
	v_cndmask_b32_e32 v25, v25, v6, vcc
	;; [unrolled: 2-line block ×10, first 2 shown]
	v_cmp_eq_u32_e32 vcc, 13, v20
	ds_read_b32 v24, v23
	v_cndmask_b32_e32 v25, v25, v15, vcc
	v_cmp_eq_u32_e32 vcc, 14, v20
	v_cndmask_b32_e32 v25, v25, v16, vcc
	v_cmp_eq_u32_e32 vcc, 15, v20
	;; [unrolled: 2-line block ×4, first 2 shown]
	v_cndmask_b32_e32 v25, v25, v19, vcc
	v_add_u32_e32 v23, 4, v23
	s_waitcnt lgkmcnt(0)
	v_fmac_f32_e32 v22, v25, v24
	s_andn2_b64 exec, exec, s[12:13]
	s_cbranch_execnz .LBB81_285
; %bb.286:
	s_or_b64 exec, exec, s[12:13]
.LBB81_287:
	s_or_b64 exec, exec, s[10:11]
	v_mov_b32_e32 v6, 0
	ds_read_b32 v6, v6 offset:16
	s_waitcnt lgkmcnt(0)
	v_mul_f32_e32 v6, v22, v6
.LBB81_288:
	s_or_b64 exec, exec, s[8:9]
	v_cmp_gt_u32_e64 s[6:7], 5, v0
	ds_write_b32 v102, v7
	s_waitcnt lgkmcnt(0)
	; wave barrier
	s_and_saveexec_b64 s[10:11], s[6:7]
	s_cbranch_execz .LBB81_298
; %bb.289:
	s_and_b64 vcc, exec, s[0:1]
	s_cbranch_vccnz .LBB81_291
; %bb.290:
	v_cmp_eq_u32_e32 vcc, 1, v0
	v_cndmask_b32_e32 v20, v2, v3, vcc
	v_cmp_eq_u32_e32 vcc, 2, v0
	v_cndmask_b32_e32 v20, v20, v4, vcc
	;; [unrolled: 2-line block ×13, first 2 shown]
	v_cmp_eq_u32_e32 vcc, 14, v0
	ds_read_b32 v21, v102
	v_cndmask_b32_e32 v20, v20, v16, vcc
	v_cmp_eq_u32_e32 vcc, 15, v0
	v_cndmask_b32_e32 v20, v20, v17, vcc
	v_cmp_eq_u32_e32 vcc, 16, v0
	;; [unrolled: 2-line block ×3, first 2 shown]
	v_cndmask_b32_e32 v20, v20, v19, vcc
	s_waitcnt lgkmcnt(0)
	v_mul_f32_e32 v22, v20, v21
	s_cbranch_execz .LBB81_292
	s_branch .LBB81_293
.LBB81_291:
                                        ; implicit-def: $vgpr22
.LBB81_292:
	ds_read_b32 v22, v102
.LBB81_293:
	v_cmp_ne_u32_e32 vcc, 4, v0
	s_and_saveexec_b64 s[12:13], vcc
	s_cbranch_execz .LBB81_297
; %bb.294:
	v_mov_b32_e32 v20, 0x54
	v_lshl_add_u32 v23, v0, 2, v20
	v_mov_b32_e32 v21, v1
	s_mov_b64 s[14:15], 0
	v_mov_b32_e32 v20, v0
.LBB81_295:                             ; =>This Inner Loop Header: Depth=1
	v_add_co_u32_e32 v20, vcc, 1, v20
	v_addc_co_u32_e32 v21, vcc, 0, v21, vcc
	v_cmp_eq_u32_e32 vcc, 1, v20
	v_cndmask_b32_e32 v25, v2, v3, vcc
	v_cmp_lt_u32_e32 vcc, 3, v20
	v_cmp_eq_u32_e64 s[8:9], 2, v20
	v_cndmask_b32_e64 v25, v25, v4, s[8:9]
	s_or_b64 s[14:15], vcc, s[14:15]
	v_cmp_eq_u32_e32 vcc, 3, v20
	v_cndmask_b32_e32 v25, v25, v5, vcc
	v_cmp_eq_u32_e32 vcc, 4, v20
	v_cndmask_b32_e32 v25, v25, v6, vcc
	;; [unrolled: 2-line block ×10, first 2 shown]
	v_cmp_eq_u32_e32 vcc, 13, v20
	ds_read_b32 v24, v23
	v_cndmask_b32_e32 v25, v25, v15, vcc
	v_cmp_eq_u32_e32 vcc, 14, v20
	v_cndmask_b32_e32 v25, v25, v16, vcc
	v_cmp_eq_u32_e32 vcc, 15, v20
	;; [unrolled: 2-line block ×4, first 2 shown]
	v_cndmask_b32_e32 v25, v25, v19, vcc
	v_add_u32_e32 v23, 4, v23
	s_waitcnt lgkmcnt(0)
	v_fmac_f32_e32 v22, v25, v24
	s_andn2_b64 exec, exec, s[14:15]
	s_cbranch_execnz .LBB81_295
; %bb.296:
	s_or_b64 exec, exec, s[14:15]
.LBB81_297:
	s_or_b64 exec, exec, s[12:13]
	v_mov_b32_e32 v7, 0
	ds_read_b32 v7, v7 offset:20
	s_waitcnt lgkmcnt(0)
	v_mul_f32_e32 v7, v22, v7
.LBB81_298:
	s_or_b64 exec, exec, s[10:11]
	v_cmp_gt_u32_e32 vcc, 6, v0
	ds_write_b32 v102, v8
	s_waitcnt lgkmcnt(0)
	; wave barrier
	s_and_saveexec_b64 s[10:11], vcc
	s_cbranch_execz .LBB81_308
; %bb.299:
	s_and_b64 vcc, exec, s[0:1]
	s_cbranch_vccnz .LBB81_301
; %bb.300:
	v_cmp_eq_u32_e32 vcc, 1, v0
	v_cndmask_b32_e32 v20, v2, v3, vcc
	v_cmp_eq_u32_e32 vcc, 2, v0
	v_cndmask_b32_e32 v20, v20, v4, vcc
	;; [unrolled: 2-line block ×13, first 2 shown]
	v_cmp_eq_u32_e32 vcc, 14, v0
	ds_read_b32 v21, v102
	v_cndmask_b32_e32 v20, v20, v16, vcc
	v_cmp_eq_u32_e32 vcc, 15, v0
	v_cndmask_b32_e32 v20, v20, v17, vcc
	v_cmp_eq_u32_e32 vcc, 16, v0
	;; [unrolled: 2-line block ×3, first 2 shown]
	v_cndmask_b32_e32 v20, v20, v19, vcc
	s_waitcnt lgkmcnt(0)
	v_mul_f32_e32 v22, v20, v21
	s_cbranch_execz .LBB81_302
	s_branch .LBB81_303
.LBB81_301:
                                        ; implicit-def: $vgpr22
.LBB81_302:
	ds_read_b32 v22, v102
.LBB81_303:
	v_cmp_ne_u32_e32 vcc, 5, v0
	s_and_saveexec_b64 s[12:13], vcc
	s_cbranch_execz .LBB81_307
; %bb.304:
	v_mov_b32_e32 v20, 0x54
	v_lshl_add_u32 v23, v0, 2, v20
	v_mov_b32_e32 v21, v1
	s_mov_b64 s[14:15], 0
	v_mov_b32_e32 v20, v0
.LBB81_305:                             ; =>This Inner Loop Header: Depth=1
	v_add_co_u32_e32 v20, vcc, 1, v20
	v_addc_co_u32_e32 v21, vcc, 0, v21, vcc
	v_cmp_eq_u32_e32 vcc, 1, v20
	v_cndmask_b32_e32 v25, v2, v3, vcc
	v_cmp_lt_u32_e32 vcc, 4, v20
	v_cmp_eq_u32_e64 s[8:9], 2, v20
	v_cndmask_b32_e64 v25, v25, v4, s[8:9]
	s_or_b64 s[14:15], vcc, s[14:15]
	v_cmp_eq_u32_e32 vcc, 3, v20
	v_cndmask_b32_e32 v25, v25, v5, vcc
	v_cmp_eq_u32_e32 vcc, 4, v20
	v_cndmask_b32_e32 v25, v25, v6, vcc
	;; [unrolled: 2-line block ×10, first 2 shown]
	v_cmp_eq_u32_e32 vcc, 13, v20
	ds_read_b32 v24, v23
	v_cndmask_b32_e32 v25, v25, v15, vcc
	v_cmp_eq_u32_e32 vcc, 14, v20
	v_cndmask_b32_e32 v25, v25, v16, vcc
	v_cmp_eq_u32_e32 vcc, 15, v20
	v_cndmask_b32_e32 v25, v25, v17, vcc
	v_cmp_eq_u32_e32 vcc, 16, v20
	v_cndmask_b32_e32 v25, v25, v18, vcc
	v_cmp_eq_u32_e32 vcc, 17, v20
	v_cndmask_b32_e32 v25, v25, v19, vcc
	v_add_u32_e32 v23, 4, v23
	s_waitcnt lgkmcnt(0)
	v_fmac_f32_e32 v22, v25, v24
	s_andn2_b64 exec, exec, s[14:15]
	s_cbranch_execnz .LBB81_305
; %bb.306:
	s_or_b64 exec, exec, s[14:15]
.LBB81_307:
	s_or_b64 exec, exec, s[12:13]
	v_mov_b32_e32 v8, 0
	ds_read_b32 v8, v8 offset:24
	s_waitcnt lgkmcnt(0)
	v_mul_f32_e32 v8, v22, v8
.LBB81_308:
	s_or_b64 exec, exec, s[10:11]
	v_cmp_gt_u32_e64 s[8:9], 7, v0
	ds_write_b32 v102, v9
	s_waitcnt lgkmcnt(0)
	; wave barrier
	s_and_saveexec_b64 s[12:13], s[8:9]
	s_cbranch_execz .LBB81_318
; %bb.309:
	s_and_b64 vcc, exec, s[0:1]
	s_cbranch_vccnz .LBB81_311
; %bb.310:
	v_cmp_eq_u32_e32 vcc, 1, v0
	v_cndmask_b32_e32 v20, v2, v3, vcc
	v_cmp_eq_u32_e32 vcc, 2, v0
	v_cndmask_b32_e32 v20, v20, v4, vcc
	;; [unrolled: 2-line block ×13, first 2 shown]
	v_cmp_eq_u32_e32 vcc, 14, v0
	ds_read_b32 v21, v102
	v_cndmask_b32_e32 v20, v20, v16, vcc
	v_cmp_eq_u32_e32 vcc, 15, v0
	v_cndmask_b32_e32 v20, v20, v17, vcc
	v_cmp_eq_u32_e32 vcc, 16, v0
	;; [unrolled: 2-line block ×3, first 2 shown]
	v_cndmask_b32_e32 v20, v20, v19, vcc
	s_waitcnt lgkmcnt(0)
	v_mul_f32_e32 v22, v20, v21
	s_cbranch_execz .LBB81_312
	s_branch .LBB81_313
.LBB81_311:
                                        ; implicit-def: $vgpr22
.LBB81_312:
	ds_read_b32 v22, v102
.LBB81_313:
	v_cmp_ne_u32_e32 vcc, 6, v0
	s_and_saveexec_b64 s[14:15], vcc
	s_cbranch_execz .LBB81_317
; %bb.314:
	v_mov_b32_e32 v20, 0x54
	v_lshl_add_u32 v23, v0, 2, v20
	v_mov_b32_e32 v21, v1
	s_mov_b64 s[16:17], 0
	v_mov_b32_e32 v20, v0
.LBB81_315:                             ; =>This Inner Loop Header: Depth=1
	v_add_co_u32_e32 v20, vcc, 1, v20
	v_addc_co_u32_e32 v21, vcc, 0, v21, vcc
	v_cmp_eq_u32_e32 vcc, 1, v20
	v_cndmask_b32_e32 v25, v2, v3, vcc
	v_cmp_lt_u32_e32 vcc, 5, v20
	v_cmp_eq_u32_e64 s[10:11], 2, v20
	v_cndmask_b32_e64 v25, v25, v4, s[10:11]
	s_or_b64 s[16:17], vcc, s[16:17]
	v_cmp_eq_u32_e32 vcc, 3, v20
	v_cndmask_b32_e32 v25, v25, v5, vcc
	v_cmp_eq_u32_e32 vcc, 4, v20
	v_cndmask_b32_e32 v25, v25, v6, vcc
	;; [unrolled: 2-line block ×10, first 2 shown]
	v_cmp_eq_u32_e32 vcc, 13, v20
	ds_read_b32 v24, v23
	v_cndmask_b32_e32 v25, v25, v15, vcc
	v_cmp_eq_u32_e32 vcc, 14, v20
	v_cndmask_b32_e32 v25, v25, v16, vcc
	v_cmp_eq_u32_e32 vcc, 15, v20
	;; [unrolled: 2-line block ×4, first 2 shown]
	v_cndmask_b32_e32 v25, v25, v19, vcc
	v_add_u32_e32 v23, 4, v23
	s_waitcnt lgkmcnt(0)
	v_fmac_f32_e32 v22, v25, v24
	s_andn2_b64 exec, exec, s[16:17]
	s_cbranch_execnz .LBB81_315
; %bb.316:
	s_or_b64 exec, exec, s[16:17]
.LBB81_317:
	s_or_b64 exec, exec, s[14:15]
	v_mov_b32_e32 v9, 0
	ds_read_b32 v9, v9 offset:28
	s_waitcnt lgkmcnt(0)
	v_mul_f32_e32 v9, v22, v9
.LBB81_318:
	s_or_b64 exec, exec, s[12:13]
	v_cmp_gt_u32_e32 vcc, 8, v0
	ds_write_b32 v102, v10
	s_waitcnt lgkmcnt(0)
	; wave barrier
	s_and_saveexec_b64 s[12:13], vcc
	s_cbranch_execz .LBB81_328
; %bb.319:
	s_and_b64 vcc, exec, s[0:1]
	s_cbranch_vccnz .LBB81_321
; %bb.320:
	v_cmp_eq_u32_e32 vcc, 1, v0
	v_cndmask_b32_e32 v20, v2, v3, vcc
	v_cmp_eq_u32_e32 vcc, 2, v0
	v_cndmask_b32_e32 v20, v20, v4, vcc
	;; [unrolled: 2-line block ×13, first 2 shown]
	v_cmp_eq_u32_e32 vcc, 14, v0
	ds_read_b32 v21, v102
	v_cndmask_b32_e32 v20, v20, v16, vcc
	v_cmp_eq_u32_e32 vcc, 15, v0
	v_cndmask_b32_e32 v20, v20, v17, vcc
	v_cmp_eq_u32_e32 vcc, 16, v0
	;; [unrolled: 2-line block ×3, first 2 shown]
	v_cndmask_b32_e32 v20, v20, v19, vcc
	s_waitcnt lgkmcnt(0)
	v_mul_f32_e32 v22, v20, v21
	s_cbranch_execz .LBB81_322
	s_branch .LBB81_323
.LBB81_321:
                                        ; implicit-def: $vgpr22
.LBB81_322:
	ds_read_b32 v22, v102
.LBB81_323:
	v_cmp_ne_u32_e32 vcc, 7, v0
	s_and_saveexec_b64 s[14:15], vcc
	s_cbranch_execz .LBB81_327
; %bb.324:
	v_mov_b32_e32 v20, 0x54
	v_lshl_add_u32 v23, v0, 2, v20
	v_mov_b32_e32 v21, v1
	s_mov_b64 s[16:17], 0
	v_mov_b32_e32 v20, v0
.LBB81_325:                             ; =>This Inner Loop Header: Depth=1
	v_add_co_u32_e32 v20, vcc, 1, v20
	v_addc_co_u32_e32 v21, vcc, 0, v21, vcc
	v_cmp_eq_u32_e32 vcc, 1, v20
	v_cndmask_b32_e32 v25, v2, v3, vcc
	v_cmp_lt_u32_e32 vcc, 6, v20
	v_cmp_eq_u32_e64 s[10:11], 2, v20
	v_cndmask_b32_e64 v25, v25, v4, s[10:11]
	s_or_b64 s[16:17], vcc, s[16:17]
	v_cmp_eq_u32_e32 vcc, 3, v20
	v_cndmask_b32_e32 v25, v25, v5, vcc
	v_cmp_eq_u32_e32 vcc, 4, v20
	v_cndmask_b32_e32 v25, v25, v6, vcc
	;; [unrolled: 2-line block ×10, first 2 shown]
	v_cmp_eq_u32_e32 vcc, 13, v20
	ds_read_b32 v24, v23
	v_cndmask_b32_e32 v25, v25, v15, vcc
	v_cmp_eq_u32_e32 vcc, 14, v20
	v_cndmask_b32_e32 v25, v25, v16, vcc
	v_cmp_eq_u32_e32 vcc, 15, v20
	;; [unrolled: 2-line block ×4, first 2 shown]
	v_cndmask_b32_e32 v25, v25, v19, vcc
	v_add_u32_e32 v23, 4, v23
	s_waitcnt lgkmcnt(0)
	v_fmac_f32_e32 v22, v25, v24
	s_andn2_b64 exec, exec, s[16:17]
	s_cbranch_execnz .LBB81_325
; %bb.326:
	s_or_b64 exec, exec, s[16:17]
.LBB81_327:
	s_or_b64 exec, exec, s[14:15]
	v_mov_b32_e32 v10, 0
	ds_read_b32 v10, v10 offset:32
	s_waitcnt lgkmcnt(0)
	v_mul_f32_e32 v10, v22, v10
.LBB81_328:
	s_or_b64 exec, exec, s[12:13]
	v_cmp_gt_u32_e32 vcc, 9, v0
	ds_write_b32 v102, v11
	s_waitcnt lgkmcnt(0)
	; wave barrier
	s_and_saveexec_b64 s[10:11], vcc
	s_cbranch_execz .LBB81_350
; %bb.329:
	s_and_b64 vcc, exec, s[0:1]
	s_cbranch_vccnz .LBB81_331
; %bb.330:
	v_cmp_eq_u32_e32 vcc, 1, v0
	v_cndmask_b32_e32 v20, v2, v3, vcc
	v_cmp_eq_u32_e32 vcc, 2, v0
	v_cndmask_b32_e32 v20, v20, v4, vcc
	;; [unrolled: 2-line block ×13, first 2 shown]
	v_cmp_eq_u32_e32 vcc, 14, v0
	ds_read_b32 v21, v102
	v_cndmask_b32_e32 v20, v20, v16, vcc
	v_cmp_eq_u32_e32 vcc, 15, v0
	v_cndmask_b32_e32 v20, v20, v17, vcc
	v_cmp_eq_u32_e32 vcc, 16, v0
	;; [unrolled: 2-line block ×3, first 2 shown]
	v_cndmask_b32_e32 v20, v20, v19, vcc
	s_waitcnt lgkmcnt(0)
	v_mul_f32_e32 v20, v20, v21
	s_cbranch_execz .LBB81_332
	s_branch .LBB81_333
.LBB81_331:
                                        ; implicit-def: $vgpr20
.LBB81_332:
	ds_read_b32 v20, v102
.LBB81_333:
	v_cmp_ne_u32_e32 vcc, 8, v0
	s_and_saveexec_b64 s[12:13], vcc
	s_cbranch_execz .LBB81_349
; %bb.334:
	v_cmp_eq_u32_e32 vcc, 1, v34
	v_cndmask_b32_e32 v21, v2, v3, vcc
	v_cmp_eq_u32_e32 vcc, 2, v34
	v_cndmask_b32_e32 v21, v21, v4, vcc
	;; [unrolled: 2-line block ×13, first 2 shown]
	v_cmp_eq_u32_e32 vcc, 14, v34
	ds_read_b32 v22, v102 offset:4
	v_cndmask_b32_e32 v21, v21, v16, vcc
	v_cmp_eq_u32_e32 vcc, 15, v34
	v_cndmask_b32_e32 v21, v21, v17, vcc
	v_cmp_eq_u32_e32 vcc, 16, v34
	;; [unrolled: 2-line block ×3, first 2 shown]
	v_cndmask_b32_e32 v21, v21, v19, vcc
	s_waitcnt lgkmcnt(0)
	v_fmac_f32_e32 v20, v21, v22
	s_and_saveexec_b64 s[14:15], s[8:9]
	s_cbranch_execz .LBB81_348
; %bb.335:
	v_add_u32_e32 v21, 2, v0
	v_cmp_eq_u32_e32 vcc, 1, v21
	v_cndmask_b32_e32 v22, v2, v3, vcc
	v_cmp_eq_u32_e32 vcc, 2, v21
	v_cndmask_b32_e32 v22, v22, v4, vcc
	;; [unrolled: 2-line block ×13, first 2 shown]
	v_cmp_eq_u32_e32 vcc, 14, v21
	ds_read_b32 v23, v102 offset:8
	v_cndmask_b32_e32 v22, v22, v16, vcc
	v_cmp_eq_u32_e32 vcc, 15, v21
	v_cndmask_b32_e32 v22, v22, v17, vcc
	v_cmp_eq_u32_e32 vcc, 16, v21
	;; [unrolled: 2-line block ×3, first 2 shown]
	v_cndmask_b32_e32 v21, v22, v19, vcc
	s_waitcnt lgkmcnt(0)
	v_fmac_f32_e32 v20, v21, v23
	v_cmp_ne_u32_e32 vcc, 6, v0
	s_and_saveexec_b64 s[8:9], vcc
	s_cbranch_execz .LBB81_347
; %bb.336:
	v_add_u32_e32 v21, 3, v0
	v_cmp_eq_u32_e32 vcc, 1, v21
	v_cndmask_b32_e32 v22, v2, v3, vcc
	v_cmp_eq_u32_e32 vcc, 2, v21
	v_cndmask_b32_e32 v22, v22, v4, vcc
	v_cmp_eq_u32_e32 vcc, 3, v21
	v_cndmask_b32_e32 v22, v22, v5, vcc
	v_cmp_eq_u32_e32 vcc, 4, v21
	v_cndmask_b32_e32 v22, v22, v6, vcc
	v_cmp_eq_u32_e32 vcc, 5, v21
	v_cndmask_b32_e32 v22, v22, v7, vcc
	v_cmp_eq_u32_e32 vcc, 6, v21
	v_cndmask_b32_e32 v22, v22, v8, vcc
	v_cmp_eq_u32_e32 vcc, 7, v21
	v_cndmask_b32_e32 v22, v22, v9, vcc
	v_cmp_eq_u32_e32 vcc, 8, v21
	v_cndmask_b32_e32 v22, v22, v10, vcc
	v_cmp_eq_u32_e32 vcc, 9, v21
	v_cndmask_b32_e32 v22, v22, v11, vcc
	v_cmp_eq_u32_e32 vcc, 10, v21
	v_cndmask_b32_e32 v22, v22, v12, vcc
	v_cmp_eq_u32_e32 vcc, 11, v21
	v_cndmask_b32_e32 v22, v22, v13, vcc
	v_cmp_eq_u32_e32 vcc, 12, v21
	v_cndmask_b32_e32 v22, v22, v14, vcc
	v_cmp_eq_u32_e32 vcc, 13, v21
	v_cndmask_b32_e32 v22, v22, v15, vcc
	v_cmp_eq_u32_e32 vcc, 14, v21
	ds_read_b32 v23, v102 offset:12
	v_cndmask_b32_e32 v22, v22, v16, vcc
	v_cmp_eq_u32_e32 vcc, 15, v21
	v_cndmask_b32_e32 v22, v22, v17, vcc
	v_cmp_eq_u32_e32 vcc, 16, v21
	;; [unrolled: 2-line block ×3, first 2 shown]
	v_cndmask_b32_e32 v21, v22, v19, vcc
	s_waitcnt lgkmcnt(0)
	v_fmac_f32_e32 v20, v21, v23
	s_and_saveexec_b64 s[16:17], s[6:7]
	s_cbranch_execz .LBB81_346
; %bb.337:
	v_add_u32_e32 v21, 4, v0
	v_cmp_eq_u32_e32 vcc, 1, v21
	v_cndmask_b32_e32 v22, v2, v3, vcc
	v_cmp_eq_u32_e32 vcc, 2, v21
	v_cndmask_b32_e32 v22, v22, v4, vcc
	v_cmp_eq_u32_e32 vcc, 3, v21
	v_cndmask_b32_e32 v22, v22, v5, vcc
	v_cmp_eq_u32_e32 vcc, 4, v21
	v_cndmask_b32_e32 v22, v22, v6, vcc
	v_cmp_eq_u32_e32 vcc, 5, v21
	v_cndmask_b32_e32 v22, v22, v7, vcc
	v_cmp_eq_u32_e32 vcc, 6, v21
	v_cndmask_b32_e32 v22, v22, v8, vcc
	v_cmp_eq_u32_e32 vcc, 7, v21
	v_cndmask_b32_e32 v22, v22, v9, vcc
	v_cmp_eq_u32_e32 vcc, 8, v21
	v_cndmask_b32_e32 v22, v22, v10, vcc
	v_cmp_eq_u32_e32 vcc, 9, v21
	v_cndmask_b32_e32 v22, v22, v11, vcc
	v_cmp_eq_u32_e32 vcc, 10, v21
	v_cndmask_b32_e32 v22, v22, v12, vcc
	v_cmp_eq_u32_e32 vcc, 11, v21
	v_cndmask_b32_e32 v22, v22, v13, vcc
	v_cmp_eq_u32_e32 vcc, 12, v21
	v_cndmask_b32_e32 v22, v22, v14, vcc
	v_cmp_eq_u32_e32 vcc, 13, v21
	v_cndmask_b32_e32 v22, v22, v15, vcc
	v_cmp_eq_u32_e32 vcc, 14, v21
	ds_read_b32 v23, v102 offset:16
	v_cndmask_b32_e32 v22, v22, v16, vcc
	v_cmp_eq_u32_e32 vcc, 15, v21
	v_cndmask_b32_e32 v22, v22, v17, vcc
	v_cmp_eq_u32_e32 vcc, 16, v21
	;; [unrolled: 2-line block ×3, first 2 shown]
	v_cndmask_b32_e32 v21, v22, v19, vcc
	s_waitcnt lgkmcnt(0)
	v_fmac_f32_e32 v20, v21, v23
	v_cmp_ne_u32_e32 vcc, 4, v0
	s_and_saveexec_b64 s[6:7], vcc
	s_cbranch_execz .LBB81_345
; %bb.338:
	v_add_u32_e32 v21, 5, v0
	v_cmp_eq_u32_e32 vcc, 1, v21
	v_cndmask_b32_e32 v22, v2, v3, vcc
	v_cmp_eq_u32_e32 vcc, 2, v21
	v_cndmask_b32_e32 v22, v22, v4, vcc
	;; [unrolled: 2-line block ×13, first 2 shown]
	v_cmp_eq_u32_e32 vcc, 14, v21
	ds_read_b32 v23, v102 offset:20
	v_cndmask_b32_e32 v22, v22, v16, vcc
	v_cmp_eq_u32_e32 vcc, 15, v21
	v_cndmask_b32_e32 v22, v22, v17, vcc
	v_cmp_eq_u32_e32 vcc, 16, v21
	;; [unrolled: 2-line block ×3, first 2 shown]
	v_cndmask_b32_e32 v21, v22, v19, vcc
	s_waitcnt lgkmcnt(0)
	v_fmac_f32_e32 v20, v21, v23
	s_and_saveexec_b64 s[18:19], s[4:5]
	s_cbranch_execz .LBB81_344
; %bb.339:
	v_add_u32_e32 v21, 6, v0
	v_cmp_eq_u32_e32 vcc, 1, v21
	v_cndmask_b32_e32 v22, v2, v3, vcc
	v_cmp_eq_u32_e32 vcc, 2, v21
	v_cndmask_b32_e32 v22, v22, v4, vcc
	;; [unrolled: 2-line block ×13, first 2 shown]
	v_cmp_eq_u32_e32 vcc, 14, v21
	ds_read_b32 v23, v102 offset:24
	v_cndmask_b32_e32 v22, v22, v16, vcc
	v_cmp_eq_u32_e32 vcc, 15, v21
	v_cndmask_b32_e32 v22, v22, v17, vcc
	v_cmp_eq_u32_e32 vcc, 16, v21
	;; [unrolled: 2-line block ×3, first 2 shown]
	v_cndmask_b32_e32 v21, v22, v19, vcc
	s_waitcnt lgkmcnt(0)
	v_fmac_f32_e32 v20, v21, v23
	v_cmp_ne_u32_e32 vcc, 2, v0
	s_and_saveexec_b64 s[4:5], vcc
	s_cbranch_execz .LBB81_343
; %bb.340:
	v_add_u32_e32 v21, 7, v0
	v_cmp_eq_u32_e32 vcc, 1, v21
	v_cndmask_b32_e32 v22, v2, v3, vcc
	v_cmp_eq_u32_e32 vcc, 2, v21
	v_cndmask_b32_e32 v22, v22, v4, vcc
	;; [unrolled: 2-line block ×13, first 2 shown]
	v_cmp_eq_u32_e32 vcc, 14, v21
	ds_read_b32 v22, v102 offset:28
	v_cndmask_b32_e32 v11, v11, v16, vcc
	v_cmp_eq_u32_e32 vcc, 15, v21
	v_cndmask_b32_e32 v11, v11, v17, vcc
	v_cmp_eq_u32_e32 vcc, 16, v21
	;; [unrolled: 2-line block ×3, first 2 shown]
	v_cndmask_b32_e32 v11, v11, v19, vcc
	s_waitcnt lgkmcnt(0)
	v_fmac_f32_e32 v20, v11, v22
	s_and_saveexec_b64 s[20:21], s[2:3]
	s_cbranch_execz .LBB81_342
; %bb.341:
	ds_read_b32 v11, v102 offset:32
	s_waitcnt lgkmcnt(0)
	v_fmac_f32_e32 v20, v10, v11
.LBB81_342:
	s_or_b64 exec, exec, s[20:21]
.LBB81_343:
	s_or_b64 exec, exec, s[4:5]
.LBB81_344:
	s_or_b64 exec, exec, s[18:19]
.LBB81_345:
	s_or_b64 exec, exec, s[6:7]
.LBB81_346:
	s_or_b64 exec, exec, s[16:17]
.LBB81_347:
	s_or_b64 exec, exec, s[8:9]
.LBB81_348:
	s_or_b64 exec, exec, s[14:15]
.LBB81_349:
	s_or_b64 exec, exec, s[12:13]
	v_mov_b32_e32 v11, 0
	ds_read_b32 v11, v11 offset:36
	s_waitcnt lgkmcnt(0)
	v_mul_f32_e32 v11, v20, v11
.LBB81_350:
	s_or_b64 exec, exec, s[10:11]
	v_cmp_gt_u32_e32 vcc, 10, v0
	ds_write_b32 v102, v12
	s_waitcnt lgkmcnt(0)
	; wave barrier
	s_and_saveexec_b64 s[4:5], vcc
	s_cbranch_execz .LBB81_360
; %bb.351:
	s_and_b64 vcc, exec, s[0:1]
	s_cbranch_vccnz .LBB81_353
; %bb.352:
	v_cmp_eq_u32_e32 vcc, 1, v0
	v_cndmask_b32_e32 v20, v2, v3, vcc
	v_cmp_eq_u32_e32 vcc, 2, v0
	v_cndmask_b32_e32 v20, v20, v4, vcc
	;; [unrolled: 2-line block ×13, first 2 shown]
	v_cmp_eq_u32_e32 vcc, 14, v0
	ds_read_b32 v21, v102
	v_cndmask_b32_e32 v20, v20, v16, vcc
	v_cmp_eq_u32_e32 vcc, 15, v0
	v_cndmask_b32_e32 v20, v20, v17, vcc
	v_cmp_eq_u32_e32 vcc, 16, v0
	;; [unrolled: 2-line block ×3, first 2 shown]
	v_cndmask_b32_e32 v20, v20, v19, vcc
	s_waitcnt lgkmcnt(0)
	v_mul_f32_e32 v22, v20, v21
	s_cbranch_execz .LBB81_354
	s_branch .LBB81_355
.LBB81_353:
                                        ; implicit-def: $vgpr22
.LBB81_354:
	ds_read_b32 v22, v102
.LBB81_355:
	v_cmp_ne_u32_e32 vcc, 9, v0
	s_and_saveexec_b64 s[6:7], vcc
	s_cbranch_execz .LBB81_359
; %bb.356:
	v_mov_b32_e32 v20, 0x54
	v_lshl_add_u32 v23, v0, 2, v20
	v_mov_b32_e32 v21, v1
	s_mov_b64 s[8:9], 0
	v_mov_b32_e32 v20, v0
.LBB81_357:                             ; =>This Inner Loop Header: Depth=1
	v_add_co_u32_e32 v20, vcc, 1, v20
	v_addc_co_u32_e32 v21, vcc, 0, v21, vcc
	v_cmp_eq_u32_e32 vcc, 1, v20
	v_cndmask_b32_e32 v25, v2, v3, vcc
	v_cmp_lt_u32_e32 vcc, 8, v20
	v_cmp_eq_u32_e64 s[2:3], 2, v20
	v_cndmask_b32_e64 v25, v25, v4, s[2:3]
	s_or_b64 s[8:9], vcc, s[8:9]
	v_cmp_eq_u32_e32 vcc, 3, v20
	v_cndmask_b32_e32 v25, v25, v5, vcc
	v_cmp_eq_u32_e32 vcc, 4, v20
	v_cndmask_b32_e32 v25, v25, v6, vcc
	;; [unrolled: 2-line block ×10, first 2 shown]
	v_cmp_eq_u32_e32 vcc, 13, v20
	ds_read_b32 v24, v23
	v_cndmask_b32_e32 v25, v25, v15, vcc
	v_cmp_eq_u32_e32 vcc, 14, v20
	v_cndmask_b32_e32 v25, v25, v16, vcc
	v_cmp_eq_u32_e32 vcc, 15, v20
	;; [unrolled: 2-line block ×4, first 2 shown]
	v_cndmask_b32_e32 v25, v25, v19, vcc
	v_add_u32_e32 v23, 4, v23
	s_waitcnt lgkmcnt(0)
	v_fmac_f32_e32 v22, v25, v24
	s_andn2_b64 exec, exec, s[8:9]
	s_cbranch_execnz .LBB81_357
; %bb.358:
	s_or_b64 exec, exec, s[8:9]
.LBB81_359:
	s_or_b64 exec, exec, s[6:7]
	v_mov_b32_e32 v12, 0
	ds_read_b32 v12, v12 offset:40
	s_waitcnt lgkmcnt(0)
	v_mul_f32_e32 v12, v22, v12
.LBB81_360:
	s_or_b64 exec, exec, s[4:5]
	v_cmp_gt_u32_e32 vcc, 11, v0
	ds_write_b32 v102, v13
	s_waitcnt lgkmcnt(0)
	; wave barrier
	s_and_saveexec_b64 s[4:5], vcc
	s_cbranch_execz .LBB81_370
; %bb.361:
	s_and_b64 vcc, exec, s[0:1]
	s_cbranch_vccnz .LBB81_363
; %bb.362:
	v_cmp_eq_u32_e32 vcc, 1, v0
	v_cndmask_b32_e32 v20, v2, v3, vcc
	v_cmp_eq_u32_e32 vcc, 2, v0
	v_cndmask_b32_e32 v20, v20, v4, vcc
	;; [unrolled: 2-line block ×13, first 2 shown]
	v_cmp_eq_u32_e32 vcc, 14, v0
	ds_read_b32 v21, v102
	v_cndmask_b32_e32 v20, v20, v16, vcc
	v_cmp_eq_u32_e32 vcc, 15, v0
	v_cndmask_b32_e32 v20, v20, v17, vcc
	v_cmp_eq_u32_e32 vcc, 16, v0
	;; [unrolled: 2-line block ×3, first 2 shown]
	v_cndmask_b32_e32 v20, v20, v19, vcc
	s_waitcnt lgkmcnt(0)
	v_mul_f32_e32 v22, v20, v21
	s_cbranch_execz .LBB81_364
	s_branch .LBB81_365
.LBB81_363:
                                        ; implicit-def: $vgpr22
.LBB81_364:
	ds_read_b32 v22, v102
.LBB81_365:
	v_cmp_ne_u32_e32 vcc, 10, v0
	s_and_saveexec_b64 s[6:7], vcc
	s_cbranch_execz .LBB81_369
; %bb.366:
	v_mov_b32_e32 v20, 0x54
	v_lshl_add_u32 v23, v0, 2, v20
	v_mov_b32_e32 v21, v1
	s_mov_b64 s[8:9], 0
	v_mov_b32_e32 v20, v0
.LBB81_367:                             ; =>This Inner Loop Header: Depth=1
	v_add_co_u32_e32 v20, vcc, 1, v20
	v_addc_co_u32_e32 v21, vcc, 0, v21, vcc
	v_cmp_eq_u32_e32 vcc, 1, v20
	v_cndmask_b32_e32 v25, v2, v3, vcc
	v_cmp_lt_u32_e32 vcc, 9, v20
	v_cmp_eq_u32_e64 s[2:3], 2, v20
	v_cndmask_b32_e64 v25, v25, v4, s[2:3]
	s_or_b64 s[8:9], vcc, s[8:9]
	v_cmp_eq_u32_e32 vcc, 3, v20
	v_cndmask_b32_e32 v25, v25, v5, vcc
	v_cmp_eq_u32_e32 vcc, 4, v20
	v_cndmask_b32_e32 v25, v25, v6, vcc
	v_cmp_eq_u32_e32 vcc, 5, v20
	v_cndmask_b32_e32 v25, v25, v7, vcc
	v_cmp_eq_u32_e32 vcc, 6, v20
	v_cndmask_b32_e32 v25, v25, v8, vcc
	v_cmp_eq_u32_e32 vcc, 7, v20
	v_cndmask_b32_e32 v25, v25, v9, vcc
	v_cmp_eq_u32_e32 vcc, 8, v20
	v_cndmask_b32_e32 v25, v25, v10, vcc
	v_cmp_eq_u32_e32 vcc, 9, v20
	v_cndmask_b32_e32 v25, v25, v11, vcc
	v_cmp_eq_u32_e32 vcc, 10, v20
	v_cndmask_b32_e32 v25, v25, v12, vcc
	v_cmp_eq_u32_e32 vcc, 11, v20
	v_cndmask_b32_e32 v25, v25, v13, vcc
	v_cmp_eq_u32_e32 vcc, 12, v20
	v_cndmask_b32_e32 v25, v25, v14, vcc
	v_cmp_eq_u32_e32 vcc, 13, v20
	ds_read_b32 v24, v23
	v_cndmask_b32_e32 v25, v25, v15, vcc
	v_cmp_eq_u32_e32 vcc, 14, v20
	v_cndmask_b32_e32 v25, v25, v16, vcc
	v_cmp_eq_u32_e32 vcc, 15, v20
	;; [unrolled: 2-line block ×4, first 2 shown]
	v_cndmask_b32_e32 v25, v25, v19, vcc
	v_add_u32_e32 v23, 4, v23
	s_waitcnt lgkmcnt(0)
	v_fmac_f32_e32 v22, v25, v24
	s_andn2_b64 exec, exec, s[8:9]
	s_cbranch_execnz .LBB81_367
; %bb.368:
	s_or_b64 exec, exec, s[8:9]
.LBB81_369:
	s_or_b64 exec, exec, s[6:7]
	v_mov_b32_e32 v13, 0
	ds_read_b32 v13, v13 offset:44
	s_waitcnt lgkmcnt(0)
	v_mul_f32_e32 v13, v22, v13
.LBB81_370:
	s_or_b64 exec, exec, s[4:5]
	v_cmp_gt_u32_e32 vcc, 12, v0
	ds_write_b32 v102, v14
	s_waitcnt lgkmcnt(0)
	; wave barrier
	s_and_saveexec_b64 s[4:5], vcc
	s_cbranch_execz .LBB81_380
; %bb.371:
	s_and_b64 vcc, exec, s[0:1]
	s_cbranch_vccnz .LBB81_373
; %bb.372:
	v_cmp_eq_u32_e32 vcc, 1, v0
	v_cndmask_b32_e32 v20, v2, v3, vcc
	v_cmp_eq_u32_e32 vcc, 2, v0
	v_cndmask_b32_e32 v20, v20, v4, vcc
	;; [unrolled: 2-line block ×13, first 2 shown]
	v_cmp_eq_u32_e32 vcc, 14, v0
	ds_read_b32 v21, v102
	v_cndmask_b32_e32 v20, v20, v16, vcc
	v_cmp_eq_u32_e32 vcc, 15, v0
	v_cndmask_b32_e32 v20, v20, v17, vcc
	v_cmp_eq_u32_e32 vcc, 16, v0
	;; [unrolled: 2-line block ×3, first 2 shown]
	v_cndmask_b32_e32 v20, v20, v19, vcc
	s_waitcnt lgkmcnt(0)
	v_mul_f32_e32 v22, v20, v21
	s_cbranch_execz .LBB81_374
	s_branch .LBB81_375
.LBB81_373:
                                        ; implicit-def: $vgpr22
.LBB81_374:
	ds_read_b32 v22, v102
.LBB81_375:
	v_cmp_ne_u32_e32 vcc, 11, v0
	s_and_saveexec_b64 s[6:7], vcc
	s_cbranch_execz .LBB81_379
; %bb.376:
	v_mov_b32_e32 v20, 0x54
	v_lshl_add_u32 v23, v0, 2, v20
	v_mov_b32_e32 v21, v1
	s_mov_b64 s[8:9], 0
	v_mov_b32_e32 v20, v0
.LBB81_377:                             ; =>This Inner Loop Header: Depth=1
	v_add_co_u32_e32 v20, vcc, 1, v20
	v_addc_co_u32_e32 v21, vcc, 0, v21, vcc
	v_cmp_eq_u32_e32 vcc, 1, v20
	v_cndmask_b32_e32 v25, v2, v3, vcc
	v_cmp_lt_u32_e32 vcc, 10, v20
	v_cmp_eq_u32_e64 s[2:3], 2, v20
	v_cndmask_b32_e64 v25, v25, v4, s[2:3]
	s_or_b64 s[8:9], vcc, s[8:9]
	v_cmp_eq_u32_e32 vcc, 3, v20
	v_cndmask_b32_e32 v25, v25, v5, vcc
	v_cmp_eq_u32_e32 vcc, 4, v20
	v_cndmask_b32_e32 v25, v25, v6, vcc
	;; [unrolled: 2-line block ×10, first 2 shown]
	v_cmp_eq_u32_e32 vcc, 13, v20
	ds_read_b32 v24, v23
	v_cndmask_b32_e32 v25, v25, v15, vcc
	v_cmp_eq_u32_e32 vcc, 14, v20
	v_cndmask_b32_e32 v25, v25, v16, vcc
	v_cmp_eq_u32_e32 vcc, 15, v20
	;; [unrolled: 2-line block ×4, first 2 shown]
	v_cndmask_b32_e32 v25, v25, v19, vcc
	v_add_u32_e32 v23, 4, v23
	s_waitcnt lgkmcnt(0)
	v_fmac_f32_e32 v22, v25, v24
	s_andn2_b64 exec, exec, s[8:9]
	s_cbranch_execnz .LBB81_377
; %bb.378:
	s_or_b64 exec, exec, s[8:9]
.LBB81_379:
	s_or_b64 exec, exec, s[6:7]
	v_mov_b32_e32 v14, 0
	ds_read_b32 v14, v14 offset:48
	s_waitcnt lgkmcnt(0)
	v_mul_f32_e32 v14, v22, v14
.LBB81_380:
	s_or_b64 exec, exec, s[4:5]
	v_cmp_gt_u32_e32 vcc, 13, v0
	ds_write_b32 v102, v15
	s_waitcnt lgkmcnt(0)
	; wave barrier
	s_and_saveexec_b64 s[4:5], vcc
	s_cbranch_execz .LBB81_390
; %bb.381:
	s_and_b64 vcc, exec, s[0:1]
	s_cbranch_vccnz .LBB81_383
; %bb.382:
	v_cmp_eq_u32_e32 vcc, 1, v0
	v_cndmask_b32_e32 v20, v2, v3, vcc
	v_cmp_eq_u32_e32 vcc, 2, v0
	v_cndmask_b32_e32 v20, v20, v4, vcc
	;; [unrolled: 2-line block ×13, first 2 shown]
	v_cmp_eq_u32_e32 vcc, 14, v0
	ds_read_b32 v21, v102
	v_cndmask_b32_e32 v20, v20, v16, vcc
	v_cmp_eq_u32_e32 vcc, 15, v0
	v_cndmask_b32_e32 v20, v20, v17, vcc
	v_cmp_eq_u32_e32 vcc, 16, v0
	;; [unrolled: 2-line block ×3, first 2 shown]
	v_cndmask_b32_e32 v20, v20, v19, vcc
	s_waitcnt lgkmcnt(0)
	v_mul_f32_e32 v22, v20, v21
	s_cbranch_execz .LBB81_384
	s_branch .LBB81_385
.LBB81_383:
                                        ; implicit-def: $vgpr22
.LBB81_384:
	ds_read_b32 v22, v102
.LBB81_385:
	v_cmp_ne_u32_e32 vcc, 12, v0
	s_and_saveexec_b64 s[6:7], vcc
	s_cbranch_execz .LBB81_389
; %bb.386:
	v_mov_b32_e32 v20, 0x54
	v_lshl_add_u32 v23, v0, 2, v20
	v_mov_b32_e32 v21, v1
	s_mov_b64 s[8:9], 0
	v_mov_b32_e32 v20, v0
.LBB81_387:                             ; =>This Inner Loop Header: Depth=1
	v_add_co_u32_e32 v20, vcc, 1, v20
	v_addc_co_u32_e32 v21, vcc, 0, v21, vcc
	v_cmp_eq_u32_e32 vcc, 1, v20
	v_cndmask_b32_e32 v25, v2, v3, vcc
	v_cmp_lt_u32_e32 vcc, 11, v20
	v_cmp_eq_u32_e64 s[2:3], 2, v20
	v_cndmask_b32_e64 v25, v25, v4, s[2:3]
	s_or_b64 s[8:9], vcc, s[8:9]
	v_cmp_eq_u32_e32 vcc, 3, v20
	v_cndmask_b32_e32 v25, v25, v5, vcc
	v_cmp_eq_u32_e32 vcc, 4, v20
	v_cndmask_b32_e32 v25, v25, v6, vcc
	v_cmp_eq_u32_e32 vcc, 5, v20
	v_cndmask_b32_e32 v25, v25, v7, vcc
	v_cmp_eq_u32_e32 vcc, 6, v20
	v_cndmask_b32_e32 v25, v25, v8, vcc
	v_cmp_eq_u32_e32 vcc, 7, v20
	v_cndmask_b32_e32 v25, v25, v9, vcc
	v_cmp_eq_u32_e32 vcc, 8, v20
	v_cndmask_b32_e32 v25, v25, v10, vcc
	v_cmp_eq_u32_e32 vcc, 9, v20
	v_cndmask_b32_e32 v25, v25, v11, vcc
	v_cmp_eq_u32_e32 vcc, 10, v20
	v_cndmask_b32_e32 v25, v25, v12, vcc
	v_cmp_eq_u32_e32 vcc, 11, v20
	v_cndmask_b32_e32 v25, v25, v13, vcc
	v_cmp_eq_u32_e32 vcc, 12, v20
	v_cndmask_b32_e32 v25, v25, v14, vcc
	v_cmp_eq_u32_e32 vcc, 13, v20
	ds_read_b32 v24, v23
	v_cndmask_b32_e32 v25, v25, v15, vcc
	v_cmp_eq_u32_e32 vcc, 14, v20
	v_cndmask_b32_e32 v25, v25, v16, vcc
	v_cmp_eq_u32_e32 vcc, 15, v20
	;; [unrolled: 2-line block ×4, first 2 shown]
	v_cndmask_b32_e32 v25, v25, v19, vcc
	v_add_u32_e32 v23, 4, v23
	s_waitcnt lgkmcnt(0)
	v_fmac_f32_e32 v22, v25, v24
	s_andn2_b64 exec, exec, s[8:9]
	s_cbranch_execnz .LBB81_387
; %bb.388:
	s_or_b64 exec, exec, s[8:9]
.LBB81_389:
	s_or_b64 exec, exec, s[6:7]
	v_mov_b32_e32 v15, 0
	ds_read_b32 v15, v15 offset:52
	s_waitcnt lgkmcnt(0)
	v_mul_f32_e32 v15, v22, v15
.LBB81_390:
	s_or_b64 exec, exec, s[4:5]
	v_cmp_gt_u32_e32 vcc, 14, v0
	ds_write_b32 v102, v16
	s_waitcnt lgkmcnt(0)
	; wave barrier
	s_and_saveexec_b64 s[4:5], vcc
	s_cbranch_execz .LBB81_400
; %bb.391:
	s_and_b64 vcc, exec, s[0:1]
	s_cbranch_vccnz .LBB81_393
; %bb.392:
	v_cmp_eq_u32_e32 vcc, 1, v0
	v_cndmask_b32_e32 v20, v2, v3, vcc
	v_cmp_eq_u32_e32 vcc, 2, v0
	v_cndmask_b32_e32 v20, v20, v4, vcc
	v_cmp_eq_u32_e32 vcc, 3, v0
	v_cndmask_b32_e32 v20, v20, v5, vcc
	v_cmp_eq_u32_e32 vcc, 4, v0
	v_cndmask_b32_e32 v20, v20, v6, vcc
	v_cmp_eq_u32_e32 vcc, 5, v0
	v_cndmask_b32_e32 v20, v20, v7, vcc
	v_cmp_eq_u32_e32 vcc, 6, v0
	v_cndmask_b32_e32 v20, v20, v8, vcc
	v_cmp_eq_u32_e32 vcc, 7, v0
	v_cndmask_b32_e32 v20, v20, v9, vcc
	v_cmp_eq_u32_e32 vcc, 8, v0
	v_cndmask_b32_e32 v20, v20, v10, vcc
	v_cmp_eq_u32_e32 vcc, 9, v0
	v_cndmask_b32_e32 v20, v20, v11, vcc
	v_cmp_eq_u32_e32 vcc, 10, v0
	v_cndmask_b32_e32 v20, v20, v12, vcc
	v_cmp_eq_u32_e32 vcc, 11, v0
	v_cndmask_b32_e32 v20, v20, v13, vcc
	v_cmp_eq_u32_e32 vcc, 12, v0
	v_cndmask_b32_e32 v20, v20, v14, vcc
	v_cmp_eq_u32_e32 vcc, 13, v0
	v_cndmask_b32_e32 v20, v20, v15, vcc
	v_cmp_eq_u32_e32 vcc, 14, v0
	ds_read_b32 v21, v102
	v_cndmask_b32_e32 v20, v20, v16, vcc
	v_cmp_eq_u32_e32 vcc, 15, v0
	v_cndmask_b32_e32 v20, v20, v17, vcc
	v_cmp_eq_u32_e32 vcc, 16, v0
	;; [unrolled: 2-line block ×3, first 2 shown]
	v_cndmask_b32_e32 v20, v20, v19, vcc
	s_waitcnt lgkmcnt(0)
	v_mul_f32_e32 v22, v20, v21
	s_cbranch_execz .LBB81_394
	s_branch .LBB81_395
.LBB81_393:
                                        ; implicit-def: $vgpr22
.LBB81_394:
	ds_read_b32 v22, v102
.LBB81_395:
	v_cmp_ne_u32_e32 vcc, 13, v0
	s_and_saveexec_b64 s[6:7], vcc
	s_cbranch_execz .LBB81_399
; %bb.396:
	v_mov_b32_e32 v20, 0x54
	v_lshl_add_u32 v23, v0, 2, v20
	v_mov_b32_e32 v21, v1
	s_mov_b64 s[8:9], 0
	v_mov_b32_e32 v20, v0
.LBB81_397:                             ; =>This Inner Loop Header: Depth=1
	v_add_co_u32_e32 v20, vcc, 1, v20
	v_addc_co_u32_e32 v21, vcc, 0, v21, vcc
	v_cmp_eq_u32_e32 vcc, 1, v20
	v_cndmask_b32_e32 v25, v2, v3, vcc
	v_cmp_lt_u32_e32 vcc, 12, v20
	v_cmp_eq_u32_e64 s[2:3], 2, v20
	v_cndmask_b32_e64 v25, v25, v4, s[2:3]
	s_or_b64 s[8:9], vcc, s[8:9]
	v_cmp_eq_u32_e32 vcc, 3, v20
	v_cndmask_b32_e32 v25, v25, v5, vcc
	v_cmp_eq_u32_e32 vcc, 4, v20
	v_cndmask_b32_e32 v25, v25, v6, vcc
	;; [unrolled: 2-line block ×10, first 2 shown]
	v_cmp_eq_u32_e32 vcc, 13, v20
	ds_read_b32 v24, v23
	v_cndmask_b32_e32 v25, v25, v15, vcc
	v_cmp_eq_u32_e32 vcc, 14, v20
	v_cndmask_b32_e32 v25, v25, v16, vcc
	v_cmp_eq_u32_e32 vcc, 15, v20
	;; [unrolled: 2-line block ×4, first 2 shown]
	v_cndmask_b32_e32 v25, v25, v19, vcc
	v_add_u32_e32 v23, 4, v23
	s_waitcnt lgkmcnt(0)
	v_fmac_f32_e32 v22, v25, v24
	s_andn2_b64 exec, exec, s[8:9]
	s_cbranch_execnz .LBB81_397
; %bb.398:
	s_or_b64 exec, exec, s[8:9]
.LBB81_399:
	s_or_b64 exec, exec, s[6:7]
	v_mov_b32_e32 v16, 0
	ds_read_b32 v16, v16 offset:56
	s_waitcnt lgkmcnt(0)
	v_mul_f32_e32 v16, v22, v16
.LBB81_400:
	s_or_b64 exec, exec, s[4:5]
	v_cmp_gt_u32_e32 vcc, 15, v0
	ds_write_b32 v102, v17
	s_waitcnt lgkmcnt(0)
	; wave barrier
	s_and_saveexec_b64 s[4:5], vcc
	s_cbranch_execz .LBB81_410
; %bb.401:
	s_and_b64 vcc, exec, s[0:1]
	s_cbranch_vccnz .LBB81_403
; %bb.402:
	v_cmp_eq_u32_e32 vcc, 1, v0
	v_cndmask_b32_e32 v20, v2, v3, vcc
	v_cmp_eq_u32_e32 vcc, 2, v0
	v_cndmask_b32_e32 v20, v20, v4, vcc
	;; [unrolled: 2-line block ×13, first 2 shown]
	v_cmp_eq_u32_e32 vcc, 14, v0
	ds_read_b32 v21, v102
	v_cndmask_b32_e32 v20, v20, v16, vcc
	v_cmp_eq_u32_e32 vcc, 15, v0
	v_cndmask_b32_e32 v20, v20, v17, vcc
	v_cmp_eq_u32_e32 vcc, 16, v0
	;; [unrolled: 2-line block ×3, first 2 shown]
	v_cndmask_b32_e32 v20, v20, v19, vcc
	s_waitcnt lgkmcnt(0)
	v_mul_f32_e32 v22, v20, v21
	s_cbranch_execz .LBB81_404
	s_branch .LBB81_405
.LBB81_403:
                                        ; implicit-def: $vgpr22
.LBB81_404:
	ds_read_b32 v22, v102
.LBB81_405:
	v_cmp_ne_u32_e32 vcc, 14, v0
	s_and_saveexec_b64 s[6:7], vcc
	s_cbranch_execz .LBB81_409
; %bb.406:
	v_mov_b32_e32 v20, 0x54
	v_lshl_add_u32 v23, v0, 2, v20
	v_mov_b32_e32 v21, v1
	s_mov_b64 s[8:9], 0
	v_mov_b32_e32 v20, v0
.LBB81_407:                             ; =>This Inner Loop Header: Depth=1
	v_add_co_u32_e32 v20, vcc, 1, v20
	v_addc_co_u32_e32 v21, vcc, 0, v21, vcc
	v_cmp_eq_u32_e32 vcc, 1, v20
	v_cndmask_b32_e32 v25, v2, v3, vcc
	v_cmp_lt_u32_e32 vcc, 13, v20
	v_cmp_eq_u32_e64 s[2:3], 2, v20
	v_cndmask_b32_e64 v25, v25, v4, s[2:3]
	s_or_b64 s[8:9], vcc, s[8:9]
	v_cmp_eq_u32_e32 vcc, 3, v20
	v_cndmask_b32_e32 v25, v25, v5, vcc
	v_cmp_eq_u32_e32 vcc, 4, v20
	v_cndmask_b32_e32 v25, v25, v6, vcc
	;; [unrolled: 2-line block ×10, first 2 shown]
	v_cmp_eq_u32_e32 vcc, 13, v20
	ds_read_b32 v24, v23
	v_cndmask_b32_e32 v25, v25, v15, vcc
	v_cmp_eq_u32_e32 vcc, 14, v20
	v_cndmask_b32_e32 v25, v25, v16, vcc
	v_cmp_eq_u32_e32 vcc, 15, v20
	;; [unrolled: 2-line block ×4, first 2 shown]
	v_cndmask_b32_e32 v25, v25, v19, vcc
	v_add_u32_e32 v23, 4, v23
	s_waitcnt lgkmcnt(0)
	v_fmac_f32_e32 v22, v25, v24
	s_andn2_b64 exec, exec, s[8:9]
	s_cbranch_execnz .LBB81_407
; %bb.408:
	s_or_b64 exec, exec, s[8:9]
.LBB81_409:
	s_or_b64 exec, exec, s[6:7]
	v_mov_b32_e32 v17, 0
	ds_read_b32 v17, v17 offset:60
	s_waitcnt lgkmcnt(0)
	v_mul_f32_e32 v17, v22, v17
.LBB81_410:
	s_or_b64 exec, exec, s[4:5]
	v_cmp_gt_u32_e64 s[2:3], 16, v0
	ds_write_b32 v102, v18
	s_waitcnt lgkmcnt(0)
	; wave barrier
	s_and_saveexec_b64 s[6:7], s[2:3]
	s_cbranch_execz .LBB81_420
; %bb.411:
	s_and_b64 vcc, exec, s[0:1]
	s_cbranch_vccnz .LBB81_413
; %bb.412:
	v_cmp_eq_u32_e32 vcc, 1, v0
	v_cndmask_b32_e32 v20, v2, v3, vcc
	v_cmp_eq_u32_e32 vcc, 2, v0
	v_cndmask_b32_e32 v20, v20, v4, vcc
	;; [unrolled: 2-line block ×13, first 2 shown]
	v_cmp_eq_u32_e32 vcc, 14, v0
	ds_read_b32 v21, v102
	v_cndmask_b32_e32 v20, v20, v16, vcc
	v_cmp_eq_u32_e32 vcc, 15, v0
	v_cndmask_b32_e32 v20, v20, v17, vcc
	v_cmp_eq_u32_e32 vcc, 16, v0
	;; [unrolled: 2-line block ×3, first 2 shown]
	v_cndmask_b32_e32 v20, v20, v19, vcc
	s_waitcnt lgkmcnt(0)
	v_mul_f32_e32 v22, v20, v21
	s_cbranch_execz .LBB81_414
	s_branch .LBB81_415
.LBB81_413:
                                        ; implicit-def: $vgpr22
.LBB81_414:
	ds_read_b32 v22, v102
.LBB81_415:
	v_cmp_ne_u32_e32 vcc, 15, v0
	s_and_saveexec_b64 s[8:9], vcc
	s_cbranch_execz .LBB81_419
; %bb.416:
	v_mov_b32_e32 v20, 0x54
	v_lshl_add_u32 v23, v0, 2, v20
	v_mov_b32_e32 v21, v1
	s_mov_b64 s[10:11], 0
	v_mov_b32_e32 v20, v0
.LBB81_417:                             ; =>This Inner Loop Header: Depth=1
	v_add_co_u32_e32 v20, vcc, 1, v20
	v_addc_co_u32_e32 v21, vcc, 0, v21, vcc
	v_cmp_eq_u32_e32 vcc, 1, v20
	v_cndmask_b32_e32 v25, v2, v3, vcc
	v_cmp_lt_u32_e32 vcc, 14, v20
	v_cmp_eq_u32_e64 s[4:5], 2, v20
	v_cndmask_b32_e64 v25, v25, v4, s[4:5]
	s_or_b64 s[10:11], vcc, s[10:11]
	v_cmp_eq_u32_e32 vcc, 3, v20
	v_cndmask_b32_e32 v25, v25, v5, vcc
	v_cmp_eq_u32_e32 vcc, 4, v20
	v_cndmask_b32_e32 v25, v25, v6, vcc
	v_cmp_eq_u32_e32 vcc, 5, v20
	v_cndmask_b32_e32 v25, v25, v7, vcc
	v_cmp_eq_u32_e32 vcc, 6, v20
	v_cndmask_b32_e32 v25, v25, v8, vcc
	v_cmp_eq_u32_e32 vcc, 7, v20
	v_cndmask_b32_e32 v25, v25, v9, vcc
	v_cmp_eq_u32_e32 vcc, 8, v20
	v_cndmask_b32_e32 v25, v25, v10, vcc
	v_cmp_eq_u32_e32 vcc, 9, v20
	v_cndmask_b32_e32 v25, v25, v11, vcc
	v_cmp_eq_u32_e32 vcc, 10, v20
	v_cndmask_b32_e32 v25, v25, v12, vcc
	v_cmp_eq_u32_e32 vcc, 11, v20
	v_cndmask_b32_e32 v25, v25, v13, vcc
	v_cmp_eq_u32_e32 vcc, 12, v20
	v_cndmask_b32_e32 v25, v25, v14, vcc
	v_cmp_eq_u32_e32 vcc, 13, v20
	ds_read_b32 v24, v23
	v_cndmask_b32_e32 v25, v25, v15, vcc
	v_cmp_eq_u32_e32 vcc, 14, v20
	v_cndmask_b32_e32 v25, v25, v16, vcc
	v_cmp_eq_u32_e32 vcc, 15, v20
	;; [unrolled: 2-line block ×4, first 2 shown]
	v_cndmask_b32_e32 v25, v25, v19, vcc
	v_add_u32_e32 v23, 4, v23
	s_waitcnt lgkmcnt(0)
	v_fmac_f32_e32 v22, v25, v24
	s_andn2_b64 exec, exec, s[10:11]
	s_cbranch_execnz .LBB81_417
; %bb.418:
	s_or_b64 exec, exec, s[10:11]
.LBB81_419:
	s_or_b64 exec, exec, s[8:9]
	v_mov_b32_e32 v18, 0
	ds_read_b32 v18, v18 offset:64
	s_waitcnt lgkmcnt(0)
	v_mul_f32_e32 v18, v22, v18
.LBB81_420:
	s_or_b64 exec, exec, s[6:7]
	v_cmp_ne_u32_e32 vcc, 17, v0
	ds_write_b32 v102, v19
	s_waitcnt lgkmcnt(0)
	; wave barrier
	s_and_saveexec_b64 s[4:5], vcc
	s_cbranch_execz .LBB81_430
; %bb.421:
	s_and_b64 vcc, exec, s[0:1]
	s_cbranch_vccnz .LBB81_423
; %bb.422:
	v_cmp_eq_u32_e32 vcc, 1, v0
	v_cndmask_b32_e32 v20, v2, v3, vcc
	v_cmp_eq_u32_e32 vcc, 2, v0
	v_cndmask_b32_e32 v20, v20, v4, vcc
	v_cmp_eq_u32_e32 vcc, 3, v0
	v_cndmask_b32_e32 v20, v20, v5, vcc
	v_cmp_eq_u32_e32 vcc, 4, v0
	v_cndmask_b32_e32 v20, v20, v6, vcc
	v_cmp_eq_u32_e32 vcc, 5, v0
	v_cndmask_b32_e32 v20, v20, v7, vcc
	v_cmp_eq_u32_e32 vcc, 6, v0
	v_cndmask_b32_e32 v20, v20, v8, vcc
	v_cmp_eq_u32_e32 vcc, 7, v0
	v_cndmask_b32_e32 v20, v20, v9, vcc
	v_cmp_eq_u32_e32 vcc, 8, v0
	v_cndmask_b32_e32 v20, v20, v10, vcc
	v_cmp_eq_u32_e32 vcc, 9, v0
	v_cndmask_b32_e32 v20, v20, v11, vcc
	v_cmp_eq_u32_e32 vcc, 10, v0
	v_cndmask_b32_e32 v20, v20, v12, vcc
	v_cmp_eq_u32_e32 vcc, 11, v0
	v_cndmask_b32_e32 v20, v20, v13, vcc
	v_cmp_eq_u32_e32 vcc, 12, v0
	v_cndmask_b32_e32 v20, v20, v14, vcc
	v_cmp_eq_u32_e32 vcc, 13, v0
	v_cndmask_b32_e32 v20, v20, v15, vcc
	v_cmp_eq_u32_e32 vcc, 14, v0
	ds_read_b32 v21, v102
	v_cndmask_b32_e32 v20, v20, v16, vcc
	v_cmp_eq_u32_e32 vcc, 15, v0
	v_cndmask_b32_e32 v20, v20, v17, vcc
	v_cmp_eq_u32_e32 vcc, 16, v0
	;; [unrolled: 2-line block ×3, first 2 shown]
	v_cndmask_b32_e32 v20, v20, v19, vcc
	s_waitcnt lgkmcnt(0)
	v_mul_f32_e32 v20, v20, v21
	s_cbranch_execz .LBB81_424
	s_branch .LBB81_425
.LBB81_423:
                                        ; implicit-def: $vgpr20
.LBB81_424:
	ds_read_b32 v20, v102
.LBB81_425:
	s_and_saveexec_b64 s[6:7], s[2:3]
	s_cbranch_execz .LBB81_429
; %bb.426:
	v_mov_b32_e32 v21, 0x54
	v_lshl_add_u32 v21, v0, 2, v21
	s_mov_b64 s[2:3], 0
.LBB81_427:                             ; =>This Inner Loop Header: Depth=1
	v_add_co_u32_e32 v0, vcc, 1, v0
	v_addc_co_u32_e32 v1, vcc, 0, v1, vcc
	v_cmp_eq_u32_e32 vcc, 1, v0
	v_cndmask_b32_e32 v23, v2, v3, vcc
	v_cmp_lt_u32_e32 vcc, 15, v0
	v_cmp_eq_u32_e64 s[0:1], 2, v0
	v_cndmask_b32_e64 v23, v23, v4, s[0:1]
	s_or_b64 s[2:3], vcc, s[2:3]
	v_cmp_eq_u32_e32 vcc, 3, v0
	v_cndmask_b32_e32 v23, v23, v5, vcc
	v_cmp_eq_u32_e32 vcc, 4, v0
	v_cndmask_b32_e32 v23, v23, v6, vcc
	;; [unrolled: 2-line block ×10, first 2 shown]
	v_cmp_eq_u32_e32 vcc, 13, v0
	ds_read_b32 v22, v21
	v_cndmask_b32_e32 v23, v23, v15, vcc
	v_cmp_eq_u32_e32 vcc, 14, v0
	v_cndmask_b32_e32 v23, v23, v16, vcc
	v_cmp_eq_u32_e32 vcc, 15, v0
	;; [unrolled: 2-line block ×4, first 2 shown]
	v_cndmask_b32_e32 v23, v23, v19, vcc
	v_add_u32_e32 v21, 4, v21
	s_waitcnt lgkmcnt(0)
	v_fmac_f32_e32 v20, v23, v22
	s_andn2_b64 exec, exec, s[2:3]
	s_cbranch_execnz .LBB81_427
; %bb.428:
	s_or_b64 exec, exec, s[2:3]
.LBB81_429:
	s_or_b64 exec, exec, s[6:7]
	v_mov_b32_e32 v0, 0
	ds_read_b32 v0, v0 offset:68
	s_waitcnt lgkmcnt(0)
	v_mul_f32_e32 v19, v20, v0
.LBB81_430:
	s_or_b64 exec, exec, s[4:5]
	v_mov_b32_e32 v65, v33
	v_mov_b32_e32 v64, v32
	;; [unrolled: 1-line block ×32, first 2 shown]
.LBB81_431:
	flat_store_dword v[98:99], v34
	flat_store_dword v[100:101], v35
	;; [unrolled: 1-line block ×18, first 2 shown]
.LBB81_432:
	s_endpgm
	.section	.rodata,"a",@progbits
	.p2align	6, 0x0
	.amdhsa_kernel _ZN9rocsolver6v33100L18trti2_kernel_smallILi18EfPKPfEEv13rocblas_fill_17rocblas_diagonal_T1_iil
		.amdhsa_group_segment_fixed_size 152
		.amdhsa_private_segment_fixed_size 0
		.amdhsa_kernarg_size 32
		.amdhsa_user_sgpr_count 6
		.amdhsa_user_sgpr_private_segment_buffer 1
		.amdhsa_user_sgpr_dispatch_ptr 0
		.amdhsa_user_sgpr_queue_ptr 0
		.amdhsa_user_sgpr_kernarg_segment_ptr 1
		.amdhsa_user_sgpr_dispatch_id 0
		.amdhsa_user_sgpr_flat_scratch_init 0
		.amdhsa_user_sgpr_private_segment_size 0
		.amdhsa_uses_dynamic_stack 0
		.amdhsa_system_sgpr_private_segment_wavefront_offset 0
		.amdhsa_system_sgpr_workgroup_id_x 1
		.amdhsa_system_sgpr_workgroup_id_y 0
		.amdhsa_system_sgpr_workgroup_id_z 0
		.amdhsa_system_sgpr_workgroup_info 0
		.amdhsa_system_vgpr_workitem_id 0
		.amdhsa_next_free_vgpr 120
		.amdhsa_next_free_sgpr 44
		.amdhsa_reserve_vcc 1
		.amdhsa_reserve_flat_scratch 0
		.amdhsa_float_round_mode_32 0
		.amdhsa_float_round_mode_16_64 0
		.amdhsa_float_denorm_mode_32 3
		.amdhsa_float_denorm_mode_16_64 3
		.amdhsa_dx10_clamp 1
		.amdhsa_ieee_mode 1
		.amdhsa_fp16_overflow 0
		.amdhsa_exception_fp_ieee_invalid_op 0
		.amdhsa_exception_fp_denorm_src 0
		.amdhsa_exception_fp_ieee_div_zero 0
		.amdhsa_exception_fp_ieee_overflow 0
		.amdhsa_exception_fp_ieee_underflow 0
		.amdhsa_exception_fp_ieee_inexact 0
		.amdhsa_exception_int_div_zero 0
	.end_amdhsa_kernel
	.section	.text._ZN9rocsolver6v33100L18trti2_kernel_smallILi18EfPKPfEEv13rocblas_fill_17rocblas_diagonal_T1_iil,"axG",@progbits,_ZN9rocsolver6v33100L18trti2_kernel_smallILi18EfPKPfEEv13rocblas_fill_17rocblas_diagonal_T1_iil,comdat
.Lfunc_end81:
	.size	_ZN9rocsolver6v33100L18trti2_kernel_smallILi18EfPKPfEEv13rocblas_fill_17rocblas_diagonal_T1_iil, .Lfunc_end81-_ZN9rocsolver6v33100L18trti2_kernel_smallILi18EfPKPfEEv13rocblas_fill_17rocblas_diagonal_T1_iil
                                        ; -- End function
	.set _ZN9rocsolver6v33100L18trti2_kernel_smallILi18EfPKPfEEv13rocblas_fill_17rocblas_diagonal_T1_iil.num_vgpr, 120
	.set _ZN9rocsolver6v33100L18trti2_kernel_smallILi18EfPKPfEEv13rocblas_fill_17rocblas_diagonal_T1_iil.num_agpr, 0
	.set _ZN9rocsolver6v33100L18trti2_kernel_smallILi18EfPKPfEEv13rocblas_fill_17rocblas_diagonal_T1_iil.numbered_sgpr, 44
	.set _ZN9rocsolver6v33100L18trti2_kernel_smallILi18EfPKPfEEv13rocblas_fill_17rocblas_diagonal_T1_iil.num_named_barrier, 0
	.set _ZN9rocsolver6v33100L18trti2_kernel_smallILi18EfPKPfEEv13rocblas_fill_17rocblas_diagonal_T1_iil.private_seg_size, 0
	.set _ZN9rocsolver6v33100L18trti2_kernel_smallILi18EfPKPfEEv13rocblas_fill_17rocblas_diagonal_T1_iil.uses_vcc, 1
	.set _ZN9rocsolver6v33100L18trti2_kernel_smallILi18EfPKPfEEv13rocblas_fill_17rocblas_diagonal_T1_iil.uses_flat_scratch, 0
	.set _ZN9rocsolver6v33100L18trti2_kernel_smallILi18EfPKPfEEv13rocblas_fill_17rocblas_diagonal_T1_iil.has_dyn_sized_stack, 0
	.set _ZN9rocsolver6v33100L18trti2_kernel_smallILi18EfPKPfEEv13rocblas_fill_17rocblas_diagonal_T1_iil.has_recursion, 0
	.set _ZN9rocsolver6v33100L18trti2_kernel_smallILi18EfPKPfEEv13rocblas_fill_17rocblas_diagonal_T1_iil.has_indirect_call, 0
	.section	.AMDGPU.csdata,"",@progbits
; Kernel info:
; codeLenInByte = 22160
; TotalNumSgprs: 48
; NumVgprs: 120
; ScratchSize: 0
; MemoryBound: 0
; FloatMode: 240
; IeeeMode: 1
; LDSByteSize: 152 bytes/workgroup (compile time only)
; SGPRBlocks: 5
; VGPRBlocks: 29
; NumSGPRsForWavesPerEU: 48
; NumVGPRsForWavesPerEU: 120
; Occupancy: 2
; WaveLimiterHint : 1
; COMPUTE_PGM_RSRC2:SCRATCH_EN: 0
; COMPUTE_PGM_RSRC2:USER_SGPR: 6
; COMPUTE_PGM_RSRC2:TRAP_HANDLER: 0
; COMPUTE_PGM_RSRC2:TGID_X_EN: 1
; COMPUTE_PGM_RSRC2:TGID_Y_EN: 0
; COMPUTE_PGM_RSRC2:TGID_Z_EN: 0
; COMPUTE_PGM_RSRC2:TIDIG_COMP_CNT: 0
	.section	.text._ZN9rocsolver6v33100L18trti2_kernel_smallILi19EfPKPfEEv13rocblas_fill_17rocblas_diagonal_T1_iil,"axG",@progbits,_ZN9rocsolver6v33100L18trti2_kernel_smallILi19EfPKPfEEv13rocblas_fill_17rocblas_diagonal_T1_iil,comdat
	.globl	_ZN9rocsolver6v33100L18trti2_kernel_smallILi19EfPKPfEEv13rocblas_fill_17rocblas_diagonal_T1_iil ; -- Begin function _ZN9rocsolver6v33100L18trti2_kernel_smallILi19EfPKPfEEv13rocblas_fill_17rocblas_diagonal_T1_iil
	.p2align	8
	.type	_ZN9rocsolver6v33100L18trti2_kernel_smallILi19EfPKPfEEv13rocblas_fill_17rocblas_diagonal_T1_iil,@function
_ZN9rocsolver6v33100L18trti2_kernel_smallILi19EfPKPfEEv13rocblas_fill_17rocblas_diagonal_T1_iil: ; @_ZN9rocsolver6v33100L18trti2_kernel_smallILi19EfPKPfEEv13rocblas_fill_17rocblas_diagonal_T1_iil
; %bb.0:
	v_cmp_gt_u32_e32 vcc, 19, v0
	s_and_saveexec_b64 s[0:1], vcc
	s_cbranch_execz .LBB82_458
; %bb.1:
	s_load_dwordx2 s[0:1], s[4:5], 0x10
	s_load_dwordx4 s[40:43], s[4:5], 0x0
	s_ashr_i32 s7, s6, 31
	s_lshl_b64 s[2:3], s[6:7], 3
	v_lshlrev_b32_e32 v34, 2, v0
	s_waitcnt lgkmcnt(0)
	s_ashr_i32 s5, s0, 31
	s_add_u32 s2, s42, s2
	s_addc_u32 s3, s43, s3
	s_load_dwordx2 s[2:3], s[2:3], 0x0
	s_mov_b32 s4, s0
	s_lshl_b64 s[4:5], s[4:5], 2
	v_mov_b32_e32 v35, -1.0
	s_waitcnt lgkmcnt(0)
	s_add_u32 s0, s2, s4
	s_addc_u32 s2, s3, s5
	s_add_i32 s3, s1, s1
	v_add_u32_e32 v1, s3, v0
	v_ashrrev_i32_e32 v2, 31, v1
	v_lshlrev_b64 v[2:3], 2, v[1:2]
	v_add_u32_e32 v1, s1, v1
	v_mov_b32_e32 v4, s2
	v_add_co_u32_e32 v66, vcc, s0, v2
	v_ashrrev_i32_e32 v2, 31, v1
	v_addc_co_u32_e32 v67, vcc, v4, v3, vcc
	v_lshlrev_b64 v[2:3], 2, v[1:2]
	v_add_u32_e32 v1, s1, v1
	v_add_co_u32_e32 v68, vcc, s0, v2
	v_ashrrev_i32_e32 v2, 31, v1
	v_addc_co_u32_e32 v69, vcc, v4, v3, vcc
	v_lshlrev_b64 v[2:3], 2, v[1:2]
	v_add_u32_e32 v1, s1, v1
	;; [unrolled: 5-line block ×15, first 2 shown]
	v_add_co_u32_e32 v96, vcc, s0, v2
	v_ashrrev_i32_e32 v2, 31, v1
	v_lshlrev_b64 v[1:2], 2, v[1:2]
	v_addc_co_u32_e32 v97, vcc, v4, v3, vcc
	v_mov_b32_e32 v3, s2
	v_add_co_u32_e32 v98, vcc, s0, v1
	v_addc_co_u32_e32 v99, vcc, v3, v2, vcc
	v_mov_b32_e32 v1, s2
	v_add_co_u32_e32 v100, vcc, s0, v34
	s_ashr_i32 s3, s1, 31
	s_mov_b32 s2, s1
	v_addc_co_u32_e32 v101, vcc, 0, v1, vcc
	s_lshl_b64 s[0:1], s[2:3], 2
	v_mov_b32_e32 v1, s1
	v_add_co_u32_e32 v102, vcc, s0, v100
	v_addc_co_u32_e32 v103, vcc, v101, v1, vcc
	flat_load_dword v2, v[100:101]
	flat_load_dword v3, v[102:103]
	;; [unrolled: 1-line block ×19, first 2 shown]
	s_cmpk_lg_i32 s41, 0x84
	v_mov_b32_e32 v1, 0
	s_cselect_b64 s[42:43], -1, 0
	s_cmpk_eq_i32 s41, 0x84
	v_cmp_eq_u32_e64 s[0:1], 0, v0
	s_cbranch_scc1 .LBB82_3
; %bb.2:
	v_cmp_eq_u32_e64 s[2:3], 1, v0
	s_waitcnt vmcnt(0) lgkmcnt(0)
	v_cndmask_b32_e64 v21, v2, v3, s[2:3]
	v_cmp_eq_u32_e64 s[4:5], 2, v0
	v_cndmask_b32_e64 v21, v21, v4, s[4:5]
	v_cmp_eq_u32_e64 s[6:7], 3, v0
	;; [unrolled: 2-line block ×17, first 2 shown]
	v_cndmask_b32_e64 v21, v21, v20, s[38:39]
	v_div_scale_f32 v22, s[44:45], v21, v21, 1.0
	v_div_scale_f32 v23, vcc, 1.0, v21, 1.0
	v_rcp_f32_e32 v24, v22
	v_fma_f32 v25, -v22, v24, 1.0
	v_fmac_f32_e32 v24, v25, v24
	v_mul_f32_e32 v25, v23, v24
	v_fma_f32 v26, -v22, v25, v23
	v_fmac_f32_e32 v25, v26, v24
	v_fma_f32 v22, -v22, v25, v23
	v_div_fmas_f32 v22, v22, v24, v25
	v_div_fixup_f32 v21, v22, v21, 1.0
	v_cndmask_b32_e64 v20, v20, v21, s[38:39]
	v_cndmask_b32_e64 v19, v19, v21, s[36:37]
	;; [unrolled: 1-line block ×19, first 2 shown]
	v_xor_b32_e32 v35, 0x80000000, v21
.LBB82_3:
	s_cmpk_eq_i32 s40, 0x79
	v_add_u32_e32 v104, 0x50, v34
	ds_write_b32 v34, v35
	s_cbranch_scc1 .LBB82_7
; %bb.4:
	s_waitcnt vmcnt(0) lgkmcnt(0)
	v_mov_b32_e32 v65, v33
	v_mov_b32_e32 v64, v32
	;; [unrolled: 1-line block ×32, first 2 shown]
	v_cmp_eq_u32_e64 s[2:3], 18, v0
	ds_write_b32 v104, v19
	s_waitcnt lgkmcnt(0)
	; wave barrier
	s_and_saveexec_b64 s[0:1], s[2:3]
	s_cbranch_execz .LBB82_11
; %bb.5:
	s_and_b64 vcc, exec, s[42:43]
	s_cbranch_vccz .LBB82_8
; %bb.6:
	v_cmp_eq_u32_e32 vcc, 1, v0
	v_cndmask_b32_e32 v34, v2, v3, vcc
	v_cmp_eq_u32_e32 vcc, 2, v0
	v_cndmask_b32_e32 v34, v34, v4, vcc
	;; [unrolled: 2-line block ×14, first 2 shown]
	v_cmp_eq_u32_e32 vcc, 15, v0
	ds_read_b32 v35, v104
	v_cndmask_b32_e32 v34, v34, v17, vcc
	v_cmp_eq_u32_e32 vcc, 16, v0
	v_cndmask_b32_e32 v34, v34, v18, vcc
	v_cmp_eq_u32_e32 vcc, 17, v0
	;; [unrolled: 2-line block ×3, first 2 shown]
	v_cndmask_b32_e32 v34, v34, v20, vcc
	s_waitcnt lgkmcnt(0)
	v_mul_f32_e32 v38, v34, v35
	s_cbranch_execz .LBB82_9
	s_branch .LBB82_10
.LBB82_7:
                                        ; implicit-def: $vgpr34_vgpr35_vgpr36_vgpr37_vgpr38_vgpr39_vgpr40_vgpr41_vgpr42_vgpr43_vgpr44_vgpr45_vgpr46_vgpr47_vgpr48_vgpr49_vgpr50_vgpr51_vgpr52_vgpr53_vgpr54_vgpr55_vgpr56_vgpr57_vgpr58_vgpr59_vgpr60_vgpr61_vgpr62_vgpr63_vgpr64_vgpr65
	s_cbranch_execnz .LBB82_274
	s_branch .LBB82_457
.LBB82_8:
                                        ; implicit-def: $vgpr38
.LBB82_9:
	ds_read_b32 v38, v104
.LBB82_10:
	v_mov_b32_e32 v34, 0
	ds_read_b32 v39, v34 offset:68
	v_mov_b32_e32 v34, v2
	v_mov_b32_e32 v35, v3
	v_mov_b32_e32 v36, v4
	v_mov_b32_e32 v37, v5
	s_waitcnt lgkmcnt(0)
	v_mul_f32_e32 v51, v38, v39
	v_mov_b32_e32 v38, v6
	v_mov_b32_e32 v39, v7
	;; [unrolled: 1-line block ×14, first 2 shown]
.LBB82_11:
	s_or_b64 exec, exec, s[0:1]
	v_cmp_lt_u32_e64 s[0:1], 16, v0
	ds_write_b32 v104, v50
	s_waitcnt lgkmcnt(0)
	; wave barrier
	s_and_saveexec_b64 s[4:5], s[0:1]
	s_cbranch_execz .LBB82_17
; %bb.12:
	s_andn2_b64 vcc, exec, s[42:43]
	s_cbranch_vccnz .LBB82_14
; %bb.13:
	v_cmp_eq_u32_e32 vcc, 1, v0
	v_cndmask_b32_e32 v53, v34, v35, vcc
	v_cmp_eq_u32_e32 vcc, 2, v0
	v_cndmask_b32_e32 v53, v53, v36, vcc
	;; [unrolled: 2-line block ×16, first 2 shown]
	ds_read_b32 v53, v104
	v_cmp_eq_u32_e32 vcc, 17, v0
	v_cndmask_b32_e32 v50, v50, v51, vcc
	v_cmp_eq_u32_e32 vcc, 18, v0
	v_cndmask_b32_e32 v50, v50, v52, vcc
	s_waitcnt lgkmcnt(0)
	v_mul_f32_e32 v50, v50, v53
	s_cbranch_execz .LBB82_15
	s_branch .LBB82_16
.LBB82_14:
                                        ; implicit-def: $vgpr50
.LBB82_15:
	ds_read_b32 v50, v104
.LBB82_16:
	v_mov_b32_e32 v53, 0
	ds_read2_b32 v[53:54], v53 offset0:16 offset1:37
	s_waitcnt lgkmcnt(0)
	v_fma_f32 v54, v51, v54, v50
	v_cndmask_b32_e64 v50, v50, v54, s[2:3]
	v_mul_f32_e32 v50, v50, v53
.LBB82_17:
	s_or_b64 exec, exec, s[4:5]
	v_cmp_lt_u32_e64 s[2:3], 15, v0
	ds_write_b32 v104, v49
	s_waitcnt lgkmcnt(0)
	; wave barrier
	s_and_saveexec_b64 s[4:5], s[2:3]
	s_cbranch_execz .LBB82_33
; %bb.18:
	s_andn2_b64 vcc, exec, s[42:43]
	s_cbranch_vccnz .LBB82_20
; %bb.19:
	v_cmp_eq_u32_e32 vcc, 1, v0
	v_cndmask_b32_e32 v105, v34, v35, vcc
	v_cmp_eq_u32_e32 vcc, 2, v0
	v_cndmask_b32_e32 v105, v105, v36, vcc
	;; [unrolled: 2-line block ×14, first 2 shown]
	v_cmp_eq_u32_e32 vcc, 15, v0
	ds_read_b32 v106, v104
	v_cndmask_b32_e32 v105, v105, v49, vcc
	v_cmp_eq_u32_e32 vcc, 16, v0
	v_cndmask_b32_e32 v105, v105, v50, vcc
	v_cmp_eq_u32_e32 vcc, 17, v0
	;; [unrolled: 2-line block ×3, first 2 shown]
	v_cndmask_b32_e32 v105, v105, v52, vcc
	s_waitcnt lgkmcnt(0)
	v_mul_f32_e32 v105, v105, v106
	s_cbranch_execz .LBB82_21
	s_branch .LBB82_22
.LBB82_20:
                                        ; implicit-def: $vgpr105
.LBB82_21:
	ds_read_b32 v105, v104
.LBB82_22:
	s_and_saveexec_b64 s[6:7], s[0:1]
	s_cbranch_execz .LBB82_32
; %bb.23:
	v_subrev_u32_e32 v106, 17, v0
	v_cmp_lt_u32_e32 vcc, 6, v106
	v_mov_b32_e32 v106, 16
	s_and_saveexec_b64 s[0:1], vcc
	s_cbranch_execz .LBB82_27
; %bb.24:
	v_and_b32_e32 v106, 24, v0
	v_sub_u32_e32 v107, 0, v106
	s_mov_b64 s[8:9], 23
	s_movk_i32 s12, 0x90
	s_mov_b64 s[10:11], 0
.LBB82_25:                              ; =>This Inner Loop Header: Depth=1
	s_add_i32 s13, s8, -7
	v_mov_b32_e32 v106, s12
	s_add_i32 s14, s8, -6
	s_set_gpr_idx_on s13, gpr_idx(SRC0)
	v_mov_b32_e32 v116, v34
	s_set_gpr_idx_off
	s_add_i32 s15, s8, -5
	ds_read_b128 v[108:111], v106
	ds_read_b128 v[112:115], v106 offset:16
	s_set_gpr_idx_on s14, gpr_idx(SRC0)
	v_mov_b32_e32 v106, v34
	s_set_gpr_idx_off
	s_add_i32 s16, s8, -4
	s_set_gpr_idx_on s15, gpr_idx(SRC0)
	v_mov_b32_e32 v117, v34
	s_set_gpr_idx_off
	s_add_i32 s17, s8, -3
	;; [unrolled: 4-line block ×4, first 2 shown]
	s_waitcnt lgkmcnt(1)
	v_fmac_f32_e32 v105, v116, v108
	s_set_gpr_idx_on s18, gpr_idx(SRC0)
	v_mov_b32_e32 v108, v34
	s_set_gpr_idx_off
	v_fmac_f32_e32 v105, v106, v109
	s_set_gpr_idx_on s19, gpr_idx(SRC0)
	v_mov_b32_e32 v109, v34
	s_set_gpr_idx_off
	;; [unrolled: 4-line block ×3, first 2 shown]
	v_fmac_f32_e32 v105, v118, v111
	s_add_u32 s8, s8, 8
	s_waitcnt lgkmcnt(0)
	v_fmac_f32_e32 v105, v119, v112
	v_add_u32_e32 v106, s8, v107
	v_fmac_f32_e32 v105, v108, v113
	s_addc_u32 s9, s9, 0
	s_add_i32 s12, s12, 32
	s_add_i32 s13, s8, -7
	v_cmp_eq_u32_e32 vcc, 7, v106
	v_fmac_f32_e32 v105, v109, v114
	v_mov_b32_e32 v106, s13
	s_or_b64 s[10:11], vcc, s[10:11]
	v_fmac_f32_e32 v105, v110, v115
	s_andn2_b64 exec, exec, s[10:11]
	s_cbranch_execnz .LBB82_25
; %bb.26:
	s_or_b64 exec, exec, s[10:11]
.LBB82_27:
	s_or_b64 exec, exec, s[0:1]
	v_and_b32_e32 v53, 7, v0
	v_cmp_ne_u32_e32 vcc, 0, v53
	s_and_saveexec_b64 s[8:9], vcc
	s_cbranch_execz .LBB82_31
; %bb.28:
	v_mov_b32_e32 v54, 0x50
	v_lshl_add_u32 v54, v106, 2, v54
	v_mov_b32_e32 v55, 0
	s_mov_b64 s[10:11], 0
.LBB82_29:                              ; =>This Inner Loop Header: Depth=1
	v_cmp_eq_u32_e32 vcc, 1, v106
	v_cndmask_b32_e32 v56, v34, v35, vcc
	v_add_u32_e32 v53, -1, v53
	v_cmp_eq_u32_e32 vcc, 2, v106
	v_cndmask_b32_e32 v56, v56, v36, vcc
	v_cmp_eq_u32_e32 vcc, 0, v53
	v_cmp_eq_u32_e64 s[0:1], 3, v106
	v_cndmask_b32_e64 v56, v56, v37, s[0:1]
	s_or_b64 s[10:11], vcc, s[10:11]
	v_cmp_eq_u32_e32 vcc, 4, v106
	v_cndmask_b32_e32 v56, v56, v38, vcc
	v_cmp_eq_u32_e32 vcc, 5, v106
	v_cndmask_b32_e32 v56, v56, v39, vcc
	;; [unrolled: 2-line block ×10, first 2 shown]
	v_cmp_eq_u32_e32 vcc, 14, v106
	ds_read_b32 v57, v54
	v_cndmask_b32_e32 v56, v56, v48, vcc
	v_cmp_eq_u32_e32 vcc, 15, v106
	v_cndmask_b32_e32 v56, v56, v49, vcc
	v_cmp_eq_u32_e32 vcc, 16, v106
	;; [unrolled: 2-line block ×4, first 2 shown]
	v_add_co_u32_e64 v106, s[0:1], 1, v106
	v_cndmask_b32_e32 v56, v56, v52, vcc
	v_add_u32_e32 v54, 4, v54
	v_addc_co_u32_e64 v55, s[0:1], 0, v55, s[0:1]
	s_waitcnt lgkmcnt(0)
	v_fmac_f32_e32 v105, v56, v57
	s_andn2_b64 exec, exec, s[10:11]
	s_cbranch_execnz .LBB82_29
; %bb.30:
	s_or_b64 exec, exec, s[10:11]
.LBB82_31:
	s_or_b64 exec, exec, s[8:9]
.LBB82_32:
	s_or_b64 exec, exec, s[6:7]
	v_mov_b32_e32 v49, 0
	ds_read_b32 v49, v49 offset:60
	s_waitcnt lgkmcnt(0)
	v_mul_f32_e32 v49, v105, v49
.LBB82_33:
	s_or_b64 exec, exec, s[4:5]
	v_cmp_lt_u32_e64 s[0:1], 14, v0
	ds_write_b32 v104, v48
	s_waitcnt lgkmcnt(0)
	; wave barrier
	s_and_saveexec_b64 s[4:5], s[0:1]
	s_cbranch_execz .LBB82_49
; %bb.34:
	s_andn2_b64 vcc, exec, s[42:43]
	s_cbranch_vccnz .LBB82_36
; %bb.35:
	v_cmp_eq_u32_e32 vcc, 1, v0
	v_cndmask_b32_e32 v105, v34, v35, vcc
	v_cmp_eq_u32_e32 vcc, 2, v0
	v_cndmask_b32_e32 v105, v105, v36, vcc
	;; [unrolled: 2-line block ×14, first 2 shown]
	v_cmp_eq_u32_e32 vcc, 15, v0
	ds_read_b32 v106, v104
	v_cndmask_b32_e32 v105, v105, v49, vcc
	v_cmp_eq_u32_e32 vcc, 16, v0
	v_cndmask_b32_e32 v105, v105, v50, vcc
	v_cmp_eq_u32_e32 vcc, 17, v0
	;; [unrolled: 2-line block ×3, first 2 shown]
	v_cndmask_b32_e32 v105, v105, v52, vcc
	s_waitcnt lgkmcnt(0)
	v_mul_f32_e32 v105, v105, v106
	s_cbranch_execz .LBB82_37
	s_branch .LBB82_38
.LBB82_36:
                                        ; implicit-def: $vgpr105
.LBB82_37:
	ds_read_b32 v105, v104
.LBB82_38:
	s_and_saveexec_b64 s[6:7], s[2:3]
	s_cbranch_execz .LBB82_48
; %bb.39:
	v_add_u32_e32 v106, -16, v0
	v_add_u32_e32 v107, -15, v0
	v_cmp_lt_u32_e32 vcc, 6, v106
	v_mov_b32_e32 v106, 15
	s_and_saveexec_b64 s[2:3], vcc
	s_cbranch_execz .LBB82_43
; %bb.40:
	v_and_b32_e32 v106, -8, v107
	v_sub_u32_e32 v108, 0, v106
	s_mov_b64 s[8:9], 22
	s_movk_i32 s12, 0x8c
	s_mov_b64 s[10:11], 0
.LBB82_41:                              ; =>This Inner Loop Header: Depth=1
	s_add_i32 s13, s8, -7
	v_mov_b32_e32 v106, s12
	s_add_i32 s14, s8, -6
	s_set_gpr_idx_on s13, gpr_idx(SRC0)
	v_mov_b32_e32 v115, v34
	s_set_gpr_idx_off
	ds_read2_b32 v[109:110], v106 offset1:1
	s_add_i32 s15, s8, -5
	s_set_gpr_idx_on s14, gpr_idx(SRC0)
	v_mov_b32_e32 v116, v34
	s_set_gpr_idx_off
	s_add_i32 s16, s8, -4
	s_set_gpr_idx_on s15, gpr_idx(SRC0)
	v_mov_b32_e32 v117, v34
	s_set_gpr_idx_off
	ds_read2_b32 v[111:112], v106 offset0:2 offset1:3
	s_add_i32 s17, s8, -3
	s_set_gpr_idx_on s16, gpr_idx(SRC0)
	v_mov_b32_e32 v118, v34
	s_set_gpr_idx_off
	s_add_i32 s18, s8, -2
	s_set_gpr_idx_on s17, gpr_idx(SRC0)
	v_mov_b32_e32 v119, v34
	s_set_gpr_idx_off
	ds_read2_b32 v[113:114], v106 offset0:4 offset1:5
	s_add_i32 s19, s8, -1
	s_waitcnt lgkmcnt(2)
	v_fmac_f32_e32 v105, v115, v109
	s_set_gpr_idx_on s18, gpr_idx(SRC0)
	v_mov_b32_e32 v115, v34
	s_set_gpr_idx_off
	v_fmac_f32_e32 v105, v116, v110
	s_set_gpr_idx_on s19, gpr_idx(SRC0)
	v_mov_b32_e32 v116, v34
	s_set_gpr_idx_off
	ds_read2_b32 v[109:110], v106 offset0:6 offset1:7
	s_waitcnt lgkmcnt(2)
	v_fmac_f32_e32 v105, v117, v111
	s_set_gpr_idx_on s8, gpr_idx(SRC0)
	v_mov_b32_e32 v111, v34
	s_set_gpr_idx_off
	v_fmac_f32_e32 v105, v118, v112
	s_add_u32 s8, s8, 8
	s_waitcnt lgkmcnt(1)
	v_fmac_f32_e32 v105, v119, v113
	v_add_u32_e32 v106, s8, v108
	v_fmac_f32_e32 v105, v115, v114
	s_addc_u32 s9, s9, 0
	s_add_i32 s12, s12, 32
	s_add_i32 s13, s8, -7
	v_cmp_eq_u32_e32 vcc, 22, v106
	s_waitcnt lgkmcnt(0)
	v_fmac_f32_e32 v105, v116, v109
	v_mov_b32_e32 v106, s13
	s_or_b64 s[10:11], vcc, s[10:11]
	v_fmac_f32_e32 v105, v111, v110
	s_andn2_b64 exec, exec, s[10:11]
	s_cbranch_execnz .LBB82_41
; %bb.42:
	s_or_b64 exec, exec, s[10:11]
.LBB82_43:
	s_or_b64 exec, exec, s[2:3]
	v_and_b32_e32 v53, 7, v107
	v_cmp_ne_u32_e32 vcc, 0, v53
	s_and_saveexec_b64 s[8:9], vcc
	s_cbranch_execz .LBB82_47
; %bb.44:
	v_mov_b32_e32 v54, 0x50
	v_lshl_add_u32 v54, v106, 2, v54
	v_mov_b32_e32 v55, 0
	s_mov_b64 s[10:11], 0
.LBB82_45:                              ; =>This Inner Loop Header: Depth=1
	v_cmp_eq_u32_e32 vcc, 1, v106
	v_cndmask_b32_e32 v56, v34, v35, vcc
	v_add_u32_e32 v53, -1, v53
	v_cmp_eq_u32_e32 vcc, 2, v106
	v_cndmask_b32_e32 v56, v56, v36, vcc
	v_cmp_eq_u32_e32 vcc, 0, v53
	v_cmp_eq_u32_e64 s[2:3], 3, v106
	v_cndmask_b32_e64 v56, v56, v37, s[2:3]
	s_or_b64 s[10:11], vcc, s[10:11]
	v_cmp_eq_u32_e32 vcc, 4, v106
	v_cndmask_b32_e32 v56, v56, v38, vcc
	v_cmp_eq_u32_e32 vcc, 5, v106
	v_cndmask_b32_e32 v56, v56, v39, vcc
	;; [unrolled: 2-line block ×10, first 2 shown]
	v_cmp_eq_u32_e32 vcc, 14, v106
	ds_read_b32 v57, v54
	v_cndmask_b32_e32 v56, v56, v48, vcc
	v_cmp_eq_u32_e32 vcc, 15, v106
	v_cndmask_b32_e32 v56, v56, v49, vcc
	v_cmp_eq_u32_e32 vcc, 16, v106
	;; [unrolled: 2-line block ×4, first 2 shown]
	v_add_co_u32_e64 v106, s[2:3], 1, v106
	v_cndmask_b32_e32 v56, v56, v52, vcc
	v_add_u32_e32 v54, 4, v54
	v_addc_co_u32_e64 v55, s[2:3], 0, v55, s[2:3]
	s_waitcnt lgkmcnt(0)
	v_fmac_f32_e32 v105, v56, v57
	s_andn2_b64 exec, exec, s[10:11]
	s_cbranch_execnz .LBB82_45
; %bb.46:
	s_or_b64 exec, exec, s[10:11]
.LBB82_47:
	s_or_b64 exec, exec, s[8:9]
.LBB82_48:
	s_or_b64 exec, exec, s[6:7]
	v_mov_b32_e32 v48, 0
	ds_read_b32 v48, v48 offset:56
	s_waitcnt lgkmcnt(0)
	v_mul_f32_e32 v48, v105, v48
.LBB82_49:
	s_or_b64 exec, exec, s[4:5]
	v_cmp_lt_u32_e64 s[2:3], 13, v0
	ds_write_b32 v104, v47
	s_waitcnt lgkmcnt(0)
	; wave barrier
	s_and_saveexec_b64 s[4:5], s[2:3]
	s_cbranch_execz .LBB82_65
; %bb.50:
	s_andn2_b64 vcc, exec, s[42:43]
	s_cbranch_vccnz .LBB82_52
; %bb.51:
	v_cmp_eq_u32_e32 vcc, 1, v0
	v_cndmask_b32_e32 v105, v34, v35, vcc
	v_cmp_eq_u32_e32 vcc, 2, v0
	v_cndmask_b32_e32 v105, v105, v36, vcc
	;; [unrolled: 2-line block ×14, first 2 shown]
	v_cmp_eq_u32_e32 vcc, 15, v0
	ds_read_b32 v106, v104
	v_cndmask_b32_e32 v105, v105, v49, vcc
	v_cmp_eq_u32_e32 vcc, 16, v0
	v_cndmask_b32_e32 v105, v105, v50, vcc
	v_cmp_eq_u32_e32 vcc, 17, v0
	;; [unrolled: 2-line block ×3, first 2 shown]
	v_cndmask_b32_e32 v105, v105, v52, vcc
	s_waitcnt lgkmcnt(0)
	v_mul_f32_e32 v105, v105, v106
	s_cbranch_execz .LBB82_53
	s_branch .LBB82_54
.LBB82_52:
                                        ; implicit-def: $vgpr105
.LBB82_53:
	ds_read_b32 v105, v104
.LBB82_54:
	s_and_saveexec_b64 s[6:7], s[0:1]
	s_cbranch_execz .LBB82_64
; %bb.55:
	v_add_u32_e32 v106, -15, v0
	v_add_u32_e32 v107, -14, v0
	v_cmp_lt_u32_e32 vcc, 6, v106
	v_mov_b32_e32 v106, 14
	s_and_saveexec_b64 s[0:1], vcc
	s_cbranch_execz .LBB82_59
; %bb.56:
	v_and_b32_e32 v106, -8, v107
	v_sub_u32_e32 v108, 0, v106
	s_mov_b64 s[8:9], 21
	s_movk_i32 s12, 0x88
	s_mov_b64 s[10:11], 0
.LBB82_57:                              ; =>This Inner Loop Header: Depth=1
	s_add_i32 s13, s8, -7
	v_mov_b32_e32 v106, s12
	s_add_i32 s14, s8, -6
	s_set_gpr_idx_on s13, gpr_idx(SRC0)
	v_mov_b32_e32 v117, v34
	s_set_gpr_idx_off
	ds_read2_b64 v[109:112], v106 offset1:1
	s_add_i32 s15, s8, -5
	s_set_gpr_idx_on s14, gpr_idx(SRC0)
	v_mov_b32_e32 v118, v34
	s_set_gpr_idx_off
	s_add_i32 s16, s8, -4
	s_set_gpr_idx_on s15, gpr_idx(SRC0)
	v_mov_b32_e32 v119, v34
	s_set_gpr_idx_off
	;; [unrolled: 4-line block ×4, first 2 shown]
	ds_read2_b64 v[113:116], v106 offset0:2 offset1:3
	s_add_i32 s19, s8, -1
	s_waitcnt lgkmcnt(1)
	v_fmac_f32_e32 v105, v117, v109
	s_set_gpr_idx_on s18, gpr_idx(SRC0)
	v_mov_b32_e32 v109, v34
	s_set_gpr_idx_off
	v_fmac_f32_e32 v105, v118, v110
	s_set_gpr_idx_on s19, gpr_idx(SRC0)
	v_mov_b32_e32 v110, v34
	s_set_gpr_idx_off
	;; [unrolled: 4-line block ×3, first 2 shown]
	v_fmac_f32_e32 v105, v120, v112
	s_add_u32 s8, s8, 8
	s_waitcnt lgkmcnt(0)
	v_fmac_f32_e32 v105, v121, v113
	v_add_u32_e32 v106, s8, v108
	v_fmac_f32_e32 v105, v109, v114
	s_addc_u32 s9, s9, 0
	s_add_i32 s12, s12, 32
	s_add_i32 s13, s8, -7
	v_cmp_eq_u32_e32 vcc, 21, v106
	v_fmac_f32_e32 v105, v110, v115
	v_mov_b32_e32 v106, s13
	s_or_b64 s[10:11], vcc, s[10:11]
	v_fmac_f32_e32 v105, v111, v116
	s_andn2_b64 exec, exec, s[10:11]
	s_cbranch_execnz .LBB82_57
; %bb.58:
	s_or_b64 exec, exec, s[10:11]
.LBB82_59:
	s_or_b64 exec, exec, s[0:1]
	v_and_b32_e32 v53, 7, v107
	v_cmp_ne_u32_e32 vcc, 0, v53
	s_and_saveexec_b64 s[8:9], vcc
	s_cbranch_execz .LBB82_63
; %bb.60:
	v_mov_b32_e32 v54, 0x50
	v_lshl_add_u32 v54, v106, 2, v54
	v_mov_b32_e32 v55, 0
	s_mov_b64 s[10:11], 0
.LBB82_61:                              ; =>This Inner Loop Header: Depth=1
	v_cmp_eq_u32_e32 vcc, 1, v106
	v_cndmask_b32_e32 v56, v34, v35, vcc
	v_add_u32_e32 v53, -1, v53
	v_cmp_eq_u32_e32 vcc, 2, v106
	v_cndmask_b32_e32 v56, v56, v36, vcc
	v_cmp_eq_u32_e32 vcc, 0, v53
	v_cmp_eq_u32_e64 s[0:1], 3, v106
	v_cndmask_b32_e64 v56, v56, v37, s[0:1]
	s_or_b64 s[10:11], vcc, s[10:11]
	v_cmp_eq_u32_e32 vcc, 4, v106
	v_cndmask_b32_e32 v56, v56, v38, vcc
	v_cmp_eq_u32_e32 vcc, 5, v106
	v_cndmask_b32_e32 v56, v56, v39, vcc
	;; [unrolled: 2-line block ×10, first 2 shown]
	v_cmp_eq_u32_e32 vcc, 14, v106
	ds_read_b32 v57, v54
	v_cndmask_b32_e32 v56, v56, v48, vcc
	v_cmp_eq_u32_e32 vcc, 15, v106
	v_cndmask_b32_e32 v56, v56, v49, vcc
	v_cmp_eq_u32_e32 vcc, 16, v106
	v_cndmask_b32_e32 v56, v56, v50, vcc
	v_cmp_eq_u32_e32 vcc, 17, v106
	v_cndmask_b32_e32 v56, v56, v51, vcc
	v_cmp_eq_u32_e32 vcc, 18, v106
	v_add_co_u32_e64 v106, s[0:1], 1, v106
	v_cndmask_b32_e32 v56, v56, v52, vcc
	v_add_u32_e32 v54, 4, v54
	v_addc_co_u32_e64 v55, s[0:1], 0, v55, s[0:1]
	s_waitcnt lgkmcnt(0)
	v_fmac_f32_e32 v105, v56, v57
	s_andn2_b64 exec, exec, s[10:11]
	s_cbranch_execnz .LBB82_61
; %bb.62:
	s_or_b64 exec, exec, s[10:11]
.LBB82_63:
	s_or_b64 exec, exec, s[8:9]
.LBB82_64:
	s_or_b64 exec, exec, s[6:7]
	v_mov_b32_e32 v47, 0
	ds_read_b32 v47, v47 offset:52
	s_waitcnt lgkmcnt(0)
	v_mul_f32_e32 v47, v105, v47
.LBB82_65:
	s_or_b64 exec, exec, s[4:5]
	v_cmp_lt_u32_e64 s[0:1], 12, v0
	ds_write_b32 v104, v46
	s_waitcnt lgkmcnt(0)
	; wave barrier
	s_and_saveexec_b64 s[4:5], s[0:1]
	s_cbranch_execz .LBB82_81
; %bb.66:
	s_andn2_b64 vcc, exec, s[42:43]
	s_cbranch_vccnz .LBB82_68
; %bb.67:
	v_cmp_eq_u32_e32 vcc, 1, v0
	v_cndmask_b32_e32 v105, v34, v35, vcc
	v_cmp_eq_u32_e32 vcc, 2, v0
	v_cndmask_b32_e32 v105, v105, v36, vcc
	v_cmp_eq_u32_e32 vcc, 3, v0
	v_cndmask_b32_e32 v105, v105, v37, vcc
	v_cmp_eq_u32_e32 vcc, 4, v0
	v_cndmask_b32_e32 v105, v105, v38, vcc
	v_cmp_eq_u32_e32 vcc, 5, v0
	v_cndmask_b32_e32 v105, v105, v39, vcc
	v_cmp_eq_u32_e32 vcc, 6, v0
	v_cndmask_b32_e32 v105, v105, v40, vcc
	v_cmp_eq_u32_e32 vcc, 7, v0
	v_cndmask_b32_e32 v105, v105, v41, vcc
	v_cmp_eq_u32_e32 vcc, 8, v0
	v_cndmask_b32_e32 v105, v105, v42, vcc
	v_cmp_eq_u32_e32 vcc, 9, v0
	v_cndmask_b32_e32 v105, v105, v43, vcc
	v_cmp_eq_u32_e32 vcc, 10, v0
	v_cndmask_b32_e32 v105, v105, v44, vcc
	v_cmp_eq_u32_e32 vcc, 11, v0
	v_cndmask_b32_e32 v105, v105, v45, vcc
	v_cmp_eq_u32_e32 vcc, 12, v0
	v_cndmask_b32_e32 v105, v105, v46, vcc
	v_cmp_eq_u32_e32 vcc, 13, v0
	v_cndmask_b32_e32 v105, v105, v47, vcc
	v_cmp_eq_u32_e32 vcc, 14, v0
	v_cndmask_b32_e32 v105, v105, v48, vcc
	v_cmp_eq_u32_e32 vcc, 15, v0
	ds_read_b32 v106, v104
	v_cndmask_b32_e32 v105, v105, v49, vcc
	v_cmp_eq_u32_e32 vcc, 16, v0
	v_cndmask_b32_e32 v105, v105, v50, vcc
	v_cmp_eq_u32_e32 vcc, 17, v0
	;; [unrolled: 2-line block ×3, first 2 shown]
	v_cndmask_b32_e32 v105, v105, v52, vcc
	s_waitcnt lgkmcnt(0)
	v_mul_f32_e32 v105, v105, v106
	s_cbranch_execz .LBB82_69
	s_branch .LBB82_70
.LBB82_68:
                                        ; implicit-def: $vgpr105
.LBB82_69:
	ds_read_b32 v105, v104
.LBB82_70:
	s_and_saveexec_b64 s[6:7], s[2:3]
	s_cbranch_execz .LBB82_80
; %bb.71:
	v_add_u32_e32 v106, -14, v0
	v_add_u32_e32 v107, -13, v0
	v_cmp_lt_u32_e32 vcc, 6, v106
	v_mov_b32_e32 v106, 13
	s_and_saveexec_b64 s[2:3], vcc
	s_cbranch_execz .LBB82_75
; %bb.72:
	v_and_b32_e32 v106, -8, v107
	v_sub_u32_e32 v108, 0, v106
	s_mov_b64 s[8:9], 20
	s_movk_i32 s12, 0x84
	s_mov_b64 s[10:11], 0
.LBB82_73:                              ; =>This Inner Loop Header: Depth=1
	s_add_i32 s13, s8, -7
	v_mov_b32_e32 v106, s12
	s_add_i32 s14, s8, -6
	s_set_gpr_idx_on s13, gpr_idx(SRC0)
	v_mov_b32_e32 v115, v34
	s_set_gpr_idx_off
	ds_read2_b32 v[109:110], v106 offset1:1
	s_add_i32 s15, s8, -5
	s_set_gpr_idx_on s14, gpr_idx(SRC0)
	v_mov_b32_e32 v116, v34
	s_set_gpr_idx_off
	s_add_i32 s16, s8, -4
	s_set_gpr_idx_on s15, gpr_idx(SRC0)
	v_mov_b32_e32 v117, v34
	s_set_gpr_idx_off
	ds_read2_b32 v[111:112], v106 offset0:2 offset1:3
	s_add_i32 s17, s8, -3
	s_set_gpr_idx_on s16, gpr_idx(SRC0)
	v_mov_b32_e32 v118, v34
	s_set_gpr_idx_off
	s_add_i32 s18, s8, -2
	s_set_gpr_idx_on s17, gpr_idx(SRC0)
	v_mov_b32_e32 v119, v34
	s_set_gpr_idx_off
	ds_read2_b32 v[113:114], v106 offset0:4 offset1:5
	s_add_i32 s19, s8, -1
	s_waitcnt lgkmcnt(2)
	v_fmac_f32_e32 v105, v115, v109
	s_set_gpr_idx_on s18, gpr_idx(SRC0)
	v_mov_b32_e32 v115, v34
	s_set_gpr_idx_off
	v_fmac_f32_e32 v105, v116, v110
	s_set_gpr_idx_on s19, gpr_idx(SRC0)
	v_mov_b32_e32 v116, v34
	s_set_gpr_idx_off
	ds_read2_b32 v[109:110], v106 offset0:6 offset1:7
	s_waitcnt lgkmcnt(2)
	v_fmac_f32_e32 v105, v117, v111
	s_set_gpr_idx_on s8, gpr_idx(SRC0)
	v_mov_b32_e32 v111, v34
	s_set_gpr_idx_off
	v_fmac_f32_e32 v105, v118, v112
	s_add_u32 s8, s8, 8
	s_waitcnt lgkmcnt(1)
	v_fmac_f32_e32 v105, v119, v113
	v_add_u32_e32 v106, s8, v108
	v_fmac_f32_e32 v105, v115, v114
	s_addc_u32 s9, s9, 0
	s_add_i32 s12, s12, 32
	s_add_i32 s13, s8, -7
	v_cmp_eq_u32_e32 vcc, 20, v106
	s_waitcnt lgkmcnt(0)
	v_fmac_f32_e32 v105, v116, v109
	v_mov_b32_e32 v106, s13
	s_or_b64 s[10:11], vcc, s[10:11]
	v_fmac_f32_e32 v105, v111, v110
	s_andn2_b64 exec, exec, s[10:11]
	s_cbranch_execnz .LBB82_73
; %bb.74:
	s_or_b64 exec, exec, s[10:11]
.LBB82_75:
	s_or_b64 exec, exec, s[2:3]
	v_and_b32_e32 v53, 7, v107
	v_cmp_ne_u32_e32 vcc, 0, v53
	s_and_saveexec_b64 s[8:9], vcc
	s_cbranch_execz .LBB82_79
; %bb.76:
	v_mov_b32_e32 v54, 0x50
	v_lshl_add_u32 v54, v106, 2, v54
	v_mov_b32_e32 v55, 0
	s_mov_b64 s[10:11], 0
.LBB82_77:                              ; =>This Inner Loop Header: Depth=1
	v_cmp_eq_u32_e32 vcc, 1, v106
	v_cndmask_b32_e32 v56, v34, v35, vcc
	v_add_u32_e32 v53, -1, v53
	v_cmp_eq_u32_e32 vcc, 2, v106
	v_cndmask_b32_e32 v56, v56, v36, vcc
	v_cmp_eq_u32_e32 vcc, 0, v53
	v_cmp_eq_u32_e64 s[2:3], 3, v106
	v_cndmask_b32_e64 v56, v56, v37, s[2:3]
	s_or_b64 s[10:11], vcc, s[10:11]
	v_cmp_eq_u32_e32 vcc, 4, v106
	v_cndmask_b32_e32 v56, v56, v38, vcc
	v_cmp_eq_u32_e32 vcc, 5, v106
	v_cndmask_b32_e32 v56, v56, v39, vcc
	;; [unrolled: 2-line block ×10, first 2 shown]
	v_cmp_eq_u32_e32 vcc, 14, v106
	ds_read_b32 v57, v54
	v_cndmask_b32_e32 v56, v56, v48, vcc
	v_cmp_eq_u32_e32 vcc, 15, v106
	v_cndmask_b32_e32 v56, v56, v49, vcc
	v_cmp_eq_u32_e32 vcc, 16, v106
	;; [unrolled: 2-line block ×4, first 2 shown]
	v_add_co_u32_e64 v106, s[2:3], 1, v106
	v_cndmask_b32_e32 v56, v56, v52, vcc
	v_add_u32_e32 v54, 4, v54
	v_addc_co_u32_e64 v55, s[2:3], 0, v55, s[2:3]
	s_waitcnt lgkmcnt(0)
	v_fmac_f32_e32 v105, v56, v57
	s_andn2_b64 exec, exec, s[10:11]
	s_cbranch_execnz .LBB82_77
; %bb.78:
	s_or_b64 exec, exec, s[10:11]
.LBB82_79:
	s_or_b64 exec, exec, s[8:9]
.LBB82_80:
	s_or_b64 exec, exec, s[6:7]
	v_mov_b32_e32 v46, 0
	ds_read_b32 v46, v46 offset:48
	s_waitcnt lgkmcnt(0)
	v_mul_f32_e32 v46, v105, v46
.LBB82_81:
	s_or_b64 exec, exec, s[4:5]
	v_cmp_lt_u32_e64 s[2:3], 11, v0
	ds_write_b32 v104, v45
	s_waitcnt lgkmcnt(0)
	; wave barrier
	s_and_saveexec_b64 s[4:5], s[2:3]
	s_cbranch_execz .LBB82_97
; %bb.82:
	s_andn2_b64 vcc, exec, s[42:43]
	s_cbranch_vccnz .LBB82_84
; %bb.83:
	v_cmp_eq_u32_e32 vcc, 1, v0
	v_cndmask_b32_e32 v105, v34, v35, vcc
	v_cmp_eq_u32_e32 vcc, 2, v0
	v_cndmask_b32_e32 v105, v105, v36, vcc
	v_cmp_eq_u32_e32 vcc, 3, v0
	v_cndmask_b32_e32 v105, v105, v37, vcc
	v_cmp_eq_u32_e32 vcc, 4, v0
	v_cndmask_b32_e32 v105, v105, v38, vcc
	v_cmp_eq_u32_e32 vcc, 5, v0
	v_cndmask_b32_e32 v105, v105, v39, vcc
	v_cmp_eq_u32_e32 vcc, 6, v0
	v_cndmask_b32_e32 v105, v105, v40, vcc
	v_cmp_eq_u32_e32 vcc, 7, v0
	v_cndmask_b32_e32 v105, v105, v41, vcc
	v_cmp_eq_u32_e32 vcc, 8, v0
	v_cndmask_b32_e32 v105, v105, v42, vcc
	v_cmp_eq_u32_e32 vcc, 9, v0
	v_cndmask_b32_e32 v105, v105, v43, vcc
	v_cmp_eq_u32_e32 vcc, 10, v0
	v_cndmask_b32_e32 v105, v105, v44, vcc
	v_cmp_eq_u32_e32 vcc, 11, v0
	v_cndmask_b32_e32 v105, v105, v45, vcc
	v_cmp_eq_u32_e32 vcc, 12, v0
	v_cndmask_b32_e32 v105, v105, v46, vcc
	v_cmp_eq_u32_e32 vcc, 13, v0
	v_cndmask_b32_e32 v105, v105, v47, vcc
	v_cmp_eq_u32_e32 vcc, 14, v0
	v_cndmask_b32_e32 v105, v105, v48, vcc
	v_cmp_eq_u32_e32 vcc, 15, v0
	ds_read_b32 v106, v104
	v_cndmask_b32_e32 v105, v105, v49, vcc
	v_cmp_eq_u32_e32 vcc, 16, v0
	v_cndmask_b32_e32 v105, v105, v50, vcc
	v_cmp_eq_u32_e32 vcc, 17, v0
	;; [unrolled: 2-line block ×3, first 2 shown]
	v_cndmask_b32_e32 v105, v105, v52, vcc
	s_waitcnt lgkmcnt(0)
	v_mul_f32_e32 v105, v105, v106
	s_cbranch_execz .LBB82_85
	s_branch .LBB82_86
.LBB82_84:
                                        ; implicit-def: $vgpr105
.LBB82_85:
	ds_read_b32 v105, v104
.LBB82_86:
	s_and_saveexec_b64 s[6:7], s[0:1]
	s_cbranch_execz .LBB82_96
; %bb.87:
	v_add_u32_e32 v106, -13, v0
	v_add_u32_e32 v107, -12, v0
	v_cmp_lt_u32_e32 vcc, 6, v106
	v_mov_b32_e32 v106, 12
	s_and_saveexec_b64 s[0:1], vcc
	s_cbranch_execz .LBB82_91
; %bb.88:
	v_and_b32_e32 v106, -8, v107
	v_sub_u32_e32 v108, 0, v106
	s_mov_b64 s[8:9], 19
	s_movk_i32 s12, 0x80
	s_mov_b64 s[10:11], 0
.LBB82_89:                              ; =>This Inner Loop Header: Depth=1
	s_add_i32 s13, s8, -7
	v_mov_b32_e32 v106, s12
	s_add_i32 s14, s8, -6
	s_set_gpr_idx_on s13, gpr_idx(SRC0)
	v_mov_b32_e32 v117, v34
	s_set_gpr_idx_off
	s_add_i32 s15, s8, -5
	ds_read_b128 v[109:112], v106
	ds_read_b128 v[113:116], v106 offset:16
	s_set_gpr_idx_on s14, gpr_idx(SRC0)
	v_mov_b32_e32 v106, v34
	s_set_gpr_idx_off
	s_add_i32 s16, s8, -4
	s_set_gpr_idx_on s15, gpr_idx(SRC0)
	v_mov_b32_e32 v118, v34
	s_set_gpr_idx_off
	s_add_i32 s17, s8, -3
	;; [unrolled: 4-line block ×4, first 2 shown]
	s_waitcnt lgkmcnt(1)
	v_fmac_f32_e32 v105, v117, v109
	s_set_gpr_idx_on s18, gpr_idx(SRC0)
	v_mov_b32_e32 v109, v34
	s_set_gpr_idx_off
	v_fmac_f32_e32 v105, v106, v110
	s_set_gpr_idx_on s19, gpr_idx(SRC0)
	v_mov_b32_e32 v110, v34
	s_set_gpr_idx_off
	v_fmac_f32_e32 v105, v118, v111
	s_set_gpr_idx_on s8, gpr_idx(SRC0)
	v_mov_b32_e32 v111, v34
	s_set_gpr_idx_off
	v_fmac_f32_e32 v105, v119, v112
	s_add_u32 s8, s8, 8
	s_waitcnt lgkmcnt(0)
	v_fmac_f32_e32 v105, v120, v113
	v_add_u32_e32 v106, s8, v108
	v_fmac_f32_e32 v105, v109, v114
	s_addc_u32 s9, s9, 0
	s_add_i32 s12, s12, 32
	s_add_i32 s13, s8, -7
	v_cmp_eq_u32_e32 vcc, 19, v106
	v_fmac_f32_e32 v105, v110, v115
	v_mov_b32_e32 v106, s13
	s_or_b64 s[10:11], vcc, s[10:11]
	v_fmac_f32_e32 v105, v111, v116
	s_andn2_b64 exec, exec, s[10:11]
	s_cbranch_execnz .LBB82_89
; %bb.90:
	s_or_b64 exec, exec, s[10:11]
.LBB82_91:
	s_or_b64 exec, exec, s[0:1]
	v_and_b32_e32 v53, 7, v107
	v_cmp_ne_u32_e32 vcc, 0, v53
	s_and_saveexec_b64 s[8:9], vcc
	s_cbranch_execz .LBB82_95
; %bb.92:
	v_mov_b32_e32 v54, 0x50
	v_lshl_add_u32 v54, v106, 2, v54
	v_mov_b32_e32 v55, 0
	s_mov_b64 s[10:11], 0
.LBB82_93:                              ; =>This Inner Loop Header: Depth=1
	v_cmp_eq_u32_e32 vcc, 1, v106
	v_cndmask_b32_e32 v56, v34, v35, vcc
	v_add_u32_e32 v53, -1, v53
	v_cmp_eq_u32_e32 vcc, 2, v106
	v_cndmask_b32_e32 v56, v56, v36, vcc
	v_cmp_eq_u32_e32 vcc, 0, v53
	v_cmp_eq_u32_e64 s[0:1], 3, v106
	v_cndmask_b32_e64 v56, v56, v37, s[0:1]
	s_or_b64 s[10:11], vcc, s[10:11]
	v_cmp_eq_u32_e32 vcc, 4, v106
	v_cndmask_b32_e32 v56, v56, v38, vcc
	v_cmp_eq_u32_e32 vcc, 5, v106
	v_cndmask_b32_e32 v56, v56, v39, vcc
	;; [unrolled: 2-line block ×10, first 2 shown]
	v_cmp_eq_u32_e32 vcc, 14, v106
	ds_read_b32 v57, v54
	v_cndmask_b32_e32 v56, v56, v48, vcc
	v_cmp_eq_u32_e32 vcc, 15, v106
	v_cndmask_b32_e32 v56, v56, v49, vcc
	v_cmp_eq_u32_e32 vcc, 16, v106
	;; [unrolled: 2-line block ×4, first 2 shown]
	v_add_co_u32_e64 v106, s[0:1], 1, v106
	v_cndmask_b32_e32 v56, v56, v52, vcc
	v_add_u32_e32 v54, 4, v54
	v_addc_co_u32_e64 v55, s[0:1], 0, v55, s[0:1]
	s_waitcnt lgkmcnt(0)
	v_fmac_f32_e32 v105, v56, v57
	s_andn2_b64 exec, exec, s[10:11]
	s_cbranch_execnz .LBB82_93
; %bb.94:
	s_or_b64 exec, exec, s[10:11]
.LBB82_95:
	s_or_b64 exec, exec, s[8:9]
.LBB82_96:
	s_or_b64 exec, exec, s[6:7]
	v_mov_b32_e32 v45, 0
	ds_read_b32 v45, v45 offset:44
	s_waitcnt lgkmcnt(0)
	v_mul_f32_e32 v45, v105, v45
.LBB82_97:
	s_or_b64 exec, exec, s[4:5]
	v_cmp_lt_u32_e64 s[0:1], 10, v0
	ds_write_b32 v104, v44
	s_waitcnt lgkmcnt(0)
	; wave barrier
	s_and_saveexec_b64 s[4:5], s[0:1]
	s_cbranch_execz .LBB82_113
; %bb.98:
	s_andn2_b64 vcc, exec, s[42:43]
	s_cbranch_vccnz .LBB82_100
; %bb.99:
	v_cmp_eq_u32_e32 vcc, 1, v0
	v_cndmask_b32_e32 v105, v34, v35, vcc
	v_cmp_eq_u32_e32 vcc, 2, v0
	v_cndmask_b32_e32 v105, v105, v36, vcc
	;; [unrolled: 2-line block ×14, first 2 shown]
	v_cmp_eq_u32_e32 vcc, 15, v0
	ds_read_b32 v106, v104
	v_cndmask_b32_e32 v105, v105, v49, vcc
	v_cmp_eq_u32_e32 vcc, 16, v0
	v_cndmask_b32_e32 v105, v105, v50, vcc
	v_cmp_eq_u32_e32 vcc, 17, v0
	;; [unrolled: 2-line block ×3, first 2 shown]
	v_cndmask_b32_e32 v105, v105, v52, vcc
	s_waitcnt lgkmcnt(0)
	v_mul_f32_e32 v105, v105, v106
	s_cbranch_execz .LBB82_101
	s_branch .LBB82_102
.LBB82_100:
                                        ; implicit-def: $vgpr105
.LBB82_101:
	ds_read_b32 v105, v104
.LBB82_102:
	s_and_saveexec_b64 s[6:7], s[2:3]
	s_cbranch_execz .LBB82_112
; %bb.103:
	v_add_u32_e32 v106, -12, v0
	v_add_u32_e32 v107, -11, v0
	v_cmp_lt_u32_e32 vcc, 6, v106
	v_mov_b32_e32 v106, 11
	s_and_saveexec_b64 s[2:3], vcc
	s_cbranch_execz .LBB82_107
; %bb.104:
	v_and_b32_e32 v106, -8, v107
	v_sub_u32_e32 v108, 0, v106
	s_mov_b64 s[8:9], 18
	s_movk_i32 s12, 0x7c
	s_mov_b64 s[10:11], 0
.LBB82_105:                             ; =>This Inner Loop Header: Depth=1
	s_add_i32 s13, s8, -7
	v_mov_b32_e32 v106, s12
	s_add_i32 s14, s8, -6
	s_set_gpr_idx_on s13, gpr_idx(SRC0)
	v_mov_b32_e32 v115, v34
	s_set_gpr_idx_off
	ds_read2_b32 v[109:110], v106 offset1:1
	s_add_i32 s15, s8, -5
	s_set_gpr_idx_on s14, gpr_idx(SRC0)
	v_mov_b32_e32 v116, v34
	s_set_gpr_idx_off
	s_add_i32 s16, s8, -4
	s_set_gpr_idx_on s15, gpr_idx(SRC0)
	v_mov_b32_e32 v117, v34
	s_set_gpr_idx_off
	ds_read2_b32 v[111:112], v106 offset0:2 offset1:3
	s_add_i32 s17, s8, -3
	s_set_gpr_idx_on s16, gpr_idx(SRC0)
	v_mov_b32_e32 v118, v34
	s_set_gpr_idx_off
	s_add_i32 s18, s8, -2
	s_set_gpr_idx_on s17, gpr_idx(SRC0)
	v_mov_b32_e32 v119, v34
	s_set_gpr_idx_off
	ds_read2_b32 v[113:114], v106 offset0:4 offset1:5
	s_add_i32 s19, s8, -1
	s_waitcnt lgkmcnt(2)
	v_fmac_f32_e32 v105, v115, v109
	s_set_gpr_idx_on s18, gpr_idx(SRC0)
	v_mov_b32_e32 v115, v34
	s_set_gpr_idx_off
	v_fmac_f32_e32 v105, v116, v110
	s_set_gpr_idx_on s19, gpr_idx(SRC0)
	v_mov_b32_e32 v116, v34
	s_set_gpr_idx_off
	ds_read2_b32 v[109:110], v106 offset0:6 offset1:7
	s_waitcnt lgkmcnt(2)
	v_fmac_f32_e32 v105, v117, v111
	s_set_gpr_idx_on s8, gpr_idx(SRC0)
	v_mov_b32_e32 v111, v34
	s_set_gpr_idx_off
	v_fmac_f32_e32 v105, v118, v112
	s_add_u32 s8, s8, 8
	s_waitcnt lgkmcnt(1)
	v_fmac_f32_e32 v105, v119, v113
	v_add_u32_e32 v106, s8, v108
	v_fmac_f32_e32 v105, v115, v114
	s_addc_u32 s9, s9, 0
	s_add_i32 s12, s12, 32
	s_add_i32 s13, s8, -7
	v_cmp_eq_u32_e32 vcc, 18, v106
	s_waitcnt lgkmcnt(0)
	v_fmac_f32_e32 v105, v116, v109
	v_mov_b32_e32 v106, s13
	s_or_b64 s[10:11], vcc, s[10:11]
	v_fmac_f32_e32 v105, v111, v110
	s_andn2_b64 exec, exec, s[10:11]
	s_cbranch_execnz .LBB82_105
; %bb.106:
	s_or_b64 exec, exec, s[10:11]
.LBB82_107:
	s_or_b64 exec, exec, s[2:3]
	v_and_b32_e32 v53, 7, v107
	v_cmp_ne_u32_e32 vcc, 0, v53
	s_and_saveexec_b64 s[8:9], vcc
	s_cbranch_execz .LBB82_111
; %bb.108:
	v_mov_b32_e32 v54, 0x50
	v_lshl_add_u32 v54, v106, 2, v54
	v_mov_b32_e32 v55, 0
	s_mov_b64 s[10:11], 0
.LBB82_109:                             ; =>This Inner Loop Header: Depth=1
	v_cmp_eq_u32_e32 vcc, 1, v106
	v_cndmask_b32_e32 v56, v34, v35, vcc
	v_add_u32_e32 v53, -1, v53
	v_cmp_eq_u32_e32 vcc, 2, v106
	v_cndmask_b32_e32 v56, v56, v36, vcc
	v_cmp_eq_u32_e32 vcc, 0, v53
	v_cmp_eq_u32_e64 s[2:3], 3, v106
	v_cndmask_b32_e64 v56, v56, v37, s[2:3]
	s_or_b64 s[10:11], vcc, s[10:11]
	v_cmp_eq_u32_e32 vcc, 4, v106
	v_cndmask_b32_e32 v56, v56, v38, vcc
	v_cmp_eq_u32_e32 vcc, 5, v106
	v_cndmask_b32_e32 v56, v56, v39, vcc
	;; [unrolled: 2-line block ×10, first 2 shown]
	v_cmp_eq_u32_e32 vcc, 14, v106
	ds_read_b32 v57, v54
	v_cndmask_b32_e32 v56, v56, v48, vcc
	v_cmp_eq_u32_e32 vcc, 15, v106
	v_cndmask_b32_e32 v56, v56, v49, vcc
	v_cmp_eq_u32_e32 vcc, 16, v106
	;; [unrolled: 2-line block ×4, first 2 shown]
	v_add_co_u32_e64 v106, s[2:3], 1, v106
	v_cndmask_b32_e32 v56, v56, v52, vcc
	v_add_u32_e32 v54, 4, v54
	v_addc_co_u32_e64 v55, s[2:3], 0, v55, s[2:3]
	s_waitcnt lgkmcnt(0)
	v_fmac_f32_e32 v105, v56, v57
	s_andn2_b64 exec, exec, s[10:11]
	s_cbranch_execnz .LBB82_109
; %bb.110:
	s_or_b64 exec, exec, s[10:11]
.LBB82_111:
	s_or_b64 exec, exec, s[8:9]
.LBB82_112:
	s_or_b64 exec, exec, s[6:7]
	v_mov_b32_e32 v44, 0
	ds_read_b32 v44, v44 offset:40
	s_waitcnt lgkmcnt(0)
	v_mul_f32_e32 v44, v105, v44
.LBB82_113:
	s_or_b64 exec, exec, s[4:5]
	v_cmp_lt_u32_e64 s[2:3], 9, v0
	ds_write_b32 v104, v43
	s_waitcnt lgkmcnt(0)
	; wave barrier
	s_and_saveexec_b64 s[4:5], s[2:3]
	s_cbranch_execz .LBB82_129
; %bb.114:
	s_andn2_b64 vcc, exec, s[42:43]
	s_cbranch_vccnz .LBB82_116
; %bb.115:
	v_cmp_eq_u32_e32 vcc, 1, v0
	v_cndmask_b32_e32 v105, v34, v35, vcc
	v_cmp_eq_u32_e32 vcc, 2, v0
	v_cndmask_b32_e32 v105, v105, v36, vcc
	;; [unrolled: 2-line block ×14, first 2 shown]
	v_cmp_eq_u32_e32 vcc, 15, v0
	ds_read_b32 v106, v104
	v_cndmask_b32_e32 v105, v105, v49, vcc
	v_cmp_eq_u32_e32 vcc, 16, v0
	v_cndmask_b32_e32 v105, v105, v50, vcc
	v_cmp_eq_u32_e32 vcc, 17, v0
	;; [unrolled: 2-line block ×3, first 2 shown]
	v_cndmask_b32_e32 v105, v105, v52, vcc
	s_waitcnt lgkmcnt(0)
	v_mul_f32_e32 v105, v105, v106
	s_cbranch_execz .LBB82_117
	s_branch .LBB82_118
.LBB82_116:
                                        ; implicit-def: $vgpr105
.LBB82_117:
	ds_read_b32 v105, v104
.LBB82_118:
	s_and_saveexec_b64 s[6:7], s[0:1]
	s_cbranch_execz .LBB82_128
; %bb.119:
	v_add_u32_e32 v106, -11, v0
	v_add_u32_e32 v107, -10, v0
	v_cmp_lt_u32_e32 vcc, 6, v106
	v_mov_b32_e32 v106, 10
	s_and_saveexec_b64 s[0:1], vcc
	s_cbranch_execz .LBB82_123
; %bb.120:
	v_and_b32_e32 v106, -8, v107
	v_sub_u32_e32 v108, 0, v106
	s_mov_b64 s[8:9], 17
	s_movk_i32 s12, 0x78
	s_mov_b64 s[10:11], 0
.LBB82_121:                             ; =>This Inner Loop Header: Depth=1
	s_add_i32 s13, s8, -7
	v_mov_b32_e32 v106, s12
	s_add_i32 s14, s8, -6
	s_set_gpr_idx_on s13, gpr_idx(SRC0)
	v_mov_b32_e32 v117, v34
	s_set_gpr_idx_off
	ds_read2_b64 v[109:112], v106 offset1:1
	s_add_i32 s15, s8, -5
	s_set_gpr_idx_on s14, gpr_idx(SRC0)
	v_mov_b32_e32 v118, v34
	s_set_gpr_idx_off
	s_add_i32 s16, s8, -4
	s_set_gpr_idx_on s15, gpr_idx(SRC0)
	v_mov_b32_e32 v119, v34
	s_set_gpr_idx_off
	;; [unrolled: 4-line block ×4, first 2 shown]
	ds_read2_b64 v[113:116], v106 offset0:2 offset1:3
	s_add_i32 s19, s8, -1
	s_waitcnt lgkmcnt(1)
	v_fmac_f32_e32 v105, v117, v109
	s_set_gpr_idx_on s18, gpr_idx(SRC0)
	v_mov_b32_e32 v109, v34
	s_set_gpr_idx_off
	v_fmac_f32_e32 v105, v118, v110
	s_set_gpr_idx_on s19, gpr_idx(SRC0)
	v_mov_b32_e32 v110, v34
	s_set_gpr_idx_off
	;; [unrolled: 4-line block ×3, first 2 shown]
	v_fmac_f32_e32 v105, v120, v112
	s_add_u32 s8, s8, 8
	s_waitcnt lgkmcnt(0)
	v_fmac_f32_e32 v105, v121, v113
	v_add_u32_e32 v106, s8, v108
	v_fmac_f32_e32 v105, v109, v114
	s_addc_u32 s9, s9, 0
	s_add_i32 s12, s12, 32
	s_add_i32 s13, s8, -7
	v_cmp_eq_u32_e32 vcc, 17, v106
	v_fmac_f32_e32 v105, v110, v115
	v_mov_b32_e32 v106, s13
	s_or_b64 s[10:11], vcc, s[10:11]
	v_fmac_f32_e32 v105, v111, v116
	s_andn2_b64 exec, exec, s[10:11]
	s_cbranch_execnz .LBB82_121
; %bb.122:
	s_or_b64 exec, exec, s[10:11]
.LBB82_123:
	s_or_b64 exec, exec, s[0:1]
	v_and_b32_e32 v53, 7, v107
	v_cmp_ne_u32_e32 vcc, 0, v53
	s_and_saveexec_b64 s[8:9], vcc
	s_cbranch_execz .LBB82_127
; %bb.124:
	v_mov_b32_e32 v54, 0x50
	v_lshl_add_u32 v54, v106, 2, v54
	v_mov_b32_e32 v55, 0
	s_mov_b64 s[10:11], 0
.LBB82_125:                             ; =>This Inner Loop Header: Depth=1
	v_cmp_eq_u32_e32 vcc, 1, v106
	v_cndmask_b32_e32 v56, v34, v35, vcc
	v_add_u32_e32 v53, -1, v53
	v_cmp_eq_u32_e32 vcc, 2, v106
	v_cndmask_b32_e32 v56, v56, v36, vcc
	v_cmp_eq_u32_e32 vcc, 0, v53
	v_cmp_eq_u32_e64 s[0:1], 3, v106
	v_cndmask_b32_e64 v56, v56, v37, s[0:1]
	s_or_b64 s[10:11], vcc, s[10:11]
	v_cmp_eq_u32_e32 vcc, 4, v106
	v_cndmask_b32_e32 v56, v56, v38, vcc
	v_cmp_eq_u32_e32 vcc, 5, v106
	v_cndmask_b32_e32 v56, v56, v39, vcc
	;; [unrolled: 2-line block ×10, first 2 shown]
	v_cmp_eq_u32_e32 vcc, 14, v106
	ds_read_b32 v57, v54
	v_cndmask_b32_e32 v56, v56, v48, vcc
	v_cmp_eq_u32_e32 vcc, 15, v106
	v_cndmask_b32_e32 v56, v56, v49, vcc
	v_cmp_eq_u32_e32 vcc, 16, v106
	v_cndmask_b32_e32 v56, v56, v50, vcc
	v_cmp_eq_u32_e32 vcc, 17, v106
	v_cndmask_b32_e32 v56, v56, v51, vcc
	v_cmp_eq_u32_e32 vcc, 18, v106
	v_add_co_u32_e64 v106, s[0:1], 1, v106
	v_cndmask_b32_e32 v56, v56, v52, vcc
	v_add_u32_e32 v54, 4, v54
	v_addc_co_u32_e64 v55, s[0:1], 0, v55, s[0:1]
	s_waitcnt lgkmcnt(0)
	v_fmac_f32_e32 v105, v56, v57
	s_andn2_b64 exec, exec, s[10:11]
	s_cbranch_execnz .LBB82_125
; %bb.126:
	s_or_b64 exec, exec, s[10:11]
.LBB82_127:
	s_or_b64 exec, exec, s[8:9]
.LBB82_128:
	s_or_b64 exec, exec, s[6:7]
	v_mov_b32_e32 v43, 0
	ds_read_b32 v43, v43 offset:36
	s_waitcnt lgkmcnt(0)
	v_mul_f32_e32 v43, v105, v43
.LBB82_129:
	s_or_b64 exec, exec, s[4:5]
	v_cmp_lt_u32_e64 s[0:1], 8, v0
	ds_write_b32 v104, v42
	s_waitcnt lgkmcnt(0)
	; wave barrier
	s_and_saveexec_b64 s[4:5], s[0:1]
	s_cbranch_execz .LBB82_145
; %bb.130:
	s_andn2_b64 vcc, exec, s[42:43]
	s_cbranch_vccnz .LBB82_132
; %bb.131:
	v_cmp_eq_u32_e32 vcc, 1, v0
	v_cndmask_b32_e32 v105, v34, v35, vcc
	v_cmp_eq_u32_e32 vcc, 2, v0
	v_cndmask_b32_e32 v105, v105, v36, vcc
	;; [unrolled: 2-line block ×14, first 2 shown]
	v_cmp_eq_u32_e32 vcc, 15, v0
	ds_read_b32 v106, v104
	v_cndmask_b32_e32 v105, v105, v49, vcc
	v_cmp_eq_u32_e32 vcc, 16, v0
	v_cndmask_b32_e32 v105, v105, v50, vcc
	v_cmp_eq_u32_e32 vcc, 17, v0
	;; [unrolled: 2-line block ×3, first 2 shown]
	v_cndmask_b32_e32 v105, v105, v52, vcc
	s_waitcnt lgkmcnt(0)
	v_mul_f32_e32 v105, v105, v106
	s_cbranch_execz .LBB82_133
	s_branch .LBB82_134
.LBB82_132:
                                        ; implicit-def: $vgpr105
.LBB82_133:
	ds_read_b32 v105, v104
.LBB82_134:
	s_and_saveexec_b64 s[6:7], s[2:3]
	s_cbranch_execz .LBB82_144
; %bb.135:
	v_add_u32_e32 v106, -10, v0
	v_add_u32_e32 v107, -9, v0
	v_cmp_lt_u32_e32 vcc, 6, v106
	v_mov_b32_e32 v106, 9
	s_and_saveexec_b64 s[2:3], vcc
	s_cbranch_execz .LBB82_139
; %bb.136:
	v_and_b32_e32 v106, -8, v107
	v_sub_u32_e32 v108, 0, v106
	s_mov_b64 s[8:9], 16
	s_movk_i32 s12, 0x74
	s_mov_b64 s[10:11], 0
.LBB82_137:                             ; =>This Inner Loop Header: Depth=1
	s_add_i32 s13, s8, -7
	v_mov_b32_e32 v106, s12
	s_add_i32 s14, s8, -6
	s_set_gpr_idx_on s13, gpr_idx(SRC0)
	v_mov_b32_e32 v115, v34
	s_set_gpr_idx_off
	ds_read2_b32 v[109:110], v106 offset1:1
	s_add_i32 s15, s8, -5
	s_set_gpr_idx_on s14, gpr_idx(SRC0)
	v_mov_b32_e32 v116, v34
	s_set_gpr_idx_off
	s_add_i32 s16, s8, -4
	s_set_gpr_idx_on s15, gpr_idx(SRC0)
	v_mov_b32_e32 v117, v34
	s_set_gpr_idx_off
	ds_read2_b32 v[111:112], v106 offset0:2 offset1:3
	s_add_i32 s17, s8, -3
	s_set_gpr_idx_on s16, gpr_idx(SRC0)
	v_mov_b32_e32 v118, v34
	s_set_gpr_idx_off
	s_add_i32 s18, s8, -2
	s_set_gpr_idx_on s17, gpr_idx(SRC0)
	v_mov_b32_e32 v119, v34
	s_set_gpr_idx_off
	ds_read2_b32 v[113:114], v106 offset0:4 offset1:5
	s_add_i32 s19, s8, -1
	s_waitcnt lgkmcnt(2)
	v_fmac_f32_e32 v105, v115, v109
	s_set_gpr_idx_on s18, gpr_idx(SRC0)
	v_mov_b32_e32 v115, v34
	s_set_gpr_idx_off
	v_fmac_f32_e32 v105, v116, v110
	s_set_gpr_idx_on s19, gpr_idx(SRC0)
	v_mov_b32_e32 v116, v34
	s_set_gpr_idx_off
	ds_read2_b32 v[109:110], v106 offset0:6 offset1:7
	s_waitcnt lgkmcnt(2)
	v_fmac_f32_e32 v105, v117, v111
	s_set_gpr_idx_on s8, gpr_idx(SRC0)
	v_mov_b32_e32 v111, v34
	s_set_gpr_idx_off
	v_fmac_f32_e32 v105, v118, v112
	s_add_u32 s8, s8, 8
	s_waitcnt lgkmcnt(1)
	v_fmac_f32_e32 v105, v119, v113
	v_add_u32_e32 v106, s8, v108
	v_fmac_f32_e32 v105, v115, v114
	s_addc_u32 s9, s9, 0
	s_add_i32 s12, s12, 32
	s_add_i32 s13, s8, -7
	v_cmp_eq_u32_e32 vcc, 16, v106
	s_waitcnt lgkmcnt(0)
	v_fmac_f32_e32 v105, v116, v109
	v_mov_b32_e32 v106, s13
	s_or_b64 s[10:11], vcc, s[10:11]
	v_fmac_f32_e32 v105, v111, v110
	s_andn2_b64 exec, exec, s[10:11]
	s_cbranch_execnz .LBB82_137
; %bb.138:
	s_or_b64 exec, exec, s[10:11]
.LBB82_139:
	s_or_b64 exec, exec, s[2:3]
	v_and_b32_e32 v53, 7, v107
	v_cmp_ne_u32_e32 vcc, 0, v53
	s_and_saveexec_b64 s[8:9], vcc
	s_cbranch_execz .LBB82_143
; %bb.140:
	v_mov_b32_e32 v54, 0x50
	v_lshl_add_u32 v54, v106, 2, v54
	v_mov_b32_e32 v55, 0
	s_mov_b64 s[10:11], 0
.LBB82_141:                             ; =>This Inner Loop Header: Depth=1
	v_cmp_eq_u32_e32 vcc, 1, v106
	v_cndmask_b32_e32 v56, v34, v35, vcc
	v_add_u32_e32 v53, -1, v53
	v_cmp_eq_u32_e32 vcc, 2, v106
	v_cndmask_b32_e32 v56, v56, v36, vcc
	v_cmp_eq_u32_e32 vcc, 0, v53
	v_cmp_eq_u32_e64 s[2:3], 3, v106
	v_cndmask_b32_e64 v56, v56, v37, s[2:3]
	s_or_b64 s[10:11], vcc, s[10:11]
	v_cmp_eq_u32_e32 vcc, 4, v106
	v_cndmask_b32_e32 v56, v56, v38, vcc
	v_cmp_eq_u32_e32 vcc, 5, v106
	v_cndmask_b32_e32 v56, v56, v39, vcc
	;; [unrolled: 2-line block ×10, first 2 shown]
	v_cmp_eq_u32_e32 vcc, 14, v106
	ds_read_b32 v57, v54
	v_cndmask_b32_e32 v56, v56, v48, vcc
	v_cmp_eq_u32_e32 vcc, 15, v106
	v_cndmask_b32_e32 v56, v56, v49, vcc
	v_cmp_eq_u32_e32 vcc, 16, v106
	;; [unrolled: 2-line block ×4, first 2 shown]
	v_add_co_u32_e64 v106, s[2:3], 1, v106
	v_cndmask_b32_e32 v56, v56, v52, vcc
	v_add_u32_e32 v54, 4, v54
	v_addc_co_u32_e64 v55, s[2:3], 0, v55, s[2:3]
	s_waitcnt lgkmcnt(0)
	v_fmac_f32_e32 v105, v56, v57
	s_andn2_b64 exec, exec, s[10:11]
	s_cbranch_execnz .LBB82_141
; %bb.142:
	s_or_b64 exec, exec, s[10:11]
.LBB82_143:
	s_or_b64 exec, exec, s[8:9]
.LBB82_144:
	s_or_b64 exec, exec, s[6:7]
	v_mov_b32_e32 v42, 0
	ds_read_b32 v42, v42 offset:32
	s_waitcnt lgkmcnt(0)
	v_mul_f32_e32 v42, v105, v42
.LBB82_145:
	s_or_b64 exec, exec, s[4:5]
	v_cmp_lt_u32_e64 s[2:3], 7, v0
	ds_write_b32 v104, v41
	s_waitcnt lgkmcnt(0)
	; wave barrier
	s_and_saveexec_b64 s[4:5], s[2:3]
	s_cbranch_execz .LBB82_161
; %bb.146:
	s_andn2_b64 vcc, exec, s[42:43]
	s_cbranch_vccnz .LBB82_148
; %bb.147:
	v_cmp_eq_u32_e32 vcc, 1, v0
	v_cndmask_b32_e32 v105, v34, v35, vcc
	v_cmp_eq_u32_e32 vcc, 2, v0
	v_cndmask_b32_e32 v105, v105, v36, vcc
	;; [unrolled: 2-line block ×14, first 2 shown]
	v_cmp_eq_u32_e32 vcc, 15, v0
	ds_read_b32 v106, v104
	v_cndmask_b32_e32 v105, v105, v49, vcc
	v_cmp_eq_u32_e32 vcc, 16, v0
	v_cndmask_b32_e32 v105, v105, v50, vcc
	v_cmp_eq_u32_e32 vcc, 17, v0
	;; [unrolled: 2-line block ×3, first 2 shown]
	v_cndmask_b32_e32 v105, v105, v52, vcc
	s_waitcnt lgkmcnt(0)
	v_mul_f32_e32 v105, v105, v106
	s_cbranch_execz .LBB82_149
	s_branch .LBB82_150
.LBB82_148:
                                        ; implicit-def: $vgpr105
.LBB82_149:
	ds_read_b32 v105, v104
.LBB82_150:
	s_and_saveexec_b64 s[6:7], s[0:1]
	s_cbranch_execz .LBB82_160
; %bb.151:
	v_add_u32_e32 v106, -9, v0
	v_cmp_lt_u32_e32 vcc, 6, v106
	v_mov_b32_e32 v106, 8
	s_and_saveexec_b64 s[0:1], vcc
	s_cbranch_execz .LBB82_155
; %bb.152:
	v_and_b32_e32 v106, 24, v0
	v_sub_u32_e32 v107, 0, v106
	s_mov_b64 s[8:9], 15
	s_movk_i32 s12, 0x70
	s_mov_b64 s[10:11], 0
.LBB82_153:                             ; =>This Inner Loop Header: Depth=1
	s_add_i32 s13, s8, -7
	v_mov_b32_e32 v106, s12
	s_add_i32 s14, s8, -6
	s_set_gpr_idx_on s13, gpr_idx(SRC0)
	v_mov_b32_e32 v116, v34
	s_set_gpr_idx_off
	s_add_i32 s15, s8, -5
	ds_read_b128 v[108:111], v106
	ds_read_b128 v[112:115], v106 offset:16
	s_set_gpr_idx_on s14, gpr_idx(SRC0)
	v_mov_b32_e32 v106, v34
	s_set_gpr_idx_off
	s_add_i32 s16, s8, -4
	s_set_gpr_idx_on s15, gpr_idx(SRC0)
	v_mov_b32_e32 v117, v34
	s_set_gpr_idx_off
	s_add_i32 s17, s8, -3
	s_set_gpr_idx_on s16, gpr_idx(SRC0)
	v_mov_b32_e32 v118, v34
	s_set_gpr_idx_off
	s_add_i32 s18, s8, -2
	s_set_gpr_idx_on s17, gpr_idx(SRC0)
	v_mov_b32_e32 v119, v34
	s_set_gpr_idx_off
	s_add_i32 s19, s8, -1
	s_waitcnt lgkmcnt(1)
	v_fmac_f32_e32 v105, v116, v108
	s_set_gpr_idx_on s18, gpr_idx(SRC0)
	v_mov_b32_e32 v108, v34
	s_set_gpr_idx_off
	v_fmac_f32_e32 v105, v106, v109
	s_set_gpr_idx_on s19, gpr_idx(SRC0)
	v_mov_b32_e32 v109, v34
	s_set_gpr_idx_off
	;; [unrolled: 4-line block ×3, first 2 shown]
	v_fmac_f32_e32 v105, v118, v111
	s_add_u32 s8, s8, 8
	s_waitcnt lgkmcnt(0)
	v_fmac_f32_e32 v105, v119, v112
	v_add_u32_e32 v106, s8, v107
	v_fmac_f32_e32 v105, v108, v113
	s_addc_u32 s9, s9, 0
	s_add_i32 s12, s12, 32
	s_add_i32 s13, s8, -7
	v_cmp_eq_u32_e32 vcc, 7, v106
	v_fmac_f32_e32 v105, v109, v114
	v_mov_b32_e32 v106, s13
	s_or_b64 s[10:11], vcc, s[10:11]
	v_fmac_f32_e32 v105, v110, v115
	s_andn2_b64 exec, exec, s[10:11]
	s_cbranch_execnz .LBB82_153
; %bb.154:
	s_or_b64 exec, exec, s[10:11]
.LBB82_155:
	s_or_b64 exec, exec, s[0:1]
	v_and_b32_e32 v53, 7, v0
	v_cmp_ne_u32_e32 vcc, 0, v53
	s_and_saveexec_b64 s[8:9], vcc
	s_cbranch_execz .LBB82_159
; %bb.156:
	v_mov_b32_e32 v54, 0x50
	v_lshl_add_u32 v54, v106, 2, v54
	v_mov_b32_e32 v55, 0
	s_mov_b64 s[10:11], 0
.LBB82_157:                             ; =>This Inner Loop Header: Depth=1
	v_cmp_eq_u32_e32 vcc, 1, v106
	v_cndmask_b32_e32 v56, v34, v35, vcc
	v_add_u32_e32 v53, -1, v53
	v_cmp_eq_u32_e32 vcc, 2, v106
	v_cndmask_b32_e32 v56, v56, v36, vcc
	v_cmp_eq_u32_e32 vcc, 0, v53
	v_cmp_eq_u32_e64 s[0:1], 3, v106
	v_cndmask_b32_e64 v56, v56, v37, s[0:1]
	s_or_b64 s[10:11], vcc, s[10:11]
	v_cmp_eq_u32_e32 vcc, 4, v106
	v_cndmask_b32_e32 v56, v56, v38, vcc
	v_cmp_eq_u32_e32 vcc, 5, v106
	v_cndmask_b32_e32 v56, v56, v39, vcc
	;; [unrolled: 2-line block ×10, first 2 shown]
	v_cmp_eq_u32_e32 vcc, 14, v106
	ds_read_b32 v57, v54
	v_cndmask_b32_e32 v56, v56, v48, vcc
	v_cmp_eq_u32_e32 vcc, 15, v106
	v_cndmask_b32_e32 v56, v56, v49, vcc
	v_cmp_eq_u32_e32 vcc, 16, v106
	;; [unrolled: 2-line block ×4, first 2 shown]
	v_add_co_u32_e64 v106, s[0:1], 1, v106
	v_cndmask_b32_e32 v56, v56, v52, vcc
	v_add_u32_e32 v54, 4, v54
	v_addc_co_u32_e64 v55, s[0:1], 0, v55, s[0:1]
	s_waitcnt lgkmcnt(0)
	v_fmac_f32_e32 v105, v56, v57
	s_andn2_b64 exec, exec, s[10:11]
	s_cbranch_execnz .LBB82_157
; %bb.158:
	s_or_b64 exec, exec, s[10:11]
.LBB82_159:
	s_or_b64 exec, exec, s[8:9]
.LBB82_160:
	s_or_b64 exec, exec, s[6:7]
	v_mov_b32_e32 v41, 0
	ds_read_b32 v41, v41 offset:28
	s_waitcnt lgkmcnt(0)
	v_mul_f32_e32 v41, v105, v41
.LBB82_161:
	s_or_b64 exec, exec, s[4:5]
	v_cmp_lt_u32_e64 s[0:1], 6, v0
	ds_write_b32 v104, v40
	s_waitcnt lgkmcnt(0)
	; wave barrier
	s_and_saveexec_b64 s[4:5], s[0:1]
	s_cbranch_execz .LBB82_177
; %bb.162:
	s_andn2_b64 vcc, exec, s[42:43]
	s_cbranch_vccnz .LBB82_164
; %bb.163:
	v_cmp_eq_u32_e32 vcc, 1, v0
	v_cndmask_b32_e32 v105, v34, v35, vcc
	v_cmp_eq_u32_e32 vcc, 2, v0
	v_cndmask_b32_e32 v105, v105, v36, vcc
	;; [unrolled: 2-line block ×14, first 2 shown]
	v_cmp_eq_u32_e32 vcc, 15, v0
	ds_read_b32 v106, v104
	v_cndmask_b32_e32 v105, v105, v49, vcc
	v_cmp_eq_u32_e32 vcc, 16, v0
	v_cndmask_b32_e32 v105, v105, v50, vcc
	v_cmp_eq_u32_e32 vcc, 17, v0
	;; [unrolled: 2-line block ×3, first 2 shown]
	v_cndmask_b32_e32 v105, v105, v52, vcc
	s_waitcnt lgkmcnt(0)
	v_mul_f32_e32 v105, v105, v106
	s_cbranch_execz .LBB82_165
	s_branch .LBB82_166
.LBB82_164:
                                        ; implicit-def: $vgpr105
.LBB82_165:
	ds_read_b32 v105, v104
.LBB82_166:
	s_and_saveexec_b64 s[6:7], s[2:3]
	s_cbranch_execz .LBB82_176
; %bb.167:
	v_add_u32_e32 v106, -8, v0
	v_add_u32_e32 v107, -7, v0
	v_cmp_lt_u32_e32 vcc, 6, v106
	v_mov_b32_e32 v106, 7
	s_and_saveexec_b64 s[2:3], vcc
	s_cbranch_execz .LBB82_171
; %bb.168:
	v_and_b32_e32 v106, -8, v107
	v_sub_u32_e32 v108, 0, v106
	s_mov_b64 s[8:9], 14
	s_movk_i32 s12, 0x6c
	s_mov_b64 s[10:11], 0
.LBB82_169:                             ; =>This Inner Loop Header: Depth=1
	s_add_i32 s13, s8, -7
	v_mov_b32_e32 v106, s12
	s_add_i32 s14, s8, -6
	s_set_gpr_idx_on s13, gpr_idx(SRC0)
	v_mov_b32_e32 v115, v34
	s_set_gpr_idx_off
	ds_read2_b32 v[109:110], v106 offset1:1
	s_add_i32 s15, s8, -5
	s_set_gpr_idx_on s14, gpr_idx(SRC0)
	v_mov_b32_e32 v116, v34
	s_set_gpr_idx_off
	s_add_i32 s16, s8, -4
	s_set_gpr_idx_on s15, gpr_idx(SRC0)
	v_mov_b32_e32 v117, v34
	s_set_gpr_idx_off
	ds_read2_b32 v[111:112], v106 offset0:2 offset1:3
	s_add_i32 s17, s8, -3
	s_set_gpr_idx_on s16, gpr_idx(SRC0)
	v_mov_b32_e32 v118, v34
	s_set_gpr_idx_off
	s_add_i32 s18, s8, -2
	s_set_gpr_idx_on s17, gpr_idx(SRC0)
	v_mov_b32_e32 v119, v34
	s_set_gpr_idx_off
	ds_read2_b32 v[113:114], v106 offset0:4 offset1:5
	s_add_i32 s19, s8, -1
	s_waitcnt lgkmcnt(2)
	v_fmac_f32_e32 v105, v115, v109
	s_set_gpr_idx_on s18, gpr_idx(SRC0)
	v_mov_b32_e32 v115, v34
	s_set_gpr_idx_off
	v_fmac_f32_e32 v105, v116, v110
	s_set_gpr_idx_on s19, gpr_idx(SRC0)
	v_mov_b32_e32 v116, v34
	s_set_gpr_idx_off
	ds_read2_b32 v[109:110], v106 offset0:6 offset1:7
	s_waitcnt lgkmcnt(2)
	v_fmac_f32_e32 v105, v117, v111
	s_set_gpr_idx_on s8, gpr_idx(SRC0)
	v_mov_b32_e32 v111, v34
	s_set_gpr_idx_off
	v_fmac_f32_e32 v105, v118, v112
	s_add_u32 s8, s8, 8
	s_waitcnt lgkmcnt(1)
	v_fmac_f32_e32 v105, v119, v113
	v_add_u32_e32 v106, s8, v108
	v_fmac_f32_e32 v105, v115, v114
	s_addc_u32 s9, s9, 0
	s_add_i32 s12, s12, 32
	s_add_i32 s13, s8, -7
	v_cmp_eq_u32_e32 vcc, 14, v106
	s_waitcnt lgkmcnt(0)
	v_fmac_f32_e32 v105, v116, v109
	v_mov_b32_e32 v106, s13
	s_or_b64 s[10:11], vcc, s[10:11]
	v_fmac_f32_e32 v105, v111, v110
	s_andn2_b64 exec, exec, s[10:11]
	s_cbranch_execnz .LBB82_169
; %bb.170:
	s_or_b64 exec, exec, s[10:11]
.LBB82_171:
	s_or_b64 exec, exec, s[2:3]
	v_and_b32_e32 v53, 7, v107
	v_cmp_ne_u32_e32 vcc, 0, v53
	s_and_saveexec_b64 s[8:9], vcc
	s_cbranch_execz .LBB82_175
; %bb.172:
	v_mov_b32_e32 v54, 0x50
	v_lshl_add_u32 v54, v106, 2, v54
	v_mov_b32_e32 v55, 0
	s_mov_b64 s[10:11], 0
.LBB82_173:                             ; =>This Inner Loop Header: Depth=1
	v_cmp_eq_u32_e32 vcc, 1, v106
	v_cndmask_b32_e32 v56, v34, v35, vcc
	v_add_u32_e32 v53, -1, v53
	v_cmp_eq_u32_e32 vcc, 2, v106
	v_cndmask_b32_e32 v56, v56, v36, vcc
	v_cmp_eq_u32_e32 vcc, 0, v53
	v_cmp_eq_u32_e64 s[2:3], 3, v106
	v_cndmask_b32_e64 v56, v56, v37, s[2:3]
	s_or_b64 s[10:11], vcc, s[10:11]
	v_cmp_eq_u32_e32 vcc, 4, v106
	v_cndmask_b32_e32 v56, v56, v38, vcc
	v_cmp_eq_u32_e32 vcc, 5, v106
	v_cndmask_b32_e32 v56, v56, v39, vcc
	;; [unrolled: 2-line block ×10, first 2 shown]
	v_cmp_eq_u32_e32 vcc, 14, v106
	ds_read_b32 v57, v54
	v_cndmask_b32_e32 v56, v56, v48, vcc
	v_cmp_eq_u32_e32 vcc, 15, v106
	v_cndmask_b32_e32 v56, v56, v49, vcc
	v_cmp_eq_u32_e32 vcc, 16, v106
	;; [unrolled: 2-line block ×4, first 2 shown]
	v_add_co_u32_e64 v106, s[2:3], 1, v106
	v_cndmask_b32_e32 v56, v56, v52, vcc
	v_add_u32_e32 v54, 4, v54
	v_addc_co_u32_e64 v55, s[2:3], 0, v55, s[2:3]
	s_waitcnt lgkmcnt(0)
	v_fmac_f32_e32 v105, v56, v57
	s_andn2_b64 exec, exec, s[10:11]
	s_cbranch_execnz .LBB82_173
; %bb.174:
	s_or_b64 exec, exec, s[10:11]
.LBB82_175:
	s_or_b64 exec, exec, s[8:9]
.LBB82_176:
	s_or_b64 exec, exec, s[6:7]
	v_mov_b32_e32 v40, 0
	ds_read_b32 v40, v40 offset:24
	s_waitcnt lgkmcnt(0)
	v_mul_f32_e32 v40, v105, v40
.LBB82_177:
	s_or_b64 exec, exec, s[4:5]
	v_cmp_lt_u32_e64 s[2:3], 5, v0
	ds_write_b32 v104, v39
	s_waitcnt lgkmcnt(0)
	; wave barrier
	s_and_saveexec_b64 s[4:5], s[2:3]
	s_cbranch_execz .LBB82_193
; %bb.178:
	s_andn2_b64 vcc, exec, s[42:43]
	s_cbranch_vccnz .LBB82_180
; %bb.179:
	v_cmp_eq_u32_e32 vcc, 1, v0
	v_cndmask_b32_e32 v105, v34, v35, vcc
	v_cmp_eq_u32_e32 vcc, 2, v0
	v_cndmask_b32_e32 v105, v105, v36, vcc
	;; [unrolled: 2-line block ×14, first 2 shown]
	v_cmp_eq_u32_e32 vcc, 15, v0
	ds_read_b32 v106, v104
	v_cndmask_b32_e32 v105, v105, v49, vcc
	v_cmp_eq_u32_e32 vcc, 16, v0
	v_cndmask_b32_e32 v105, v105, v50, vcc
	v_cmp_eq_u32_e32 vcc, 17, v0
	;; [unrolled: 2-line block ×3, first 2 shown]
	v_cndmask_b32_e32 v105, v105, v52, vcc
	s_waitcnt lgkmcnt(0)
	v_mul_f32_e32 v105, v105, v106
	s_cbranch_execz .LBB82_181
	s_branch .LBB82_182
.LBB82_180:
                                        ; implicit-def: $vgpr105
.LBB82_181:
	ds_read_b32 v105, v104
.LBB82_182:
	s_and_saveexec_b64 s[6:7], s[0:1]
	s_cbranch_execz .LBB82_192
; %bb.183:
	v_add_u32_e32 v108, -7, v0
	v_add_u32_e32 v107, -6, v0
	v_mov_b32_e32 v106, 6
	v_cmp_lt_u32_e32 vcc, 6, v108
	s_and_saveexec_b64 s[0:1], vcc
	s_cbranch_execz .LBB82_187
; %bb.184:
	v_and_b32_e32 v106, -8, v107
	v_sub_u32_e32 v108, 0, v106
	s_mov_b64 s[8:9], 13
	s_movk_i32 s12, 0x68
	s_mov_b64 s[10:11], 0
.LBB82_185:                             ; =>This Inner Loop Header: Depth=1
	s_add_i32 s13, s8, -7
	v_mov_b32_e32 v106, s12
	s_add_i32 s14, s8, -6
	s_set_gpr_idx_on s13, gpr_idx(SRC0)
	v_mov_b32_e32 v117, v34
	s_set_gpr_idx_off
	ds_read2_b64 v[109:112], v106 offset1:1
	s_add_i32 s15, s8, -5
	s_set_gpr_idx_on s14, gpr_idx(SRC0)
	v_mov_b32_e32 v118, v34
	s_set_gpr_idx_off
	s_add_i32 s16, s8, -4
	s_set_gpr_idx_on s15, gpr_idx(SRC0)
	v_mov_b32_e32 v119, v34
	s_set_gpr_idx_off
	;; [unrolled: 4-line block ×4, first 2 shown]
	ds_read2_b64 v[113:116], v106 offset0:2 offset1:3
	s_add_i32 s19, s8, -1
	s_waitcnt lgkmcnt(1)
	v_fmac_f32_e32 v105, v117, v109
	s_set_gpr_idx_on s18, gpr_idx(SRC0)
	v_mov_b32_e32 v109, v34
	s_set_gpr_idx_off
	v_fmac_f32_e32 v105, v118, v110
	s_set_gpr_idx_on s19, gpr_idx(SRC0)
	v_mov_b32_e32 v110, v34
	s_set_gpr_idx_off
	;; [unrolled: 4-line block ×3, first 2 shown]
	v_fmac_f32_e32 v105, v120, v112
	s_add_u32 s8, s8, 8
	s_waitcnt lgkmcnt(0)
	v_fmac_f32_e32 v105, v121, v113
	v_add_u32_e32 v106, s8, v108
	v_fmac_f32_e32 v105, v109, v114
	s_addc_u32 s9, s9, 0
	s_add_i32 s12, s12, 32
	s_add_i32 s13, s8, -7
	v_cmp_eq_u32_e32 vcc, 13, v106
	v_fmac_f32_e32 v105, v110, v115
	v_mov_b32_e32 v106, s13
	s_or_b64 s[10:11], vcc, s[10:11]
	v_fmac_f32_e32 v105, v111, v116
	s_andn2_b64 exec, exec, s[10:11]
	s_cbranch_execnz .LBB82_185
; %bb.186:
	s_or_b64 exec, exec, s[10:11]
.LBB82_187:
	s_or_b64 exec, exec, s[0:1]
	v_and_b32_e32 v53, 7, v107
	v_cmp_ne_u32_e32 vcc, 0, v53
	s_and_saveexec_b64 s[8:9], vcc
	s_cbranch_execz .LBB82_191
; %bb.188:
	v_mov_b32_e32 v54, 0x50
	v_lshl_add_u32 v54, v106, 2, v54
	v_mov_b32_e32 v55, 0
	s_mov_b64 s[10:11], 0
.LBB82_189:                             ; =>This Inner Loop Header: Depth=1
	v_cmp_eq_u32_e32 vcc, 1, v106
	v_cndmask_b32_e32 v56, v34, v35, vcc
	v_add_u32_e32 v53, -1, v53
	v_cmp_eq_u32_e32 vcc, 2, v106
	v_cndmask_b32_e32 v56, v56, v36, vcc
	v_cmp_eq_u32_e32 vcc, 0, v53
	v_cmp_eq_u32_e64 s[0:1], 3, v106
	v_cndmask_b32_e64 v56, v56, v37, s[0:1]
	s_or_b64 s[10:11], vcc, s[10:11]
	v_cmp_eq_u32_e32 vcc, 4, v106
	v_cndmask_b32_e32 v56, v56, v38, vcc
	v_cmp_eq_u32_e32 vcc, 5, v106
	v_cndmask_b32_e32 v56, v56, v39, vcc
	;; [unrolled: 2-line block ×10, first 2 shown]
	v_cmp_eq_u32_e32 vcc, 14, v106
	ds_read_b32 v57, v54
	v_cndmask_b32_e32 v56, v56, v48, vcc
	v_cmp_eq_u32_e32 vcc, 15, v106
	v_cndmask_b32_e32 v56, v56, v49, vcc
	v_cmp_eq_u32_e32 vcc, 16, v106
	;; [unrolled: 2-line block ×4, first 2 shown]
	v_add_co_u32_e64 v106, s[0:1], 1, v106
	v_cndmask_b32_e32 v56, v56, v52, vcc
	v_add_u32_e32 v54, 4, v54
	v_addc_co_u32_e64 v55, s[0:1], 0, v55, s[0:1]
	s_waitcnt lgkmcnt(0)
	v_fmac_f32_e32 v105, v56, v57
	s_andn2_b64 exec, exec, s[10:11]
	s_cbranch_execnz .LBB82_189
; %bb.190:
	s_or_b64 exec, exec, s[10:11]
.LBB82_191:
	s_or_b64 exec, exec, s[8:9]
.LBB82_192:
	s_or_b64 exec, exec, s[6:7]
	v_mov_b32_e32 v39, 0
	ds_read_b32 v39, v39 offset:20
	s_waitcnt lgkmcnt(0)
	v_mul_f32_e32 v39, v105, v39
.LBB82_193:
	s_or_b64 exec, exec, s[4:5]
	v_cmp_lt_u32_e64 s[0:1], 4, v0
	ds_write_b32 v104, v38
	s_waitcnt lgkmcnt(0)
	; wave barrier
	s_and_saveexec_b64 s[4:5], s[0:1]
	s_cbranch_execz .LBB82_209
; %bb.194:
	s_andn2_b64 vcc, exec, s[42:43]
	s_cbranch_vccnz .LBB82_196
; %bb.195:
	v_cmp_eq_u32_e32 vcc, 1, v0
	v_cndmask_b32_e32 v105, v34, v35, vcc
	v_cmp_eq_u32_e32 vcc, 2, v0
	v_cndmask_b32_e32 v105, v105, v36, vcc
	;; [unrolled: 2-line block ×14, first 2 shown]
	v_cmp_eq_u32_e32 vcc, 15, v0
	ds_read_b32 v106, v104
	v_cndmask_b32_e32 v105, v105, v49, vcc
	v_cmp_eq_u32_e32 vcc, 16, v0
	v_cndmask_b32_e32 v105, v105, v50, vcc
	v_cmp_eq_u32_e32 vcc, 17, v0
	;; [unrolled: 2-line block ×3, first 2 shown]
	v_cndmask_b32_e32 v105, v105, v52, vcc
	s_waitcnt lgkmcnt(0)
	v_mul_f32_e32 v105, v105, v106
	s_cbranch_execz .LBB82_197
	s_branch .LBB82_198
.LBB82_196:
                                        ; implicit-def: $vgpr105
.LBB82_197:
	ds_read_b32 v105, v104
.LBB82_198:
	s_and_saveexec_b64 s[6:7], s[2:3]
	s_cbranch_execz .LBB82_208
; %bb.199:
	v_add_u32_e32 v106, -6, v0
	v_add_u32_e32 v107, -5, v0
	v_cmp_lt_u32_e32 vcc, 6, v106
	v_mov_b32_e32 v106, 5
	s_and_saveexec_b64 s[2:3], vcc
	s_cbranch_execz .LBB82_203
; %bb.200:
	v_and_b32_e32 v106, -8, v107
	v_sub_u32_e32 v108, 0, v106
	s_mov_b64 s[8:9], 12
	s_movk_i32 s12, 0x64
	s_mov_b64 s[10:11], 0
.LBB82_201:                             ; =>This Inner Loop Header: Depth=1
	s_add_i32 s13, s8, -7
	v_mov_b32_e32 v106, s12
	s_add_i32 s14, s8, -6
	s_set_gpr_idx_on s13, gpr_idx(SRC0)
	v_mov_b32_e32 v115, v34
	s_set_gpr_idx_off
	ds_read2_b32 v[109:110], v106 offset1:1
	s_add_i32 s15, s8, -5
	s_set_gpr_idx_on s14, gpr_idx(SRC0)
	v_mov_b32_e32 v116, v34
	s_set_gpr_idx_off
	s_add_i32 s16, s8, -4
	s_set_gpr_idx_on s15, gpr_idx(SRC0)
	v_mov_b32_e32 v117, v34
	s_set_gpr_idx_off
	ds_read2_b32 v[111:112], v106 offset0:2 offset1:3
	s_add_i32 s17, s8, -3
	s_set_gpr_idx_on s16, gpr_idx(SRC0)
	v_mov_b32_e32 v118, v34
	s_set_gpr_idx_off
	s_add_i32 s18, s8, -2
	s_set_gpr_idx_on s17, gpr_idx(SRC0)
	v_mov_b32_e32 v119, v34
	s_set_gpr_idx_off
	ds_read2_b32 v[113:114], v106 offset0:4 offset1:5
	s_add_i32 s19, s8, -1
	s_waitcnt lgkmcnt(2)
	v_fmac_f32_e32 v105, v115, v109
	s_set_gpr_idx_on s18, gpr_idx(SRC0)
	v_mov_b32_e32 v115, v34
	s_set_gpr_idx_off
	v_fmac_f32_e32 v105, v116, v110
	s_set_gpr_idx_on s19, gpr_idx(SRC0)
	v_mov_b32_e32 v116, v34
	s_set_gpr_idx_off
	ds_read2_b32 v[109:110], v106 offset0:6 offset1:7
	s_waitcnt lgkmcnt(2)
	v_fmac_f32_e32 v105, v117, v111
	s_set_gpr_idx_on s8, gpr_idx(SRC0)
	v_mov_b32_e32 v111, v34
	s_set_gpr_idx_off
	v_fmac_f32_e32 v105, v118, v112
	s_add_u32 s8, s8, 8
	s_waitcnt lgkmcnt(1)
	v_fmac_f32_e32 v105, v119, v113
	v_add_u32_e32 v106, s8, v108
	v_fmac_f32_e32 v105, v115, v114
	s_addc_u32 s9, s9, 0
	s_add_i32 s12, s12, 32
	s_add_i32 s13, s8, -7
	v_cmp_eq_u32_e32 vcc, 12, v106
	s_waitcnt lgkmcnt(0)
	v_fmac_f32_e32 v105, v116, v109
	v_mov_b32_e32 v106, s13
	s_or_b64 s[10:11], vcc, s[10:11]
	v_fmac_f32_e32 v105, v111, v110
	s_andn2_b64 exec, exec, s[10:11]
	s_cbranch_execnz .LBB82_201
; %bb.202:
	s_or_b64 exec, exec, s[10:11]
.LBB82_203:
	s_or_b64 exec, exec, s[2:3]
	v_and_b32_e32 v53, 7, v107
	v_cmp_ne_u32_e32 vcc, 0, v53
	s_and_saveexec_b64 s[8:9], vcc
	s_cbranch_execz .LBB82_207
; %bb.204:
	v_mov_b32_e32 v54, 0x50
	v_lshl_add_u32 v54, v106, 2, v54
	v_mov_b32_e32 v55, 0
	s_mov_b64 s[10:11], 0
.LBB82_205:                             ; =>This Inner Loop Header: Depth=1
	v_cmp_eq_u32_e32 vcc, 1, v106
	v_cndmask_b32_e32 v56, v34, v35, vcc
	v_add_u32_e32 v53, -1, v53
	v_cmp_eq_u32_e32 vcc, 2, v106
	v_cndmask_b32_e32 v56, v56, v36, vcc
	v_cmp_eq_u32_e32 vcc, 0, v53
	v_cmp_eq_u32_e64 s[2:3], 3, v106
	v_cndmask_b32_e64 v56, v56, v37, s[2:3]
	s_or_b64 s[10:11], vcc, s[10:11]
	v_cmp_eq_u32_e32 vcc, 4, v106
	v_cndmask_b32_e32 v56, v56, v38, vcc
	v_cmp_eq_u32_e32 vcc, 5, v106
	v_cndmask_b32_e32 v56, v56, v39, vcc
	;; [unrolled: 2-line block ×10, first 2 shown]
	v_cmp_eq_u32_e32 vcc, 14, v106
	ds_read_b32 v57, v54
	v_cndmask_b32_e32 v56, v56, v48, vcc
	v_cmp_eq_u32_e32 vcc, 15, v106
	v_cndmask_b32_e32 v56, v56, v49, vcc
	v_cmp_eq_u32_e32 vcc, 16, v106
	;; [unrolled: 2-line block ×4, first 2 shown]
	v_add_co_u32_e64 v106, s[2:3], 1, v106
	v_cndmask_b32_e32 v56, v56, v52, vcc
	v_add_u32_e32 v54, 4, v54
	v_addc_co_u32_e64 v55, s[2:3], 0, v55, s[2:3]
	s_waitcnt lgkmcnt(0)
	v_fmac_f32_e32 v105, v56, v57
	s_andn2_b64 exec, exec, s[10:11]
	s_cbranch_execnz .LBB82_205
; %bb.206:
	s_or_b64 exec, exec, s[10:11]
.LBB82_207:
	s_or_b64 exec, exec, s[8:9]
.LBB82_208:
	s_or_b64 exec, exec, s[6:7]
	v_mov_b32_e32 v38, 0
	ds_read_b32 v38, v38 offset:16
	s_waitcnt lgkmcnt(0)
	v_mul_f32_e32 v38, v105, v38
.LBB82_209:
	s_or_b64 exec, exec, s[4:5]
	v_cmp_lt_u32_e64 s[2:3], 3, v0
	ds_write_b32 v104, v37
	s_waitcnt lgkmcnt(0)
	; wave barrier
	s_and_saveexec_b64 s[4:5], s[2:3]
	s_cbranch_execz .LBB82_225
; %bb.210:
	s_andn2_b64 vcc, exec, s[42:43]
	s_cbranch_vccnz .LBB82_212
; %bb.211:
	v_cmp_eq_u32_e32 vcc, 1, v0
	v_cndmask_b32_e32 v105, v34, v35, vcc
	v_cmp_eq_u32_e32 vcc, 2, v0
	v_cndmask_b32_e32 v105, v105, v36, vcc
	;; [unrolled: 2-line block ×14, first 2 shown]
	v_cmp_eq_u32_e32 vcc, 15, v0
	ds_read_b32 v106, v104
	v_cndmask_b32_e32 v105, v105, v49, vcc
	v_cmp_eq_u32_e32 vcc, 16, v0
	v_cndmask_b32_e32 v105, v105, v50, vcc
	v_cmp_eq_u32_e32 vcc, 17, v0
	v_cndmask_b32_e32 v105, v105, v51, vcc
	v_cmp_eq_u32_e32 vcc, 18, v0
	v_cndmask_b32_e32 v105, v105, v52, vcc
	s_waitcnt lgkmcnt(0)
	v_mul_f32_e32 v105, v105, v106
	s_cbranch_execz .LBB82_213
	s_branch .LBB82_214
.LBB82_212:
                                        ; implicit-def: $vgpr105
.LBB82_213:
	ds_read_b32 v105, v104
.LBB82_214:
	s_and_saveexec_b64 s[6:7], s[0:1]
	s_cbranch_execz .LBB82_224
; %bb.215:
	v_add_u32_e32 v106, -5, v0
	v_add_u32_e32 v107, -4, v0
	v_cmp_lt_u32_e32 vcc, 6, v106
	v_mov_b32_e32 v106, 4
	s_and_saveexec_b64 s[0:1], vcc
	s_cbranch_execz .LBB82_219
; %bb.216:
	v_and_b32_e32 v106, -8, v107
	v_sub_u32_e32 v108, 0, v106
	s_mov_b64 s[8:9], 5
	s_movk_i32 s12, 0x60
	s_mov_b64 s[10:11], 0
.LBB82_217:                             ; =>This Inner Loop Header: Depth=1
	s_add_i32 s13, s8, -1
	v_mov_b32_e32 v106, s12
	s_set_gpr_idx_on s13, gpr_idx(SRC0)
	v_mov_b32_e32 v117, v34
	s_set_gpr_idx_off
	s_add_i32 s14, s8, 1
	ds_read_b128 v[109:112], v106
	ds_read_b128 v[113:116], v106 offset:16
	s_set_gpr_idx_on s8, gpr_idx(SRC0)
	v_mov_b32_e32 v118, v34
	s_set_gpr_idx_off
	s_add_i32 s15, s8, 2
	s_set_gpr_idx_on s14, gpr_idx(SRC0)
	v_mov_b32_e32 v119, v34
	s_set_gpr_idx_off
	s_add_i32 s16, s8, 3
	;; [unrolled: 4-line block ×4, first 2 shown]
	s_waitcnt lgkmcnt(1)
	v_fmac_f32_e32 v105, v117, v109
	s_set_gpr_idx_on s17, gpr_idx(SRC0)
	v_mov_b32_e32 v109, v34
	s_set_gpr_idx_off
	s_add_i32 s19, s8, 6
	v_fmac_f32_e32 v105, v118, v110
	s_set_gpr_idx_on s18, gpr_idx(SRC0)
	v_mov_b32_e32 v110, v34
	s_set_gpr_idx_off
	v_fmac_f32_e32 v105, v119, v111
	s_set_gpr_idx_on s19, gpr_idx(SRC0)
	v_mov_b32_e32 v111, v34
	s_set_gpr_idx_off
	v_fmac_f32_e32 v105, v120, v112
	s_add_u32 s8, s8, 8
	s_waitcnt lgkmcnt(0)
	v_fmac_f32_e32 v105, v121, v113
	v_add_u32_e32 v106, s8, v108
	v_fmac_f32_e32 v105, v109, v114
	s_addc_u32 s9, s9, 0
	s_add_i32 s12, s12, 32
	s_add_i32 s13, s8, -1
	v_cmp_eq_u32_e32 vcc, 5, v106
	v_fmac_f32_e32 v105, v110, v115
	v_mov_b32_e32 v106, s13
	s_or_b64 s[10:11], vcc, s[10:11]
	v_fmac_f32_e32 v105, v111, v116
	s_andn2_b64 exec, exec, s[10:11]
	s_cbranch_execnz .LBB82_217
; %bb.218:
	s_or_b64 exec, exec, s[10:11]
.LBB82_219:
	s_or_b64 exec, exec, s[0:1]
	v_and_b32_e32 v53, 7, v107
	v_cmp_ne_u32_e32 vcc, 0, v53
	s_and_saveexec_b64 s[8:9], vcc
	s_cbranch_execz .LBB82_223
; %bb.220:
	v_mov_b32_e32 v54, 0x50
	v_lshl_add_u32 v54, v106, 2, v54
	v_mov_b32_e32 v55, 0
	s_mov_b64 s[10:11], 0
.LBB82_221:                             ; =>This Inner Loop Header: Depth=1
	v_cmp_eq_u32_e32 vcc, 1, v106
	v_cndmask_b32_e32 v56, v34, v35, vcc
	v_add_u32_e32 v53, -1, v53
	v_cmp_eq_u32_e32 vcc, 2, v106
	v_cndmask_b32_e32 v56, v56, v36, vcc
	v_cmp_eq_u32_e32 vcc, 0, v53
	v_cmp_eq_u32_e64 s[0:1], 3, v106
	v_cndmask_b32_e64 v56, v56, v37, s[0:1]
	s_or_b64 s[10:11], vcc, s[10:11]
	v_cmp_eq_u32_e32 vcc, 4, v106
	v_cndmask_b32_e32 v56, v56, v38, vcc
	v_cmp_eq_u32_e32 vcc, 5, v106
	v_cndmask_b32_e32 v56, v56, v39, vcc
	;; [unrolled: 2-line block ×10, first 2 shown]
	v_cmp_eq_u32_e32 vcc, 14, v106
	ds_read_b32 v57, v54
	v_cndmask_b32_e32 v56, v56, v48, vcc
	v_cmp_eq_u32_e32 vcc, 15, v106
	v_cndmask_b32_e32 v56, v56, v49, vcc
	v_cmp_eq_u32_e32 vcc, 16, v106
	;; [unrolled: 2-line block ×4, first 2 shown]
	v_add_co_u32_e64 v106, s[0:1], 1, v106
	v_cndmask_b32_e32 v56, v56, v52, vcc
	v_add_u32_e32 v54, 4, v54
	v_addc_co_u32_e64 v55, s[0:1], 0, v55, s[0:1]
	s_waitcnt lgkmcnt(0)
	v_fmac_f32_e32 v105, v56, v57
	s_andn2_b64 exec, exec, s[10:11]
	s_cbranch_execnz .LBB82_221
; %bb.222:
	s_or_b64 exec, exec, s[10:11]
.LBB82_223:
	s_or_b64 exec, exec, s[8:9]
.LBB82_224:
	s_or_b64 exec, exec, s[6:7]
	v_mov_b32_e32 v37, 0
	ds_read_b32 v37, v37 offset:12
	s_waitcnt lgkmcnt(0)
	v_mul_f32_e32 v37, v105, v37
.LBB82_225:
	s_or_b64 exec, exec, s[4:5]
	v_cmp_lt_u32_e64 s[0:1], 2, v0
	ds_write_b32 v104, v36
	s_waitcnt lgkmcnt(0)
	; wave barrier
	s_and_saveexec_b64 s[4:5], s[0:1]
	s_cbranch_execz .LBB82_241
; %bb.226:
	s_andn2_b64 vcc, exec, s[42:43]
	s_cbranch_vccnz .LBB82_228
; %bb.227:
	v_cmp_eq_u32_e32 vcc, 1, v0
	v_cndmask_b32_e32 v105, v34, v35, vcc
	v_cmp_eq_u32_e32 vcc, 2, v0
	v_cndmask_b32_e32 v105, v105, v36, vcc
	v_cmp_eq_u32_e32 vcc, 3, v0
	v_cndmask_b32_e32 v105, v105, v37, vcc
	v_cmp_eq_u32_e32 vcc, 4, v0
	v_cndmask_b32_e32 v105, v105, v38, vcc
	v_cmp_eq_u32_e32 vcc, 5, v0
	v_cndmask_b32_e32 v105, v105, v39, vcc
	v_cmp_eq_u32_e32 vcc, 6, v0
	v_cndmask_b32_e32 v105, v105, v40, vcc
	v_cmp_eq_u32_e32 vcc, 7, v0
	v_cndmask_b32_e32 v105, v105, v41, vcc
	v_cmp_eq_u32_e32 vcc, 8, v0
	v_cndmask_b32_e32 v105, v105, v42, vcc
	v_cmp_eq_u32_e32 vcc, 9, v0
	v_cndmask_b32_e32 v105, v105, v43, vcc
	v_cmp_eq_u32_e32 vcc, 10, v0
	v_cndmask_b32_e32 v105, v105, v44, vcc
	v_cmp_eq_u32_e32 vcc, 11, v0
	v_cndmask_b32_e32 v105, v105, v45, vcc
	v_cmp_eq_u32_e32 vcc, 12, v0
	v_cndmask_b32_e32 v105, v105, v46, vcc
	v_cmp_eq_u32_e32 vcc, 13, v0
	v_cndmask_b32_e32 v105, v105, v47, vcc
	v_cmp_eq_u32_e32 vcc, 14, v0
	v_cndmask_b32_e32 v105, v105, v48, vcc
	v_cmp_eq_u32_e32 vcc, 15, v0
	ds_read_b32 v106, v104
	v_cndmask_b32_e32 v105, v105, v49, vcc
	v_cmp_eq_u32_e32 vcc, 16, v0
	v_cndmask_b32_e32 v105, v105, v50, vcc
	v_cmp_eq_u32_e32 vcc, 17, v0
	;; [unrolled: 2-line block ×3, first 2 shown]
	v_cndmask_b32_e32 v105, v105, v52, vcc
	s_waitcnt lgkmcnt(0)
	v_mul_f32_e32 v105, v105, v106
	s_cbranch_execz .LBB82_229
	s_branch .LBB82_230
.LBB82_228:
                                        ; implicit-def: $vgpr105
.LBB82_229:
	ds_read_b32 v105, v104
.LBB82_230:
	s_and_saveexec_b64 s[6:7], s[2:3]
	s_cbranch_execz .LBB82_240
; %bb.231:
	v_add_u32_e32 v106, -4, v0
	v_add_u32_e32 v107, -3, v0
	v_cmp_lt_u32_e32 vcc, 6, v106
	v_mov_b32_e32 v106, 3
	s_and_saveexec_b64 s[2:3], vcc
	s_cbranch_execz .LBB82_235
; %bb.232:
	v_and_b32_e32 v106, -8, v107
	v_sub_u32_e32 v108, 0, v106
	s_mov_b64 s[8:9], 10
	s_movk_i32 s12, 0x5c
	s_mov_b64 s[10:11], 0
.LBB82_233:                             ; =>This Inner Loop Header: Depth=1
	s_add_i32 s13, s8, -7
	v_mov_b32_e32 v106, s12
	s_add_i32 s14, s8, -6
	s_set_gpr_idx_on s13, gpr_idx(SRC0)
	v_mov_b32_e32 v115, v34
	s_set_gpr_idx_off
	ds_read2_b32 v[109:110], v106 offset1:1
	s_add_i32 s15, s8, -5
	s_set_gpr_idx_on s14, gpr_idx(SRC0)
	v_mov_b32_e32 v116, v34
	s_set_gpr_idx_off
	s_add_i32 s16, s8, -4
	s_set_gpr_idx_on s15, gpr_idx(SRC0)
	v_mov_b32_e32 v117, v34
	s_set_gpr_idx_off
	ds_read2_b32 v[111:112], v106 offset0:2 offset1:3
	s_add_i32 s17, s8, -3
	s_set_gpr_idx_on s16, gpr_idx(SRC0)
	v_mov_b32_e32 v118, v34
	s_set_gpr_idx_off
	s_add_i32 s18, s8, -2
	s_set_gpr_idx_on s17, gpr_idx(SRC0)
	v_mov_b32_e32 v119, v34
	s_set_gpr_idx_off
	ds_read2_b32 v[113:114], v106 offset0:4 offset1:5
	s_add_i32 s19, s8, -1
	s_waitcnt lgkmcnt(2)
	v_fmac_f32_e32 v105, v115, v109
	s_set_gpr_idx_on s18, gpr_idx(SRC0)
	v_mov_b32_e32 v115, v34
	s_set_gpr_idx_off
	v_fmac_f32_e32 v105, v116, v110
	s_set_gpr_idx_on s19, gpr_idx(SRC0)
	v_mov_b32_e32 v116, v34
	s_set_gpr_idx_off
	ds_read2_b32 v[109:110], v106 offset0:6 offset1:7
	s_waitcnt lgkmcnt(2)
	v_fmac_f32_e32 v105, v117, v111
	s_set_gpr_idx_on s8, gpr_idx(SRC0)
	v_mov_b32_e32 v111, v34
	s_set_gpr_idx_off
	v_fmac_f32_e32 v105, v118, v112
	s_add_u32 s8, s8, 8
	s_waitcnt lgkmcnt(1)
	v_fmac_f32_e32 v105, v119, v113
	v_add_u32_e32 v106, s8, v108
	v_fmac_f32_e32 v105, v115, v114
	s_addc_u32 s9, s9, 0
	s_add_i32 s12, s12, 32
	s_add_i32 s13, s8, -7
	v_cmp_eq_u32_e32 vcc, 10, v106
	s_waitcnt lgkmcnt(0)
	v_fmac_f32_e32 v105, v116, v109
	v_mov_b32_e32 v106, s13
	s_or_b64 s[10:11], vcc, s[10:11]
	v_fmac_f32_e32 v105, v111, v110
	s_andn2_b64 exec, exec, s[10:11]
	s_cbranch_execnz .LBB82_233
; %bb.234:
	s_or_b64 exec, exec, s[10:11]
.LBB82_235:
	s_or_b64 exec, exec, s[2:3]
	v_and_b32_e32 v53, 7, v107
	v_cmp_ne_u32_e32 vcc, 0, v53
	s_and_saveexec_b64 s[8:9], vcc
	s_cbranch_execz .LBB82_239
; %bb.236:
	v_mov_b32_e32 v54, 0x50
	v_lshl_add_u32 v54, v106, 2, v54
	v_mov_b32_e32 v55, 0
	s_mov_b64 s[10:11], 0
.LBB82_237:                             ; =>This Inner Loop Header: Depth=1
	v_cmp_eq_u32_e32 vcc, 1, v106
	v_cndmask_b32_e32 v56, v34, v35, vcc
	v_add_u32_e32 v53, -1, v53
	v_cmp_eq_u32_e32 vcc, 2, v106
	v_cndmask_b32_e32 v56, v56, v36, vcc
	v_cmp_eq_u32_e32 vcc, 0, v53
	v_cmp_eq_u32_e64 s[2:3], 3, v106
	v_cndmask_b32_e64 v56, v56, v37, s[2:3]
	s_or_b64 s[10:11], vcc, s[10:11]
	v_cmp_eq_u32_e32 vcc, 4, v106
	v_cndmask_b32_e32 v56, v56, v38, vcc
	v_cmp_eq_u32_e32 vcc, 5, v106
	v_cndmask_b32_e32 v56, v56, v39, vcc
	;; [unrolled: 2-line block ×10, first 2 shown]
	v_cmp_eq_u32_e32 vcc, 14, v106
	ds_read_b32 v57, v54
	v_cndmask_b32_e32 v56, v56, v48, vcc
	v_cmp_eq_u32_e32 vcc, 15, v106
	v_cndmask_b32_e32 v56, v56, v49, vcc
	v_cmp_eq_u32_e32 vcc, 16, v106
	;; [unrolled: 2-line block ×4, first 2 shown]
	v_add_co_u32_e64 v106, s[2:3], 1, v106
	v_cndmask_b32_e32 v56, v56, v52, vcc
	v_add_u32_e32 v54, 4, v54
	v_addc_co_u32_e64 v55, s[2:3], 0, v55, s[2:3]
	s_waitcnt lgkmcnt(0)
	v_fmac_f32_e32 v105, v56, v57
	s_andn2_b64 exec, exec, s[10:11]
	s_cbranch_execnz .LBB82_237
; %bb.238:
	s_or_b64 exec, exec, s[10:11]
.LBB82_239:
	s_or_b64 exec, exec, s[8:9]
.LBB82_240:
	s_or_b64 exec, exec, s[6:7]
	v_mov_b32_e32 v36, 0
	ds_read_b32 v36, v36 offset:8
	s_waitcnt lgkmcnt(0)
	v_mul_f32_e32 v36, v105, v36
.LBB82_241:
	s_or_b64 exec, exec, s[4:5]
	v_cmp_lt_u32_e64 s[2:3], 1, v0
	ds_write_b32 v104, v35
	s_waitcnt lgkmcnt(0)
	; wave barrier
	s_and_saveexec_b64 s[4:5], s[2:3]
	s_cbranch_execz .LBB82_257
; %bb.242:
	s_andn2_b64 vcc, exec, s[42:43]
	s_cbranch_vccnz .LBB82_244
; %bb.243:
	v_cmp_eq_u32_e32 vcc, 1, v0
	v_cndmask_b32_e32 v105, v34, v35, vcc
	v_cmp_eq_u32_e32 vcc, 2, v0
	v_cndmask_b32_e32 v105, v105, v36, vcc
	v_cmp_eq_u32_e32 vcc, 3, v0
	v_cndmask_b32_e32 v105, v105, v37, vcc
	v_cmp_eq_u32_e32 vcc, 4, v0
	v_cndmask_b32_e32 v105, v105, v38, vcc
	v_cmp_eq_u32_e32 vcc, 5, v0
	v_cndmask_b32_e32 v105, v105, v39, vcc
	v_cmp_eq_u32_e32 vcc, 6, v0
	v_cndmask_b32_e32 v105, v105, v40, vcc
	v_cmp_eq_u32_e32 vcc, 7, v0
	v_cndmask_b32_e32 v105, v105, v41, vcc
	v_cmp_eq_u32_e32 vcc, 8, v0
	v_cndmask_b32_e32 v105, v105, v42, vcc
	v_cmp_eq_u32_e32 vcc, 9, v0
	v_cndmask_b32_e32 v105, v105, v43, vcc
	v_cmp_eq_u32_e32 vcc, 10, v0
	v_cndmask_b32_e32 v105, v105, v44, vcc
	v_cmp_eq_u32_e32 vcc, 11, v0
	v_cndmask_b32_e32 v105, v105, v45, vcc
	v_cmp_eq_u32_e32 vcc, 12, v0
	v_cndmask_b32_e32 v105, v105, v46, vcc
	v_cmp_eq_u32_e32 vcc, 13, v0
	v_cndmask_b32_e32 v105, v105, v47, vcc
	v_cmp_eq_u32_e32 vcc, 14, v0
	v_cndmask_b32_e32 v105, v105, v48, vcc
	v_cmp_eq_u32_e32 vcc, 15, v0
	ds_read_b32 v106, v104
	v_cndmask_b32_e32 v105, v105, v49, vcc
	v_cmp_eq_u32_e32 vcc, 16, v0
	v_cndmask_b32_e32 v105, v105, v50, vcc
	v_cmp_eq_u32_e32 vcc, 17, v0
	v_cndmask_b32_e32 v105, v105, v51, vcc
	v_cmp_eq_u32_e32 vcc, 18, v0
	v_cndmask_b32_e32 v105, v105, v52, vcc
	s_waitcnt lgkmcnt(0)
	v_mul_f32_e32 v105, v105, v106
	s_cbranch_execz .LBB82_245
	s_branch .LBB82_246
.LBB82_244:
                                        ; implicit-def: $vgpr105
.LBB82_245:
	ds_read_b32 v105, v104
.LBB82_246:
	s_and_saveexec_b64 s[6:7], s[0:1]
	s_cbranch_execz .LBB82_256
; %bb.247:
	v_add_u32_e32 v106, -3, v0
	v_add_u32_e32 v107, -2, v0
	v_cmp_lt_u32_e32 vcc, 6, v106
	v_mov_b32_e32 v106, 2
	s_and_saveexec_b64 s[0:1], vcc
	s_cbranch_execz .LBB82_251
; %bb.248:
	v_and_b32_e32 v106, -8, v107
	v_sub_u32_e32 v108, 0, v106
	s_mov_b64 s[8:9], 9
	s_movk_i32 s12, 0x58
	s_mov_b64 s[10:11], 0
.LBB82_249:                             ; =>This Inner Loop Header: Depth=1
	s_add_i32 s13, s8, -7
	v_mov_b32_e32 v106, s12
	s_add_i32 s14, s8, -6
	s_set_gpr_idx_on s13, gpr_idx(SRC0)
	v_mov_b32_e32 v117, v34
	s_set_gpr_idx_off
	ds_read2_b64 v[109:112], v106 offset1:1
	s_add_i32 s15, s8, -5
	s_set_gpr_idx_on s14, gpr_idx(SRC0)
	v_mov_b32_e32 v118, v34
	s_set_gpr_idx_off
	s_add_i32 s16, s8, -4
	s_set_gpr_idx_on s15, gpr_idx(SRC0)
	v_mov_b32_e32 v119, v34
	s_set_gpr_idx_off
	;; [unrolled: 4-line block ×4, first 2 shown]
	ds_read2_b64 v[113:116], v106 offset0:2 offset1:3
	s_add_i32 s19, s8, -1
	s_waitcnt lgkmcnt(1)
	v_fmac_f32_e32 v105, v117, v109
	s_set_gpr_idx_on s18, gpr_idx(SRC0)
	v_mov_b32_e32 v109, v34
	s_set_gpr_idx_off
	v_fmac_f32_e32 v105, v118, v110
	s_set_gpr_idx_on s19, gpr_idx(SRC0)
	v_mov_b32_e32 v110, v34
	s_set_gpr_idx_off
	;; [unrolled: 4-line block ×3, first 2 shown]
	v_fmac_f32_e32 v105, v120, v112
	s_add_u32 s8, s8, 8
	s_waitcnt lgkmcnt(0)
	v_fmac_f32_e32 v105, v121, v113
	v_add_u32_e32 v106, s8, v108
	v_fmac_f32_e32 v105, v109, v114
	s_addc_u32 s9, s9, 0
	s_add_i32 s12, s12, 32
	s_add_i32 s13, s8, -7
	v_cmp_eq_u32_e32 vcc, 9, v106
	v_fmac_f32_e32 v105, v110, v115
	v_mov_b32_e32 v106, s13
	s_or_b64 s[10:11], vcc, s[10:11]
	v_fmac_f32_e32 v105, v111, v116
	s_andn2_b64 exec, exec, s[10:11]
	s_cbranch_execnz .LBB82_249
; %bb.250:
	s_or_b64 exec, exec, s[10:11]
.LBB82_251:
	s_or_b64 exec, exec, s[0:1]
	v_and_b32_e32 v53, 7, v107
	v_cmp_ne_u32_e32 vcc, 0, v53
	s_and_saveexec_b64 s[8:9], vcc
	s_cbranch_execz .LBB82_255
; %bb.252:
	v_mov_b32_e32 v54, 0x50
	v_lshl_add_u32 v54, v106, 2, v54
	v_mov_b32_e32 v55, 0
	s_mov_b64 s[10:11], 0
.LBB82_253:                             ; =>This Inner Loop Header: Depth=1
	v_cmp_eq_u32_e32 vcc, 1, v106
	v_cndmask_b32_e32 v56, v34, v35, vcc
	v_add_u32_e32 v53, -1, v53
	v_cmp_eq_u32_e32 vcc, 2, v106
	v_cndmask_b32_e32 v56, v56, v36, vcc
	v_cmp_eq_u32_e32 vcc, 0, v53
	v_cmp_eq_u32_e64 s[0:1], 3, v106
	v_cndmask_b32_e64 v56, v56, v37, s[0:1]
	s_or_b64 s[10:11], vcc, s[10:11]
	v_cmp_eq_u32_e32 vcc, 4, v106
	v_cndmask_b32_e32 v56, v56, v38, vcc
	v_cmp_eq_u32_e32 vcc, 5, v106
	v_cndmask_b32_e32 v56, v56, v39, vcc
	;; [unrolled: 2-line block ×10, first 2 shown]
	v_cmp_eq_u32_e32 vcc, 14, v106
	ds_read_b32 v57, v54
	v_cndmask_b32_e32 v56, v56, v48, vcc
	v_cmp_eq_u32_e32 vcc, 15, v106
	v_cndmask_b32_e32 v56, v56, v49, vcc
	v_cmp_eq_u32_e32 vcc, 16, v106
	;; [unrolled: 2-line block ×4, first 2 shown]
	v_add_co_u32_e64 v106, s[0:1], 1, v106
	v_cndmask_b32_e32 v56, v56, v52, vcc
	v_add_u32_e32 v54, 4, v54
	v_addc_co_u32_e64 v55, s[0:1], 0, v55, s[0:1]
	s_waitcnt lgkmcnt(0)
	v_fmac_f32_e32 v105, v56, v57
	s_andn2_b64 exec, exec, s[10:11]
	s_cbranch_execnz .LBB82_253
; %bb.254:
	s_or_b64 exec, exec, s[10:11]
.LBB82_255:
	s_or_b64 exec, exec, s[8:9]
.LBB82_256:
	s_or_b64 exec, exec, s[6:7]
	v_mov_b32_e32 v35, 0
	ds_read_b32 v35, v35 offset:4
	s_waitcnt lgkmcnt(0)
	v_mul_f32_e32 v35, v105, v35
.LBB82_257:
	s_or_b64 exec, exec, s[4:5]
	v_cmp_ne_u32_e32 vcc, 0, v0
	ds_write_b32 v104, v34
	s_waitcnt lgkmcnt(0)
	; wave barrier
	s_and_saveexec_b64 s[4:5], vcc
	s_cbranch_execz .LBB82_273
; %bb.258:
	s_andn2_b64 vcc, exec, s[42:43]
	s_cbranch_vccnz .LBB82_260
; %bb.259:
	v_cmp_eq_u32_e32 vcc, 1, v0
	v_cndmask_b32_e32 v105, v34, v35, vcc
	v_cmp_eq_u32_e32 vcc, 2, v0
	v_cndmask_b32_e32 v105, v105, v36, vcc
	;; [unrolled: 2-line block ×14, first 2 shown]
	v_cmp_eq_u32_e32 vcc, 15, v0
	ds_read_b32 v106, v104
	v_cndmask_b32_e32 v105, v105, v49, vcc
	v_cmp_eq_u32_e32 vcc, 16, v0
	v_cndmask_b32_e32 v105, v105, v50, vcc
	v_cmp_eq_u32_e32 vcc, 17, v0
	;; [unrolled: 2-line block ×3, first 2 shown]
	v_cndmask_b32_e32 v105, v105, v52, vcc
	s_waitcnt lgkmcnt(0)
	v_mul_f32_e32 v105, v105, v106
	s_cbranch_execz .LBB82_261
	s_branch .LBB82_262
.LBB82_260:
                                        ; implicit-def: $vgpr105
.LBB82_261:
	ds_read_b32 v105, v104
.LBB82_262:
	s_and_saveexec_b64 s[6:7], s[2:3]
	s_cbranch_execz .LBB82_272
; %bb.263:
	v_add_u32_e32 v106, -2, v0
	v_add_u32_e32 v107, -1, v0
	v_cmp_lt_u32_e32 vcc, 6, v106
	v_mov_b32_e32 v106, 1
	s_and_saveexec_b64 s[0:1], vcc
	s_cbranch_execz .LBB82_267
; %bb.264:
	v_and_b32_e32 v106, -8, v107
	v_sub_u32_e32 v108, 0, v106
	s_mov_b64 s[2:3], 8
	s_movk_i32 s10, 0x54
	s_mov_b64 s[8:9], 0
.LBB82_265:                             ; =>This Inner Loop Header: Depth=1
	s_add_i32 s11, s2, -7
	v_mov_b32_e32 v106, s10
	s_add_i32 s12, s2, -6
	s_set_gpr_idx_on s11, gpr_idx(SRC0)
	v_mov_b32_e32 v115, v34
	s_set_gpr_idx_off
	ds_read2_b32 v[109:110], v106 offset1:1
	s_add_i32 s13, s2, -5
	s_set_gpr_idx_on s12, gpr_idx(SRC0)
	v_mov_b32_e32 v116, v34
	s_set_gpr_idx_off
	s_add_i32 s14, s2, -4
	s_set_gpr_idx_on s13, gpr_idx(SRC0)
	v_mov_b32_e32 v117, v34
	s_set_gpr_idx_off
	ds_read2_b32 v[111:112], v106 offset0:2 offset1:3
	s_add_i32 s15, s2, -3
	s_set_gpr_idx_on s14, gpr_idx(SRC0)
	v_mov_b32_e32 v118, v34
	s_set_gpr_idx_off
	s_add_i32 s16, s2, -2
	s_set_gpr_idx_on s15, gpr_idx(SRC0)
	v_mov_b32_e32 v119, v34
	s_set_gpr_idx_off
	ds_read2_b32 v[113:114], v106 offset0:4 offset1:5
	s_add_i32 s17, s2, -1
	s_waitcnt lgkmcnt(2)
	v_fmac_f32_e32 v105, v115, v109
	s_set_gpr_idx_on s16, gpr_idx(SRC0)
	v_mov_b32_e32 v115, v34
	s_set_gpr_idx_off
	v_fmac_f32_e32 v105, v116, v110
	s_set_gpr_idx_on s17, gpr_idx(SRC0)
	v_mov_b32_e32 v116, v34
	s_set_gpr_idx_off
	ds_read2_b32 v[109:110], v106 offset0:6 offset1:7
	s_waitcnt lgkmcnt(2)
	v_fmac_f32_e32 v105, v117, v111
	s_set_gpr_idx_on s2, gpr_idx(SRC0)
	v_mov_b32_e32 v111, v34
	s_set_gpr_idx_off
	v_fmac_f32_e32 v105, v118, v112
	s_add_u32 s2, s2, 8
	s_waitcnt lgkmcnt(1)
	v_fmac_f32_e32 v105, v119, v113
	v_add_u32_e32 v106, s2, v108
	v_fmac_f32_e32 v105, v115, v114
	s_addc_u32 s3, s3, 0
	s_add_i32 s10, s10, 32
	s_add_i32 s11, s2, -7
	v_cmp_eq_u32_e32 vcc, 8, v106
	s_waitcnt lgkmcnt(0)
	v_fmac_f32_e32 v105, v116, v109
	v_mov_b32_e32 v106, s11
	s_or_b64 s[8:9], vcc, s[8:9]
	v_fmac_f32_e32 v105, v111, v110
	s_andn2_b64 exec, exec, s[8:9]
	s_cbranch_execnz .LBB82_265
; %bb.266:
	s_or_b64 exec, exec, s[8:9]
.LBB82_267:
	s_or_b64 exec, exec, s[0:1]
	v_and_b32_e32 v53, 7, v107
	v_cmp_ne_u32_e32 vcc, 0, v53
	s_and_saveexec_b64 s[2:3], vcc
	s_cbranch_execz .LBB82_271
; %bb.268:
	v_mov_b32_e32 v54, 0x50
	v_lshl_add_u32 v54, v106, 2, v54
	v_mov_b32_e32 v55, 0
	s_mov_b64 s[8:9], 0
.LBB82_269:                             ; =>This Inner Loop Header: Depth=1
	v_cmp_eq_u32_e32 vcc, 1, v106
	v_cndmask_b32_e32 v56, v34, v35, vcc
	v_add_u32_e32 v53, -1, v53
	v_cmp_eq_u32_e32 vcc, 2, v106
	v_cndmask_b32_e32 v56, v56, v36, vcc
	v_cmp_eq_u32_e32 vcc, 0, v53
	v_cmp_eq_u32_e64 s[0:1], 3, v106
	v_cndmask_b32_e64 v56, v56, v37, s[0:1]
	s_or_b64 s[8:9], vcc, s[8:9]
	v_cmp_eq_u32_e32 vcc, 4, v106
	v_cndmask_b32_e32 v56, v56, v38, vcc
	v_cmp_eq_u32_e32 vcc, 5, v106
	v_cndmask_b32_e32 v56, v56, v39, vcc
	;; [unrolled: 2-line block ×10, first 2 shown]
	v_cmp_eq_u32_e32 vcc, 14, v106
	ds_read_b32 v57, v54
	v_cndmask_b32_e32 v56, v56, v48, vcc
	v_cmp_eq_u32_e32 vcc, 15, v106
	v_cndmask_b32_e32 v56, v56, v49, vcc
	v_cmp_eq_u32_e32 vcc, 16, v106
	;; [unrolled: 2-line block ×4, first 2 shown]
	v_add_co_u32_e64 v106, s[0:1], 1, v106
	v_cndmask_b32_e32 v56, v56, v52, vcc
	v_add_u32_e32 v54, 4, v54
	v_addc_co_u32_e64 v55, s[0:1], 0, v55, s[0:1]
	s_waitcnt lgkmcnt(0)
	v_fmac_f32_e32 v105, v56, v57
	s_andn2_b64 exec, exec, s[8:9]
	s_cbranch_execnz .LBB82_269
; %bb.270:
	s_or_b64 exec, exec, s[8:9]
.LBB82_271:
	s_or_b64 exec, exec, s[2:3]
.LBB82_272:
	s_or_b64 exec, exec, s[6:7]
	v_mov_b32_e32 v34, 0
	ds_read_b32 v34, v34
	s_waitcnt lgkmcnt(0)
	v_mul_f32_e32 v34, v105, v34
.LBB82_273:
	s_or_b64 exec, exec, s[4:5]
	s_branch .LBB82_457
.LBB82_274:
	v_cmp_eq_u32_e64 s[2:3], 0, v0
	s_waitcnt vmcnt(0) lgkmcnt(0)
	ds_write_b32 v104, v3
	s_waitcnt lgkmcnt(0)
	; wave barrier
	s_and_saveexec_b64 s[0:1], s[2:3]
	s_cbranch_execz .LBB82_280
; %bb.275:
	s_and_b64 vcc, exec, s[42:43]
	s_cbranch_vccz .LBB82_277
; %bb.276:
	v_cmp_eq_u32_e32 vcc, 1, v0
	v_cndmask_b32_e32 v3, v2, v3, vcc
	v_cmp_eq_u32_e32 vcc, 2, v0
	v_cndmask_b32_e32 v3, v3, v4, vcc
	;; [unrolled: 2-line block ×14, first 2 shown]
	v_cmp_eq_u32_e32 vcc, 15, v0
	ds_read_b32 v21, v104
	v_cndmask_b32_e32 v3, v3, v17, vcc
	v_cmp_eq_u32_e32 vcc, 16, v0
	v_cndmask_b32_e32 v3, v3, v18, vcc
	v_cmp_eq_u32_e32 vcc, 17, v0
	;; [unrolled: 2-line block ×3, first 2 shown]
	v_cndmask_b32_e32 v3, v3, v20, vcc
	s_waitcnt lgkmcnt(0)
	v_mul_f32_e32 v3, v3, v21
	s_cbranch_execz .LBB82_278
	s_branch .LBB82_279
.LBB82_277:
                                        ; implicit-def: $vgpr3
.LBB82_278:
	ds_read_b32 v3, v104
.LBB82_279:
	v_mov_b32_e32 v21, 0
	ds_read_b32 v21, v21 offset:4
	s_waitcnt lgkmcnt(0)
	v_mul_f32_e32 v3, v3, v21
.LBB82_280:
	s_or_b64 exec, exec, s[0:1]
	v_cndmask_b32_e64 v34, 0, 1, s[42:43]
	v_cmp_gt_u32_e32 vcc, 2, v0
	v_cmp_ne_u32_e64 s[0:1], 1, v34
	ds_write_b32 v104, v4
	s_waitcnt lgkmcnt(0)
	; wave barrier
	s_and_saveexec_b64 s[4:5], vcc
	s_cbranch_execz .LBB82_286
; %bb.281:
	s_and_b64 vcc, exec, s[0:1]
	s_cbranch_vccnz .LBB82_283
; %bb.282:
	v_cmp_eq_u32_e32 vcc, 1, v0
	v_cndmask_b32_e32 v21, v2, v3, vcc
	v_cmp_eq_u32_e32 vcc, 2, v0
	v_cndmask_b32_e32 v4, v21, v4, vcc
	;; [unrolled: 2-line block ×14, first 2 shown]
	v_cmp_eq_u32_e32 vcc, 15, v0
	ds_read_b32 v21, v104
	v_cndmask_b32_e32 v4, v4, v17, vcc
	v_cmp_eq_u32_e32 vcc, 16, v0
	v_cndmask_b32_e32 v4, v4, v18, vcc
	v_cmp_eq_u32_e32 vcc, 17, v0
	v_cndmask_b32_e32 v4, v4, v19, vcc
	v_cmp_eq_u32_e32 vcc, 18, v0
	v_cndmask_b32_e32 v4, v4, v20, vcc
	s_waitcnt lgkmcnt(0)
	v_mul_f32_e32 v4, v4, v21
	s_cbranch_execz .LBB82_284
	s_branch .LBB82_285
.LBB82_283:
                                        ; implicit-def: $vgpr4
.LBB82_284:
	ds_read_b32 v4, v104
.LBB82_285:
	v_mov_b32_e32 v21, 0
	ds_read2_b32 v[21:22], v21 offset0:2 offset1:21
	s_waitcnt lgkmcnt(0)
	v_fma_f32 v22, v3, v22, v4
	v_cndmask_b32_e64 v4, v4, v22, s[2:3]
	v_mul_f32_e32 v4, v4, v21
.LBB82_286:
	s_or_b64 exec, exec, s[4:5]
	v_add_u32_e32 v34, 1, v0
	v_cmp_gt_u32_e64 s[4:5], 3, v0
	ds_write_b32 v104, v5
	s_waitcnt lgkmcnt(0)
	; wave barrier
	s_and_saveexec_b64 s[6:7], s[4:5]
	s_cbranch_execz .LBB82_294
; %bb.287:
	s_and_b64 vcc, exec, s[0:1]
	s_cbranch_vccnz .LBB82_289
; %bb.288:
	v_cmp_eq_u32_e32 vcc, 1, v0
	v_cndmask_b32_e32 v21, v2, v3, vcc
	v_cmp_eq_u32_e32 vcc, 2, v0
	v_cndmask_b32_e32 v21, v21, v4, vcc
	;; [unrolled: 2-line block ×14, first 2 shown]
	v_cmp_eq_u32_e32 vcc, 15, v0
	ds_read_b32 v22, v104
	v_cndmask_b32_e32 v21, v21, v17, vcc
	v_cmp_eq_u32_e32 vcc, 16, v0
	v_cndmask_b32_e32 v21, v21, v18, vcc
	v_cmp_eq_u32_e32 vcc, 17, v0
	;; [unrolled: 2-line block ×3, first 2 shown]
	v_cndmask_b32_e32 v21, v21, v20, vcc
	s_waitcnt lgkmcnt(0)
	v_mul_f32_e32 v21, v21, v22
	s_cbranch_execz .LBB82_290
	s_branch .LBB82_291
.LBB82_289:
                                        ; implicit-def: $vgpr21
.LBB82_290:
	ds_read_b32 v21, v104
.LBB82_291:
	v_cmp_ne_u32_e32 vcc, 2, v0
	s_and_saveexec_b64 s[8:9], vcc
	s_cbranch_execz .LBB82_293
; %bb.292:
	v_cmp_eq_u32_e32 vcc, 1, v34
	v_cndmask_b32_e32 v22, v2, v3, vcc
	v_cmp_eq_u32_e32 vcc, 2, v34
	v_cndmask_b32_e32 v22, v22, v4, vcc
	;; [unrolled: 2-line block ×14, first 2 shown]
	v_cmp_eq_u32_e32 vcc, 15, v34
	v_mov_b32_e32 v22, 0
	v_cndmask_b32_e32 v5, v5, v17, vcc
	v_cmp_eq_u32_e32 vcc, 16, v34
	ds_read_b32 v23, v104 offset:4
	ds_read_b32 v22, v22 offset:88
	v_cndmask_b32_e32 v5, v5, v18, vcc
	v_cmp_eq_u32_e32 vcc, 17, v34
	v_cndmask_b32_e32 v5, v5, v19, vcc
	v_cmp_eq_u32_e32 vcc, 18, v34
	v_cndmask_b32_e32 v5, v5, v20, vcc
	s_waitcnt lgkmcnt(1)
	v_fmac_f32_e32 v21, v5, v23
	s_waitcnt lgkmcnt(0)
	v_fma_f32 v5, v4, v22, v21
	v_cndmask_b32_e64 v21, v21, v5, s[2:3]
.LBB82_293:
	s_or_b64 exec, exec, s[8:9]
	v_mov_b32_e32 v5, 0
	ds_read_b32 v5, v5 offset:12
	s_waitcnt lgkmcnt(0)
	v_mul_f32_e32 v5, v21, v5
.LBB82_294:
	s_or_b64 exec, exec, s[6:7]
	v_cmp_gt_u32_e32 vcc, 4, v0
	ds_write_b32 v104, v6
	s_waitcnt lgkmcnt(0)
	; wave barrier
	s_and_saveexec_b64 s[8:9], vcc
	s_cbranch_execz .LBB82_304
; %bb.295:
	s_and_b64 vcc, exec, s[0:1]
	s_cbranch_vccnz .LBB82_297
; %bb.296:
	v_cmp_eq_u32_e32 vcc, 1, v0
	v_cndmask_b32_e32 v21, v2, v3, vcc
	v_cmp_eq_u32_e32 vcc, 2, v0
	v_cndmask_b32_e32 v21, v21, v4, vcc
	v_cmp_eq_u32_e32 vcc, 3, v0
	v_cndmask_b32_e32 v21, v21, v5, vcc
	v_cmp_eq_u32_e32 vcc, 4, v0
	v_cndmask_b32_e32 v21, v21, v6, vcc
	v_cmp_eq_u32_e32 vcc, 5, v0
	v_cndmask_b32_e32 v21, v21, v7, vcc
	v_cmp_eq_u32_e32 vcc, 6, v0
	v_cndmask_b32_e32 v21, v21, v8, vcc
	v_cmp_eq_u32_e32 vcc, 7, v0
	v_cndmask_b32_e32 v21, v21, v9, vcc
	v_cmp_eq_u32_e32 vcc, 8, v0
	v_cndmask_b32_e32 v21, v21, v10, vcc
	v_cmp_eq_u32_e32 vcc, 9, v0
	v_cndmask_b32_e32 v21, v21, v11, vcc
	v_cmp_eq_u32_e32 vcc, 10, v0
	v_cndmask_b32_e32 v21, v21, v12, vcc
	v_cmp_eq_u32_e32 vcc, 11, v0
	v_cndmask_b32_e32 v21, v21, v13, vcc
	v_cmp_eq_u32_e32 vcc, 12, v0
	v_cndmask_b32_e32 v21, v21, v14, vcc
	v_cmp_eq_u32_e32 vcc, 13, v0
	v_cndmask_b32_e32 v21, v21, v15, vcc
	v_cmp_eq_u32_e32 vcc, 14, v0
	v_cndmask_b32_e32 v21, v21, v16, vcc
	v_cmp_eq_u32_e32 vcc, 15, v0
	ds_read_b32 v22, v104
	v_cndmask_b32_e32 v21, v21, v17, vcc
	v_cmp_eq_u32_e32 vcc, 16, v0
	v_cndmask_b32_e32 v21, v21, v18, vcc
	v_cmp_eq_u32_e32 vcc, 17, v0
	;; [unrolled: 2-line block ×3, first 2 shown]
	v_cndmask_b32_e32 v21, v21, v20, vcc
	s_waitcnt lgkmcnt(0)
	v_mul_f32_e32 v23, v21, v22
	s_cbranch_execz .LBB82_298
	s_branch .LBB82_299
.LBB82_297:
                                        ; implicit-def: $vgpr23
.LBB82_298:
	ds_read_b32 v23, v104
.LBB82_299:
	v_cmp_ne_u32_e32 vcc, 3, v0
	s_and_saveexec_b64 s[10:11], vcc
	s_cbranch_execz .LBB82_303
; %bb.300:
	v_mov_b32_e32 v21, 0x54
	v_lshl_add_u32 v24, v0, 2, v21
	v_mov_b32_e32 v22, v1
	s_mov_b64 s[12:13], 0
	v_mov_b32_e32 v21, v0
.LBB82_301:                             ; =>This Inner Loop Header: Depth=1
	v_add_co_u32_e32 v21, vcc, 1, v21
	v_addc_co_u32_e32 v22, vcc, 0, v22, vcc
	v_cmp_eq_u32_e32 vcc, 1, v21
	v_cndmask_b32_e32 v26, v2, v3, vcc
	v_cmp_lt_u32_e32 vcc, 2, v21
	v_cmp_eq_u32_e64 s[6:7], 2, v21
	v_cndmask_b32_e64 v26, v26, v4, s[6:7]
	s_or_b64 s[12:13], vcc, s[12:13]
	v_cmp_eq_u32_e32 vcc, 3, v21
	v_cndmask_b32_e32 v26, v26, v5, vcc
	v_cmp_eq_u32_e32 vcc, 4, v21
	v_cndmask_b32_e32 v26, v26, v6, vcc
	;; [unrolled: 2-line block ×11, first 2 shown]
	v_cmp_eq_u32_e32 vcc, 14, v21
	ds_read_b32 v25, v24
	v_cndmask_b32_e32 v26, v26, v16, vcc
	v_cmp_eq_u32_e32 vcc, 15, v21
	v_cndmask_b32_e32 v26, v26, v17, vcc
	v_cmp_eq_u32_e32 vcc, 16, v21
	;; [unrolled: 2-line block ×4, first 2 shown]
	v_cndmask_b32_e32 v26, v26, v20, vcc
	v_add_u32_e32 v24, 4, v24
	s_waitcnt lgkmcnt(0)
	v_fmac_f32_e32 v23, v26, v25
	s_andn2_b64 exec, exec, s[12:13]
	s_cbranch_execnz .LBB82_301
; %bb.302:
	s_or_b64 exec, exec, s[12:13]
.LBB82_303:
	s_or_b64 exec, exec, s[10:11]
	v_mov_b32_e32 v6, 0
	ds_read_b32 v6, v6 offset:16
	s_waitcnt lgkmcnt(0)
	v_mul_f32_e32 v6, v23, v6
.LBB82_304:
	s_or_b64 exec, exec, s[8:9]
	v_cmp_gt_u32_e64 s[6:7], 5, v0
	ds_write_b32 v104, v7
	s_waitcnt lgkmcnt(0)
	; wave barrier
	s_and_saveexec_b64 s[10:11], s[6:7]
	s_cbranch_execz .LBB82_314
; %bb.305:
	s_and_b64 vcc, exec, s[0:1]
	s_cbranch_vccnz .LBB82_307
; %bb.306:
	v_cmp_eq_u32_e32 vcc, 1, v0
	v_cndmask_b32_e32 v21, v2, v3, vcc
	v_cmp_eq_u32_e32 vcc, 2, v0
	v_cndmask_b32_e32 v21, v21, v4, vcc
	;; [unrolled: 2-line block ×14, first 2 shown]
	v_cmp_eq_u32_e32 vcc, 15, v0
	ds_read_b32 v22, v104
	v_cndmask_b32_e32 v21, v21, v17, vcc
	v_cmp_eq_u32_e32 vcc, 16, v0
	v_cndmask_b32_e32 v21, v21, v18, vcc
	v_cmp_eq_u32_e32 vcc, 17, v0
	;; [unrolled: 2-line block ×3, first 2 shown]
	v_cndmask_b32_e32 v21, v21, v20, vcc
	s_waitcnt lgkmcnt(0)
	v_mul_f32_e32 v23, v21, v22
	s_cbranch_execz .LBB82_308
	s_branch .LBB82_309
.LBB82_307:
                                        ; implicit-def: $vgpr23
.LBB82_308:
	ds_read_b32 v23, v104
.LBB82_309:
	v_cmp_ne_u32_e32 vcc, 4, v0
	s_and_saveexec_b64 s[12:13], vcc
	s_cbranch_execz .LBB82_313
; %bb.310:
	v_mov_b32_e32 v21, 0x54
	v_lshl_add_u32 v24, v0, 2, v21
	v_mov_b32_e32 v22, v1
	s_mov_b64 s[14:15], 0
	v_mov_b32_e32 v21, v0
.LBB82_311:                             ; =>This Inner Loop Header: Depth=1
	v_add_co_u32_e32 v21, vcc, 1, v21
	v_addc_co_u32_e32 v22, vcc, 0, v22, vcc
	v_cmp_eq_u32_e32 vcc, 1, v21
	v_cndmask_b32_e32 v26, v2, v3, vcc
	v_cmp_lt_u32_e32 vcc, 3, v21
	v_cmp_eq_u32_e64 s[8:9], 2, v21
	v_cndmask_b32_e64 v26, v26, v4, s[8:9]
	s_or_b64 s[14:15], vcc, s[14:15]
	v_cmp_eq_u32_e32 vcc, 3, v21
	v_cndmask_b32_e32 v26, v26, v5, vcc
	v_cmp_eq_u32_e32 vcc, 4, v21
	v_cndmask_b32_e32 v26, v26, v6, vcc
	;; [unrolled: 2-line block ×11, first 2 shown]
	v_cmp_eq_u32_e32 vcc, 14, v21
	ds_read_b32 v25, v24
	v_cndmask_b32_e32 v26, v26, v16, vcc
	v_cmp_eq_u32_e32 vcc, 15, v21
	v_cndmask_b32_e32 v26, v26, v17, vcc
	v_cmp_eq_u32_e32 vcc, 16, v21
	;; [unrolled: 2-line block ×4, first 2 shown]
	v_cndmask_b32_e32 v26, v26, v20, vcc
	v_add_u32_e32 v24, 4, v24
	s_waitcnt lgkmcnt(0)
	v_fmac_f32_e32 v23, v26, v25
	s_andn2_b64 exec, exec, s[14:15]
	s_cbranch_execnz .LBB82_311
; %bb.312:
	s_or_b64 exec, exec, s[14:15]
.LBB82_313:
	s_or_b64 exec, exec, s[12:13]
	v_mov_b32_e32 v7, 0
	ds_read_b32 v7, v7 offset:20
	s_waitcnt lgkmcnt(0)
	v_mul_f32_e32 v7, v23, v7
.LBB82_314:
	s_or_b64 exec, exec, s[10:11]
	v_cmp_gt_u32_e32 vcc, 6, v0
	ds_write_b32 v104, v8
	s_waitcnt lgkmcnt(0)
	; wave barrier
	s_and_saveexec_b64 s[10:11], vcc
	s_cbranch_execz .LBB82_324
; %bb.315:
	s_and_b64 vcc, exec, s[0:1]
	s_cbranch_vccnz .LBB82_317
; %bb.316:
	v_cmp_eq_u32_e32 vcc, 1, v0
	v_cndmask_b32_e32 v21, v2, v3, vcc
	v_cmp_eq_u32_e32 vcc, 2, v0
	v_cndmask_b32_e32 v21, v21, v4, vcc
	;; [unrolled: 2-line block ×14, first 2 shown]
	v_cmp_eq_u32_e32 vcc, 15, v0
	ds_read_b32 v22, v104
	v_cndmask_b32_e32 v21, v21, v17, vcc
	v_cmp_eq_u32_e32 vcc, 16, v0
	v_cndmask_b32_e32 v21, v21, v18, vcc
	v_cmp_eq_u32_e32 vcc, 17, v0
	;; [unrolled: 2-line block ×3, first 2 shown]
	v_cndmask_b32_e32 v21, v21, v20, vcc
	s_waitcnt lgkmcnt(0)
	v_mul_f32_e32 v23, v21, v22
	s_cbranch_execz .LBB82_318
	s_branch .LBB82_319
.LBB82_317:
                                        ; implicit-def: $vgpr23
.LBB82_318:
	ds_read_b32 v23, v104
.LBB82_319:
	v_cmp_ne_u32_e32 vcc, 5, v0
	s_and_saveexec_b64 s[12:13], vcc
	s_cbranch_execz .LBB82_323
; %bb.320:
	v_mov_b32_e32 v21, 0x54
	v_lshl_add_u32 v24, v0, 2, v21
	v_mov_b32_e32 v22, v1
	s_mov_b64 s[14:15], 0
	v_mov_b32_e32 v21, v0
.LBB82_321:                             ; =>This Inner Loop Header: Depth=1
	v_add_co_u32_e32 v21, vcc, 1, v21
	v_addc_co_u32_e32 v22, vcc, 0, v22, vcc
	v_cmp_eq_u32_e32 vcc, 1, v21
	v_cndmask_b32_e32 v26, v2, v3, vcc
	v_cmp_lt_u32_e32 vcc, 4, v21
	v_cmp_eq_u32_e64 s[8:9], 2, v21
	v_cndmask_b32_e64 v26, v26, v4, s[8:9]
	s_or_b64 s[14:15], vcc, s[14:15]
	v_cmp_eq_u32_e32 vcc, 3, v21
	v_cndmask_b32_e32 v26, v26, v5, vcc
	v_cmp_eq_u32_e32 vcc, 4, v21
	v_cndmask_b32_e32 v26, v26, v6, vcc
	;; [unrolled: 2-line block ×11, first 2 shown]
	v_cmp_eq_u32_e32 vcc, 14, v21
	ds_read_b32 v25, v24
	v_cndmask_b32_e32 v26, v26, v16, vcc
	v_cmp_eq_u32_e32 vcc, 15, v21
	v_cndmask_b32_e32 v26, v26, v17, vcc
	v_cmp_eq_u32_e32 vcc, 16, v21
	;; [unrolled: 2-line block ×4, first 2 shown]
	v_cndmask_b32_e32 v26, v26, v20, vcc
	v_add_u32_e32 v24, 4, v24
	s_waitcnt lgkmcnt(0)
	v_fmac_f32_e32 v23, v26, v25
	s_andn2_b64 exec, exec, s[14:15]
	s_cbranch_execnz .LBB82_321
; %bb.322:
	s_or_b64 exec, exec, s[14:15]
.LBB82_323:
	s_or_b64 exec, exec, s[12:13]
	v_mov_b32_e32 v8, 0
	ds_read_b32 v8, v8 offset:24
	s_waitcnt lgkmcnt(0)
	v_mul_f32_e32 v8, v23, v8
.LBB82_324:
	s_or_b64 exec, exec, s[10:11]
	v_cmp_gt_u32_e64 s[8:9], 7, v0
	ds_write_b32 v104, v9
	s_waitcnt lgkmcnt(0)
	; wave barrier
	s_and_saveexec_b64 s[12:13], s[8:9]
	s_cbranch_execz .LBB82_334
; %bb.325:
	s_and_b64 vcc, exec, s[0:1]
	s_cbranch_vccnz .LBB82_327
; %bb.326:
	v_cmp_eq_u32_e32 vcc, 1, v0
	v_cndmask_b32_e32 v21, v2, v3, vcc
	v_cmp_eq_u32_e32 vcc, 2, v0
	v_cndmask_b32_e32 v21, v21, v4, vcc
	v_cmp_eq_u32_e32 vcc, 3, v0
	v_cndmask_b32_e32 v21, v21, v5, vcc
	v_cmp_eq_u32_e32 vcc, 4, v0
	v_cndmask_b32_e32 v21, v21, v6, vcc
	v_cmp_eq_u32_e32 vcc, 5, v0
	v_cndmask_b32_e32 v21, v21, v7, vcc
	v_cmp_eq_u32_e32 vcc, 6, v0
	v_cndmask_b32_e32 v21, v21, v8, vcc
	v_cmp_eq_u32_e32 vcc, 7, v0
	v_cndmask_b32_e32 v21, v21, v9, vcc
	v_cmp_eq_u32_e32 vcc, 8, v0
	v_cndmask_b32_e32 v21, v21, v10, vcc
	v_cmp_eq_u32_e32 vcc, 9, v0
	v_cndmask_b32_e32 v21, v21, v11, vcc
	v_cmp_eq_u32_e32 vcc, 10, v0
	v_cndmask_b32_e32 v21, v21, v12, vcc
	v_cmp_eq_u32_e32 vcc, 11, v0
	v_cndmask_b32_e32 v21, v21, v13, vcc
	v_cmp_eq_u32_e32 vcc, 12, v0
	v_cndmask_b32_e32 v21, v21, v14, vcc
	v_cmp_eq_u32_e32 vcc, 13, v0
	v_cndmask_b32_e32 v21, v21, v15, vcc
	v_cmp_eq_u32_e32 vcc, 14, v0
	v_cndmask_b32_e32 v21, v21, v16, vcc
	v_cmp_eq_u32_e32 vcc, 15, v0
	ds_read_b32 v22, v104
	v_cndmask_b32_e32 v21, v21, v17, vcc
	v_cmp_eq_u32_e32 vcc, 16, v0
	v_cndmask_b32_e32 v21, v21, v18, vcc
	v_cmp_eq_u32_e32 vcc, 17, v0
	;; [unrolled: 2-line block ×3, first 2 shown]
	v_cndmask_b32_e32 v21, v21, v20, vcc
	s_waitcnt lgkmcnt(0)
	v_mul_f32_e32 v23, v21, v22
	s_cbranch_execz .LBB82_328
	s_branch .LBB82_329
.LBB82_327:
                                        ; implicit-def: $vgpr23
.LBB82_328:
	ds_read_b32 v23, v104
.LBB82_329:
	v_cmp_ne_u32_e32 vcc, 6, v0
	s_and_saveexec_b64 s[14:15], vcc
	s_cbranch_execz .LBB82_333
; %bb.330:
	v_mov_b32_e32 v21, 0x54
	v_lshl_add_u32 v24, v0, 2, v21
	v_mov_b32_e32 v22, v1
	s_mov_b64 s[16:17], 0
	v_mov_b32_e32 v21, v0
.LBB82_331:                             ; =>This Inner Loop Header: Depth=1
	v_add_co_u32_e32 v21, vcc, 1, v21
	v_addc_co_u32_e32 v22, vcc, 0, v22, vcc
	v_cmp_eq_u32_e32 vcc, 1, v21
	v_cndmask_b32_e32 v26, v2, v3, vcc
	v_cmp_lt_u32_e32 vcc, 5, v21
	v_cmp_eq_u32_e64 s[10:11], 2, v21
	v_cndmask_b32_e64 v26, v26, v4, s[10:11]
	s_or_b64 s[16:17], vcc, s[16:17]
	v_cmp_eq_u32_e32 vcc, 3, v21
	v_cndmask_b32_e32 v26, v26, v5, vcc
	v_cmp_eq_u32_e32 vcc, 4, v21
	v_cndmask_b32_e32 v26, v26, v6, vcc
	;; [unrolled: 2-line block ×11, first 2 shown]
	v_cmp_eq_u32_e32 vcc, 14, v21
	ds_read_b32 v25, v24
	v_cndmask_b32_e32 v26, v26, v16, vcc
	v_cmp_eq_u32_e32 vcc, 15, v21
	v_cndmask_b32_e32 v26, v26, v17, vcc
	v_cmp_eq_u32_e32 vcc, 16, v21
	v_cndmask_b32_e32 v26, v26, v18, vcc
	v_cmp_eq_u32_e32 vcc, 17, v21
	v_cndmask_b32_e32 v26, v26, v19, vcc
	v_cmp_eq_u32_e32 vcc, 18, v21
	v_cndmask_b32_e32 v26, v26, v20, vcc
	v_add_u32_e32 v24, 4, v24
	s_waitcnt lgkmcnt(0)
	v_fmac_f32_e32 v23, v26, v25
	s_andn2_b64 exec, exec, s[16:17]
	s_cbranch_execnz .LBB82_331
; %bb.332:
	s_or_b64 exec, exec, s[16:17]
.LBB82_333:
	s_or_b64 exec, exec, s[14:15]
	v_mov_b32_e32 v9, 0
	ds_read_b32 v9, v9 offset:28
	s_waitcnt lgkmcnt(0)
	v_mul_f32_e32 v9, v23, v9
.LBB82_334:
	s_or_b64 exec, exec, s[12:13]
	v_cmp_gt_u32_e32 vcc, 8, v0
	ds_write_b32 v104, v10
	s_waitcnt lgkmcnt(0)
	; wave barrier
	s_and_saveexec_b64 s[12:13], vcc
	s_cbranch_execz .LBB82_344
; %bb.335:
	s_and_b64 vcc, exec, s[0:1]
	s_cbranch_vccnz .LBB82_337
; %bb.336:
	v_cmp_eq_u32_e32 vcc, 1, v0
	v_cndmask_b32_e32 v21, v2, v3, vcc
	v_cmp_eq_u32_e32 vcc, 2, v0
	v_cndmask_b32_e32 v21, v21, v4, vcc
	;; [unrolled: 2-line block ×14, first 2 shown]
	v_cmp_eq_u32_e32 vcc, 15, v0
	ds_read_b32 v22, v104
	v_cndmask_b32_e32 v21, v21, v17, vcc
	v_cmp_eq_u32_e32 vcc, 16, v0
	v_cndmask_b32_e32 v21, v21, v18, vcc
	v_cmp_eq_u32_e32 vcc, 17, v0
	;; [unrolled: 2-line block ×3, first 2 shown]
	v_cndmask_b32_e32 v21, v21, v20, vcc
	s_waitcnt lgkmcnt(0)
	v_mul_f32_e32 v23, v21, v22
	s_cbranch_execz .LBB82_338
	s_branch .LBB82_339
.LBB82_337:
                                        ; implicit-def: $vgpr23
.LBB82_338:
	ds_read_b32 v23, v104
.LBB82_339:
	v_cmp_ne_u32_e32 vcc, 7, v0
	s_and_saveexec_b64 s[14:15], vcc
	s_cbranch_execz .LBB82_343
; %bb.340:
	v_mov_b32_e32 v21, 0x54
	v_lshl_add_u32 v24, v0, 2, v21
	v_mov_b32_e32 v22, v1
	s_mov_b64 s[16:17], 0
	v_mov_b32_e32 v21, v0
.LBB82_341:                             ; =>This Inner Loop Header: Depth=1
	v_add_co_u32_e32 v21, vcc, 1, v21
	v_addc_co_u32_e32 v22, vcc, 0, v22, vcc
	v_cmp_eq_u32_e32 vcc, 1, v21
	v_cndmask_b32_e32 v26, v2, v3, vcc
	v_cmp_lt_u32_e32 vcc, 6, v21
	v_cmp_eq_u32_e64 s[10:11], 2, v21
	v_cndmask_b32_e64 v26, v26, v4, s[10:11]
	s_or_b64 s[16:17], vcc, s[16:17]
	v_cmp_eq_u32_e32 vcc, 3, v21
	v_cndmask_b32_e32 v26, v26, v5, vcc
	v_cmp_eq_u32_e32 vcc, 4, v21
	v_cndmask_b32_e32 v26, v26, v6, vcc
	;; [unrolled: 2-line block ×11, first 2 shown]
	v_cmp_eq_u32_e32 vcc, 14, v21
	ds_read_b32 v25, v24
	v_cndmask_b32_e32 v26, v26, v16, vcc
	v_cmp_eq_u32_e32 vcc, 15, v21
	v_cndmask_b32_e32 v26, v26, v17, vcc
	v_cmp_eq_u32_e32 vcc, 16, v21
	v_cndmask_b32_e32 v26, v26, v18, vcc
	v_cmp_eq_u32_e32 vcc, 17, v21
	v_cndmask_b32_e32 v26, v26, v19, vcc
	v_cmp_eq_u32_e32 vcc, 18, v21
	v_cndmask_b32_e32 v26, v26, v20, vcc
	v_add_u32_e32 v24, 4, v24
	s_waitcnt lgkmcnt(0)
	v_fmac_f32_e32 v23, v26, v25
	s_andn2_b64 exec, exec, s[16:17]
	s_cbranch_execnz .LBB82_341
; %bb.342:
	s_or_b64 exec, exec, s[16:17]
.LBB82_343:
	s_or_b64 exec, exec, s[14:15]
	v_mov_b32_e32 v10, 0
	ds_read_b32 v10, v10 offset:32
	s_waitcnt lgkmcnt(0)
	v_mul_f32_e32 v10, v23, v10
.LBB82_344:
	s_or_b64 exec, exec, s[12:13]
	v_cmp_gt_u32_e32 vcc, 9, v0
	ds_write_b32 v104, v11
	s_waitcnt lgkmcnt(0)
	; wave barrier
	s_and_saveexec_b64 s[10:11], vcc
	s_cbranch_execz .LBB82_366
; %bb.345:
	s_and_b64 vcc, exec, s[0:1]
	s_cbranch_vccnz .LBB82_347
; %bb.346:
	v_cmp_eq_u32_e32 vcc, 1, v0
	v_cndmask_b32_e32 v21, v2, v3, vcc
	v_cmp_eq_u32_e32 vcc, 2, v0
	v_cndmask_b32_e32 v21, v21, v4, vcc
	;; [unrolled: 2-line block ×14, first 2 shown]
	v_cmp_eq_u32_e32 vcc, 15, v0
	ds_read_b32 v22, v104
	v_cndmask_b32_e32 v21, v21, v17, vcc
	v_cmp_eq_u32_e32 vcc, 16, v0
	v_cndmask_b32_e32 v21, v21, v18, vcc
	v_cmp_eq_u32_e32 vcc, 17, v0
	;; [unrolled: 2-line block ×3, first 2 shown]
	v_cndmask_b32_e32 v21, v21, v20, vcc
	s_waitcnt lgkmcnt(0)
	v_mul_f32_e32 v21, v21, v22
	s_cbranch_execz .LBB82_348
	s_branch .LBB82_349
.LBB82_347:
                                        ; implicit-def: $vgpr21
.LBB82_348:
	ds_read_b32 v21, v104
.LBB82_349:
	v_cmp_ne_u32_e32 vcc, 8, v0
	s_and_saveexec_b64 s[12:13], vcc
	s_cbranch_execz .LBB82_365
; %bb.350:
	v_cmp_eq_u32_e32 vcc, 1, v34
	v_cndmask_b32_e32 v22, v2, v3, vcc
	v_cmp_eq_u32_e32 vcc, 2, v34
	v_cndmask_b32_e32 v22, v22, v4, vcc
	;; [unrolled: 2-line block ×14, first 2 shown]
	v_cmp_eq_u32_e32 vcc, 15, v34
	ds_read_b32 v23, v104 offset:4
	v_cndmask_b32_e32 v22, v22, v17, vcc
	v_cmp_eq_u32_e32 vcc, 16, v34
	v_cndmask_b32_e32 v22, v22, v18, vcc
	v_cmp_eq_u32_e32 vcc, 17, v34
	;; [unrolled: 2-line block ×3, first 2 shown]
	v_cndmask_b32_e32 v22, v22, v20, vcc
	s_waitcnt lgkmcnt(0)
	v_fmac_f32_e32 v21, v22, v23
	s_and_saveexec_b64 s[14:15], s[8:9]
	s_cbranch_execz .LBB82_364
; %bb.351:
	v_add_u32_e32 v22, 2, v0
	v_cmp_eq_u32_e32 vcc, 1, v22
	v_cndmask_b32_e32 v23, v2, v3, vcc
	v_cmp_eq_u32_e32 vcc, 2, v22
	v_cndmask_b32_e32 v23, v23, v4, vcc
	;; [unrolled: 2-line block ×14, first 2 shown]
	v_cmp_eq_u32_e32 vcc, 15, v22
	ds_read_b32 v24, v104 offset:8
	v_cndmask_b32_e32 v23, v23, v17, vcc
	v_cmp_eq_u32_e32 vcc, 16, v22
	v_cndmask_b32_e32 v23, v23, v18, vcc
	v_cmp_eq_u32_e32 vcc, 17, v22
	;; [unrolled: 2-line block ×3, first 2 shown]
	v_cndmask_b32_e32 v22, v23, v20, vcc
	s_waitcnt lgkmcnt(0)
	v_fmac_f32_e32 v21, v22, v24
	v_cmp_ne_u32_e32 vcc, 6, v0
	s_and_saveexec_b64 s[8:9], vcc
	s_cbranch_execz .LBB82_363
; %bb.352:
	v_add_u32_e32 v22, 3, v0
	v_cmp_eq_u32_e32 vcc, 1, v22
	v_cndmask_b32_e32 v23, v2, v3, vcc
	v_cmp_eq_u32_e32 vcc, 2, v22
	v_cndmask_b32_e32 v23, v23, v4, vcc
	v_cmp_eq_u32_e32 vcc, 3, v22
	v_cndmask_b32_e32 v23, v23, v5, vcc
	v_cmp_eq_u32_e32 vcc, 4, v22
	v_cndmask_b32_e32 v23, v23, v6, vcc
	v_cmp_eq_u32_e32 vcc, 5, v22
	v_cndmask_b32_e32 v23, v23, v7, vcc
	v_cmp_eq_u32_e32 vcc, 6, v22
	v_cndmask_b32_e32 v23, v23, v8, vcc
	v_cmp_eq_u32_e32 vcc, 7, v22
	v_cndmask_b32_e32 v23, v23, v9, vcc
	v_cmp_eq_u32_e32 vcc, 8, v22
	v_cndmask_b32_e32 v23, v23, v10, vcc
	v_cmp_eq_u32_e32 vcc, 9, v22
	v_cndmask_b32_e32 v23, v23, v11, vcc
	v_cmp_eq_u32_e32 vcc, 10, v22
	v_cndmask_b32_e32 v23, v23, v12, vcc
	v_cmp_eq_u32_e32 vcc, 11, v22
	v_cndmask_b32_e32 v23, v23, v13, vcc
	v_cmp_eq_u32_e32 vcc, 12, v22
	v_cndmask_b32_e32 v23, v23, v14, vcc
	v_cmp_eq_u32_e32 vcc, 13, v22
	v_cndmask_b32_e32 v23, v23, v15, vcc
	v_cmp_eq_u32_e32 vcc, 14, v22
	v_cndmask_b32_e32 v23, v23, v16, vcc
	v_cmp_eq_u32_e32 vcc, 15, v22
	ds_read_b32 v24, v104 offset:12
	v_cndmask_b32_e32 v23, v23, v17, vcc
	v_cmp_eq_u32_e32 vcc, 16, v22
	v_cndmask_b32_e32 v23, v23, v18, vcc
	v_cmp_eq_u32_e32 vcc, 17, v22
	;; [unrolled: 2-line block ×3, first 2 shown]
	v_cndmask_b32_e32 v22, v23, v20, vcc
	s_waitcnt lgkmcnt(0)
	v_fmac_f32_e32 v21, v22, v24
	s_and_saveexec_b64 s[16:17], s[6:7]
	s_cbranch_execz .LBB82_362
; %bb.353:
	v_add_u32_e32 v22, 4, v0
	v_cmp_eq_u32_e32 vcc, 1, v22
	v_cndmask_b32_e32 v23, v2, v3, vcc
	v_cmp_eq_u32_e32 vcc, 2, v22
	v_cndmask_b32_e32 v23, v23, v4, vcc
	v_cmp_eq_u32_e32 vcc, 3, v22
	v_cndmask_b32_e32 v23, v23, v5, vcc
	v_cmp_eq_u32_e32 vcc, 4, v22
	v_cndmask_b32_e32 v23, v23, v6, vcc
	v_cmp_eq_u32_e32 vcc, 5, v22
	v_cndmask_b32_e32 v23, v23, v7, vcc
	v_cmp_eq_u32_e32 vcc, 6, v22
	v_cndmask_b32_e32 v23, v23, v8, vcc
	v_cmp_eq_u32_e32 vcc, 7, v22
	v_cndmask_b32_e32 v23, v23, v9, vcc
	v_cmp_eq_u32_e32 vcc, 8, v22
	v_cndmask_b32_e32 v23, v23, v10, vcc
	v_cmp_eq_u32_e32 vcc, 9, v22
	v_cndmask_b32_e32 v23, v23, v11, vcc
	v_cmp_eq_u32_e32 vcc, 10, v22
	v_cndmask_b32_e32 v23, v23, v12, vcc
	v_cmp_eq_u32_e32 vcc, 11, v22
	v_cndmask_b32_e32 v23, v23, v13, vcc
	v_cmp_eq_u32_e32 vcc, 12, v22
	v_cndmask_b32_e32 v23, v23, v14, vcc
	v_cmp_eq_u32_e32 vcc, 13, v22
	v_cndmask_b32_e32 v23, v23, v15, vcc
	v_cmp_eq_u32_e32 vcc, 14, v22
	v_cndmask_b32_e32 v23, v23, v16, vcc
	v_cmp_eq_u32_e32 vcc, 15, v22
	ds_read_b32 v24, v104 offset:16
	v_cndmask_b32_e32 v23, v23, v17, vcc
	v_cmp_eq_u32_e32 vcc, 16, v22
	v_cndmask_b32_e32 v23, v23, v18, vcc
	v_cmp_eq_u32_e32 vcc, 17, v22
	;; [unrolled: 2-line block ×3, first 2 shown]
	v_cndmask_b32_e32 v22, v23, v20, vcc
	s_waitcnt lgkmcnt(0)
	v_fmac_f32_e32 v21, v22, v24
	v_cmp_ne_u32_e32 vcc, 4, v0
	s_and_saveexec_b64 s[6:7], vcc
	s_cbranch_execz .LBB82_361
; %bb.354:
	v_add_u32_e32 v22, 5, v0
	v_cmp_eq_u32_e32 vcc, 1, v22
	v_cndmask_b32_e32 v23, v2, v3, vcc
	v_cmp_eq_u32_e32 vcc, 2, v22
	v_cndmask_b32_e32 v23, v23, v4, vcc
	;; [unrolled: 2-line block ×14, first 2 shown]
	v_cmp_eq_u32_e32 vcc, 15, v22
	ds_read_b32 v24, v104 offset:20
	v_cndmask_b32_e32 v23, v23, v17, vcc
	v_cmp_eq_u32_e32 vcc, 16, v22
	v_cndmask_b32_e32 v23, v23, v18, vcc
	v_cmp_eq_u32_e32 vcc, 17, v22
	;; [unrolled: 2-line block ×3, first 2 shown]
	v_cndmask_b32_e32 v22, v23, v20, vcc
	s_waitcnt lgkmcnt(0)
	v_fmac_f32_e32 v21, v22, v24
	s_and_saveexec_b64 s[18:19], s[4:5]
	s_cbranch_execz .LBB82_360
; %bb.355:
	v_add_u32_e32 v22, 6, v0
	v_cmp_eq_u32_e32 vcc, 1, v22
	v_cndmask_b32_e32 v23, v2, v3, vcc
	v_cmp_eq_u32_e32 vcc, 2, v22
	v_cndmask_b32_e32 v23, v23, v4, vcc
	;; [unrolled: 2-line block ×14, first 2 shown]
	v_cmp_eq_u32_e32 vcc, 15, v22
	ds_read_b32 v24, v104 offset:24
	v_cndmask_b32_e32 v23, v23, v17, vcc
	v_cmp_eq_u32_e32 vcc, 16, v22
	v_cndmask_b32_e32 v23, v23, v18, vcc
	v_cmp_eq_u32_e32 vcc, 17, v22
	;; [unrolled: 2-line block ×3, first 2 shown]
	v_cndmask_b32_e32 v22, v23, v20, vcc
	s_waitcnt lgkmcnt(0)
	v_fmac_f32_e32 v21, v22, v24
	v_cmp_ne_u32_e32 vcc, 2, v0
	s_and_saveexec_b64 s[4:5], vcc
	s_cbranch_execz .LBB82_359
; %bb.356:
	v_add_u32_e32 v22, 7, v0
	v_cmp_eq_u32_e32 vcc, 1, v22
	v_cndmask_b32_e32 v23, v2, v3, vcc
	v_cmp_eq_u32_e32 vcc, 2, v22
	v_cndmask_b32_e32 v23, v23, v4, vcc
	;; [unrolled: 2-line block ×14, first 2 shown]
	v_cmp_eq_u32_e32 vcc, 15, v22
	ds_read_b32 v23, v104 offset:28
	v_cndmask_b32_e32 v11, v11, v17, vcc
	v_cmp_eq_u32_e32 vcc, 16, v22
	v_cndmask_b32_e32 v11, v11, v18, vcc
	v_cmp_eq_u32_e32 vcc, 17, v22
	;; [unrolled: 2-line block ×3, first 2 shown]
	v_cndmask_b32_e32 v11, v11, v20, vcc
	s_waitcnt lgkmcnt(0)
	v_fmac_f32_e32 v21, v11, v23
	s_and_saveexec_b64 s[20:21], s[2:3]
	s_cbranch_execz .LBB82_358
; %bb.357:
	ds_read_b32 v11, v104 offset:32
	s_waitcnt lgkmcnt(0)
	v_fmac_f32_e32 v21, v10, v11
.LBB82_358:
	s_or_b64 exec, exec, s[20:21]
.LBB82_359:
	s_or_b64 exec, exec, s[4:5]
.LBB82_360:
	s_or_b64 exec, exec, s[18:19]
.LBB82_361:
	s_or_b64 exec, exec, s[6:7]
.LBB82_362:
	s_or_b64 exec, exec, s[16:17]
.LBB82_363:
	s_or_b64 exec, exec, s[8:9]
.LBB82_364:
	s_or_b64 exec, exec, s[14:15]
.LBB82_365:
	s_or_b64 exec, exec, s[12:13]
	v_mov_b32_e32 v11, 0
	ds_read_b32 v11, v11 offset:36
	s_waitcnt lgkmcnt(0)
	v_mul_f32_e32 v11, v21, v11
.LBB82_366:
	s_or_b64 exec, exec, s[10:11]
	v_cmp_gt_u32_e32 vcc, 10, v0
	ds_write_b32 v104, v12
	s_waitcnt lgkmcnt(0)
	; wave barrier
	s_and_saveexec_b64 s[4:5], vcc
	s_cbranch_execz .LBB82_376
; %bb.367:
	s_and_b64 vcc, exec, s[0:1]
	s_cbranch_vccnz .LBB82_369
; %bb.368:
	v_cmp_eq_u32_e32 vcc, 1, v0
	v_cndmask_b32_e32 v21, v2, v3, vcc
	v_cmp_eq_u32_e32 vcc, 2, v0
	v_cndmask_b32_e32 v21, v21, v4, vcc
	;; [unrolled: 2-line block ×14, first 2 shown]
	v_cmp_eq_u32_e32 vcc, 15, v0
	ds_read_b32 v22, v104
	v_cndmask_b32_e32 v21, v21, v17, vcc
	v_cmp_eq_u32_e32 vcc, 16, v0
	v_cndmask_b32_e32 v21, v21, v18, vcc
	v_cmp_eq_u32_e32 vcc, 17, v0
	;; [unrolled: 2-line block ×3, first 2 shown]
	v_cndmask_b32_e32 v21, v21, v20, vcc
	s_waitcnt lgkmcnt(0)
	v_mul_f32_e32 v23, v21, v22
	s_cbranch_execz .LBB82_370
	s_branch .LBB82_371
.LBB82_369:
                                        ; implicit-def: $vgpr23
.LBB82_370:
	ds_read_b32 v23, v104
.LBB82_371:
	v_cmp_ne_u32_e32 vcc, 9, v0
	s_and_saveexec_b64 s[6:7], vcc
	s_cbranch_execz .LBB82_375
; %bb.372:
	v_mov_b32_e32 v21, 0x54
	v_lshl_add_u32 v24, v0, 2, v21
	v_mov_b32_e32 v22, v1
	s_mov_b64 s[8:9], 0
	v_mov_b32_e32 v21, v0
.LBB82_373:                             ; =>This Inner Loop Header: Depth=1
	v_add_co_u32_e32 v21, vcc, 1, v21
	v_addc_co_u32_e32 v22, vcc, 0, v22, vcc
	v_cmp_eq_u32_e32 vcc, 1, v21
	v_cndmask_b32_e32 v26, v2, v3, vcc
	v_cmp_lt_u32_e32 vcc, 8, v21
	v_cmp_eq_u32_e64 s[2:3], 2, v21
	v_cndmask_b32_e64 v26, v26, v4, s[2:3]
	s_or_b64 s[8:9], vcc, s[8:9]
	v_cmp_eq_u32_e32 vcc, 3, v21
	v_cndmask_b32_e32 v26, v26, v5, vcc
	v_cmp_eq_u32_e32 vcc, 4, v21
	v_cndmask_b32_e32 v26, v26, v6, vcc
	;; [unrolled: 2-line block ×11, first 2 shown]
	v_cmp_eq_u32_e32 vcc, 14, v21
	ds_read_b32 v25, v24
	v_cndmask_b32_e32 v26, v26, v16, vcc
	v_cmp_eq_u32_e32 vcc, 15, v21
	v_cndmask_b32_e32 v26, v26, v17, vcc
	v_cmp_eq_u32_e32 vcc, 16, v21
	;; [unrolled: 2-line block ×4, first 2 shown]
	v_cndmask_b32_e32 v26, v26, v20, vcc
	v_add_u32_e32 v24, 4, v24
	s_waitcnt lgkmcnt(0)
	v_fmac_f32_e32 v23, v26, v25
	s_andn2_b64 exec, exec, s[8:9]
	s_cbranch_execnz .LBB82_373
; %bb.374:
	s_or_b64 exec, exec, s[8:9]
.LBB82_375:
	s_or_b64 exec, exec, s[6:7]
	v_mov_b32_e32 v12, 0
	ds_read_b32 v12, v12 offset:40
	s_waitcnt lgkmcnt(0)
	v_mul_f32_e32 v12, v23, v12
.LBB82_376:
	s_or_b64 exec, exec, s[4:5]
	v_cmp_gt_u32_e32 vcc, 11, v0
	ds_write_b32 v104, v13
	s_waitcnt lgkmcnt(0)
	; wave barrier
	s_and_saveexec_b64 s[4:5], vcc
	s_cbranch_execz .LBB82_386
; %bb.377:
	s_and_b64 vcc, exec, s[0:1]
	s_cbranch_vccnz .LBB82_379
; %bb.378:
	v_cmp_eq_u32_e32 vcc, 1, v0
	v_cndmask_b32_e32 v21, v2, v3, vcc
	v_cmp_eq_u32_e32 vcc, 2, v0
	v_cndmask_b32_e32 v21, v21, v4, vcc
	;; [unrolled: 2-line block ×14, first 2 shown]
	v_cmp_eq_u32_e32 vcc, 15, v0
	ds_read_b32 v22, v104
	v_cndmask_b32_e32 v21, v21, v17, vcc
	v_cmp_eq_u32_e32 vcc, 16, v0
	v_cndmask_b32_e32 v21, v21, v18, vcc
	v_cmp_eq_u32_e32 vcc, 17, v0
	;; [unrolled: 2-line block ×3, first 2 shown]
	v_cndmask_b32_e32 v21, v21, v20, vcc
	s_waitcnt lgkmcnt(0)
	v_mul_f32_e32 v23, v21, v22
	s_cbranch_execz .LBB82_380
	s_branch .LBB82_381
.LBB82_379:
                                        ; implicit-def: $vgpr23
.LBB82_380:
	ds_read_b32 v23, v104
.LBB82_381:
	v_cmp_ne_u32_e32 vcc, 10, v0
	s_and_saveexec_b64 s[6:7], vcc
	s_cbranch_execz .LBB82_385
; %bb.382:
	v_mov_b32_e32 v21, 0x54
	v_lshl_add_u32 v24, v0, 2, v21
	v_mov_b32_e32 v22, v1
	s_mov_b64 s[8:9], 0
	v_mov_b32_e32 v21, v0
.LBB82_383:                             ; =>This Inner Loop Header: Depth=1
	v_add_co_u32_e32 v21, vcc, 1, v21
	v_addc_co_u32_e32 v22, vcc, 0, v22, vcc
	v_cmp_eq_u32_e32 vcc, 1, v21
	v_cndmask_b32_e32 v26, v2, v3, vcc
	v_cmp_lt_u32_e32 vcc, 9, v21
	v_cmp_eq_u32_e64 s[2:3], 2, v21
	v_cndmask_b32_e64 v26, v26, v4, s[2:3]
	s_or_b64 s[8:9], vcc, s[8:9]
	v_cmp_eq_u32_e32 vcc, 3, v21
	v_cndmask_b32_e32 v26, v26, v5, vcc
	v_cmp_eq_u32_e32 vcc, 4, v21
	v_cndmask_b32_e32 v26, v26, v6, vcc
	;; [unrolled: 2-line block ×11, first 2 shown]
	v_cmp_eq_u32_e32 vcc, 14, v21
	ds_read_b32 v25, v24
	v_cndmask_b32_e32 v26, v26, v16, vcc
	v_cmp_eq_u32_e32 vcc, 15, v21
	v_cndmask_b32_e32 v26, v26, v17, vcc
	v_cmp_eq_u32_e32 vcc, 16, v21
	;; [unrolled: 2-line block ×4, first 2 shown]
	v_cndmask_b32_e32 v26, v26, v20, vcc
	v_add_u32_e32 v24, 4, v24
	s_waitcnt lgkmcnt(0)
	v_fmac_f32_e32 v23, v26, v25
	s_andn2_b64 exec, exec, s[8:9]
	s_cbranch_execnz .LBB82_383
; %bb.384:
	s_or_b64 exec, exec, s[8:9]
.LBB82_385:
	s_or_b64 exec, exec, s[6:7]
	v_mov_b32_e32 v13, 0
	ds_read_b32 v13, v13 offset:44
	s_waitcnt lgkmcnt(0)
	v_mul_f32_e32 v13, v23, v13
.LBB82_386:
	s_or_b64 exec, exec, s[4:5]
	v_cmp_gt_u32_e32 vcc, 12, v0
	ds_write_b32 v104, v14
	s_waitcnt lgkmcnt(0)
	; wave barrier
	s_and_saveexec_b64 s[4:5], vcc
	s_cbranch_execz .LBB82_396
; %bb.387:
	s_and_b64 vcc, exec, s[0:1]
	s_cbranch_vccnz .LBB82_389
; %bb.388:
	v_cmp_eq_u32_e32 vcc, 1, v0
	v_cndmask_b32_e32 v21, v2, v3, vcc
	v_cmp_eq_u32_e32 vcc, 2, v0
	v_cndmask_b32_e32 v21, v21, v4, vcc
	;; [unrolled: 2-line block ×14, first 2 shown]
	v_cmp_eq_u32_e32 vcc, 15, v0
	ds_read_b32 v22, v104
	v_cndmask_b32_e32 v21, v21, v17, vcc
	v_cmp_eq_u32_e32 vcc, 16, v0
	v_cndmask_b32_e32 v21, v21, v18, vcc
	v_cmp_eq_u32_e32 vcc, 17, v0
	;; [unrolled: 2-line block ×3, first 2 shown]
	v_cndmask_b32_e32 v21, v21, v20, vcc
	s_waitcnt lgkmcnt(0)
	v_mul_f32_e32 v23, v21, v22
	s_cbranch_execz .LBB82_390
	s_branch .LBB82_391
.LBB82_389:
                                        ; implicit-def: $vgpr23
.LBB82_390:
	ds_read_b32 v23, v104
.LBB82_391:
	v_cmp_ne_u32_e32 vcc, 11, v0
	s_and_saveexec_b64 s[6:7], vcc
	s_cbranch_execz .LBB82_395
; %bb.392:
	v_mov_b32_e32 v21, 0x54
	v_lshl_add_u32 v24, v0, 2, v21
	v_mov_b32_e32 v22, v1
	s_mov_b64 s[8:9], 0
	v_mov_b32_e32 v21, v0
.LBB82_393:                             ; =>This Inner Loop Header: Depth=1
	v_add_co_u32_e32 v21, vcc, 1, v21
	v_addc_co_u32_e32 v22, vcc, 0, v22, vcc
	v_cmp_eq_u32_e32 vcc, 1, v21
	v_cndmask_b32_e32 v26, v2, v3, vcc
	v_cmp_lt_u32_e32 vcc, 10, v21
	v_cmp_eq_u32_e64 s[2:3], 2, v21
	v_cndmask_b32_e64 v26, v26, v4, s[2:3]
	s_or_b64 s[8:9], vcc, s[8:9]
	v_cmp_eq_u32_e32 vcc, 3, v21
	v_cndmask_b32_e32 v26, v26, v5, vcc
	v_cmp_eq_u32_e32 vcc, 4, v21
	v_cndmask_b32_e32 v26, v26, v6, vcc
	;; [unrolled: 2-line block ×11, first 2 shown]
	v_cmp_eq_u32_e32 vcc, 14, v21
	ds_read_b32 v25, v24
	v_cndmask_b32_e32 v26, v26, v16, vcc
	v_cmp_eq_u32_e32 vcc, 15, v21
	v_cndmask_b32_e32 v26, v26, v17, vcc
	v_cmp_eq_u32_e32 vcc, 16, v21
	;; [unrolled: 2-line block ×4, first 2 shown]
	v_cndmask_b32_e32 v26, v26, v20, vcc
	v_add_u32_e32 v24, 4, v24
	s_waitcnt lgkmcnt(0)
	v_fmac_f32_e32 v23, v26, v25
	s_andn2_b64 exec, exec, s[8:9]
	s_cbranch_execnz .LBB82_393
; %bb.394:
	s_or_b64 exec, exec, s[8:9]
.LBB82_395:
	s_or_b64 exec, exec, s[6:7]
	v_mov_b32_e32 v14, 0
	ds_read_b32 v14, v14 offset:48
	s_waitcnt lgkmcnt(0)
	v_mul_f32_e32 v14, v23, v14
.LBB82_396:
	s_or_b64 exec, exec, s[4:5]
	v_cmp_gt_u32_e32 vcc, 13, v0
	ds_write_b32 v104, v15
	s_waitcnt lgkmcnt(0)
	; wave barrier
	s_and_saveexec_b64 s[4:5], vcc
	s_cbranch_execz .LBB82_406
; %bb.397:
	s_and_b64 vcc, exec, s[0:1]
	s_cbranch_vccnz .LBB82_399
; %bb.398:
	v_cmp_eq_u32_e32 vcc, 1, v0
	v_cndmask_b32_e32 v21, v2, v3, vcc
	v_cmp_eq_u32_e32 vcc, 2, v0
	v_cndmask_b32_e32 v21, v21, v4, vcc
	v_cmp_eq_u32_e32 vcc, 3, v0
	v_cndmask_b32_e32 v21, v21, v5, vcc
	v_cmp_eq_u32_e32 vcc, 4, v0
	v_cndmask_b32_e32 v21, v21, v6, vcc
	v_cmp_eq_u32_e32 vcc, 5, v0
	v_cndmask_b32_e32 v21, v21, v7, vcc
	v_cmp_eq_u32_e32 vcc, 6, v0
	v_cndmask_b32_e32 v21, v21, v8, vcc
	v_cmp_eq_u32_e32 vcc, 7, v0
	v_cndmask_b32_e32 v21, v21, v9, vcc
	v_cmp_eq_u32_e32 vcc, 8, v0
	v_cndmask_b32_e32 v21, v21, v10, vcc
	v_cmp_eq_u32_e32 vcc, 9, v0
	v_cndmask_b32_e32 v21, v21, v11, vcc
	v_cmp_eq_u32_e32 vcc, 10, v0
	v_cndmask_b32_e32 v21, v21, v12, vcc
	v_cmp_eq_u32_e32 vcc, 11, v0
	v_cndmask_b32_e32 v21, v21, v13, vcc
	v_cmp_eq_u32_e32 vcc, 12, v0
	v_cndmask_b32_e32 v21, v21, v14, vcc
	v_cmp_eq_u32_e32 vcc, 13, v0
	v_cndmask_b32_e32 v21, v21, v15, vcc
	v_cmp_eq_u32_e32 vcc, 14, v0
	v_cndmask_b32_e32 v21, v21, v16, vcc
	v_cmp_eq_u32_e32 vcc, 15, v0
	ds_read_b32 v22, v104
	v_cndmask_b32_e32 v21, v21, v17, vcc
	v_cmp_eq_u32_e32 vcc, 16, v0
	v_cndmask_b32_e32 v21, v21, v18, vcc
	v_cmp_eq_u32_e32 vcc, 17, v0
	;; [unrolled: 2-line block ×3, first 2 shown]
	v_cndmask_b32_e32 v21, v21, v20, vcc
	s_waitcnt lgkmcnt(0)
	v_mul_f32_e32 v23, v21, v22
	s_cbranch_execz .LBB82_400
	s_branch .LBB82_401
.LBB82_399:
                                        ; implicit-def: $vgpr23
.LBB82_400:
	ds_read_b32 v23, v104
.LBB82_401:
	v_cmp_ne_u32_e32 vcc, 12, v0
	s_and_saveexec_b64 s[6:7], vcc
	s_cbranch_execz .LBB82_405
; %bb.402:
	v_mov_b32_e32 v21, 0x54
	v_lshl_add_u32 v24, v0, 2, v21
	v_mov_b32_e32 v22, v1
	s_mov_b64 s[8:9], 0
	v_mov_b32_e32 v21, v0
.LBB82_403:                             ; =>This Inner Loop Header: Depth=1
	v_add_co_u32_e32 v21, vcc, 1, v21
	v_addc_co_u32_e32 v22, vcc, 0, v22, vcc
	v_cmp_eq_u32_e32 vcc, 1, v21
	v_cndmask_b32_e32 v26, v2, v3, vcc
	v_cmp_lt_u32_e32 vcc, 11, v21
	v_cmp_eq_u32_e64 s[2:3], 2, v21
	v_cndmask_b32_e64 v26, v26, v4, s[2:3]
	s_or_b64 s[8:9], vcc, s[8:9]
	v_cmp_eq_u32_e32 vcc, 3, v21
	v_cndmask_b32_e32 v26, v26, v5, vcc
	v_cmp_eq_u32_e32 vcc, 4, v21
	v_cndmask_b32_e32 v26, v26, v6, vcc
	;; [unrolled: 2-line block ×11, first 2 shown]
	v_cmp_eq_u32_e32 vcc, 14, v21
	ds_read_b32 v25, v24
	v_cndmask_b32_e32 v26, v26, v16, vcc
	v_cmp_eq_u32_e32 vcc, 15, v21
	v_cndmask_b32_e32 v26, v26, v17, vcc
	v_cmp_eq_u32_e32 vcc, 16, v21
	;; [unrolled: 2-line block ×4, first 2 shown]
	v_cndmask_b32_e32 v26, v26, v20, vcc
	v_add_u32_e32 v24, 4, v24
	s_waitcnt lgkmcnt(0)
	v_fmac_f32_e32 v23, v26, v25
	s_andn2_b64 exec, exec, s[8:9]
	s_cbranch_execnz .LBB82_403
; %bb.404:
	s_or_b64 exec, exec, s[8:9]
.LBB82_405:
	s_or_b64 exec, exec, s[6:7]
	v_mov_b32_e32 v15, 0
	ds_read_b32 v15, v15 offset:52
	s_waitcnt lgkmcnt(0)
	v_mul_f32_e32 v15, v23, v15
.LBB82_406:
	s_or_b64 exec, exec, s[4:5]
	v_cmp_gt_u32_e32 vcc, 14, v0
	ds_write_b32 v104, v16
	s_waitcnt lgkmcnt(0)
	; wave barrier
	s_and_saveexec_b64 s[4:5], vcc
	s_cbranch_execz .LBB82_416
; %bb.407:
	s_and_b64 vcc, exec, s[0:1]
	s_cbranch_vccnz .LBB82_409
; %bb.408:
	v_cmp_eq_u32_e32 vcc, 1, v0
	v_cndmask_b32_e32 v21, v2, v3, vcc
	v_cmp_eq_u32_e32 vcc, 2, v0
	v_cndmask_b32_e32 v21, v21, v4, vcc
	;; [unrolled: 2-line block ×14, first 2 shown]
	v_cmp_eq_u32_e32 vcc, 15, v0
	ds_read_b32 v22, v104
	v_cndmask_b32_e32 v21, v21, v17, vcc
	v_cmp_eq_u32_e32 vcc, 16, v0
	v_cndmask_b32_e32 v21, v21, v18, vcc
	v_cmp_eq_u32_e32 vcc, 17, v0
	;; [unrolled: 2-line block ×3, first 2 shown]
	v_cndmask_b32_e32 v21, v21, v20, vcc
	s_waitcnt lgkmcnt(0)
	v_mul_f32_e32 v23, v21, v22
	s_cbranch_execz .LBB82_410
	s_branch .LBB82_411
.LBB82_409:
                                        ; implicit-def: $vgpr23
.LBB82_410:
	ds_read_b32 v23, v104
.LBB82_411:
	v_cmp_ne_u32_e32 vcc, 13, v0
	s_and_saveexec_b64 s[6:7], vcc
	s_cbranch_execz .LBB82_415
; %bb.412:
	v_mov_b32_e32 v21, 0x54
	v_lshl_add_u32 v24, v0, 2, v21
	v_mov_b32_e32 v22, v1
	s_mov_b64 s[8:9], 0
	v_mov_b32_e32 v21, v0
.LBB82_413:                             ; =>This Inner Loop Header: Depth=1
	v_add_co_u32_e32 v21, vcc, 1, v21
	v_addc_co_u32_e32 v22, vcc, 0, v22, vcc
	v_cmp_eq_u32_e32 vcc, 1, v21
	v_cndmask_b32_e32 v26, v2, v3, vcc
	v_cmp_lt_u32_e32 vcc, 12, v21
	v_cmp_eq_u32_e64 s[2:3], 2, v21
	v_cndmask_b32_e64 v26, v26, v4, s[2:3]
	s_or_b64 s[8:9], vcc, s[8:9]
	v_cmp_eq_u32_e32 vcc, 3, v21
	v_cndmask_b32_e32 v26, v26, v5, vcc
	v_cmp_eq_u32_e32 vcc, 4, v21
	v_cndmask_b32_e32 v26, v26, v6, vcc
	v_cmp_eq_u32_e32 vcc, 5, v21
	v_cndmask_b32_e32 v26, v26, v7, vcc
	v_cmp_eq_u32_e32 vcc, 6, v21
	v_cndmask_b32_e32 v26, v26, v8, vcc
	v_cmp_eq_u32_e32 vcc, 7, v21
	v_cndmask_b32_e32 v26, v26, v9, vcc
	v_cmp_eq_u32_e32 vcc, 8, v21
	v_cndmask_b32_e32 v26, v26, v10, vcc
	v_cmp_eq_u32_e32 vcc, 9, v21
	v_cndmask_b32_e32 v26, v26, v11, vcc
	v_cmp_eq_u32_e32 vcc, 10, v21
	v_cndmask_b32_e32 v26, v26, v12, vcc
	v_cmp_eq_u32_e32 vcc, 11, v21
	v_cndmask_b32_e32 v26, v26, v13, vcc
	v_cmp_eq_u32_e32 vcc, 12, v21
	v_cndmask_b32_e32 v26, v26, v14, vcc
	v_cmp_eq_u32_e32 vcc, 13, v21
	v_cndmask_b32_e32 v26, v26, v15, vcc
	v_cmp_eq_u32_e32 vcc, 14, v21
	ds_read_b32 v25, v24
	v_cndmask_b32_e32 v26, v26, v16, vcc
	v_cmp_eq_u32_e32 vcc, 15, v21
	v_cndmask_b32_e32 v26, v26, v17, vcc
	v_cmp_eq_u32_e32 vcc, 16, v21
	;; [unrolled: 2-line block ×4, first 2 shown]
	v_cndmask_b32_e32 v26, v26, v20, vcc
	v_add_u32_e32 v24, 4, v24
	s_waitcnt lgkmcnt(0)
	v_fmac_f32_e32 v23, v26, v25
	s_andn2_b64 exec, exec, s[8:9]
	s_cbranch_execnz .LBB82_413
; %bb.414:
	s_or_b64 exec, exec, s[8:9]
.LBB82_415:
	s_or_b64 exec, exec, s[6:7]
	v_mov_b32_e32 v16, 0
	ds_read_b32 v16, v16 offset:56
	s_waitcnt lgkmcnt(0)
	v_mul_f32_e32 v16, v23, v16
.LBB82_416:
	s_or_b64 exec, exec, s[4:5]
	v_cmp_gt_u32_e32 vcc, 15, v0
	ds_write_b32 v104, v17
	s_waitcnt lgkmcnt(0)
	; wave barrier
	s_and_saveexec_b64 s[4:5], vcc
	s_cbranch_execz .LBB82_426
; %bb.417:
	s_and_b64 vcc, exec, s[0:1]
	s_cbranch_vccnz .LBB82_419
; %bb.418:
	v_cmp_eq_u32_e32 vcc, 1, v0
	v_cndmask_b32_e32 v21, v2, v3, vcc
	v_cmp_eq_u32_e32 vcc, 2, v0
	v_cndmask_b32_e32 v21, v21, v4, vcc
	;; [unrolled: 2-line block ×14, first 2 shown]
	v_cmp_eq_u32_e32 vcc, 15, v0
	ds_read_b32 v22, v104
	v_cndmask_b32_e32 v21, v21, v17, vcc
	v_cmp_eq_u32_e32 vcc, 16, v0
	v_cndmask_b32_e32 v21, v21, v18, vcc
	v_cmp_eq_u32_e32 vcc, 17, v0
	;; [unrolled: 2-line block ×3, first 2 shown]
	v_cndmask_b32_e32 v21, v21, v20, vcc
	s_waitcnt lgkmcnt(0)
	v_mul_f32_e32 v23, v21, v22
	s_cbranch_execz .LBB82_420
	s_branch .LBB82_421
.LBB82_419:
                                        ; implicit-def: $vgpr23
.LBB82_420:
	ds_read_b32 v23, v104
.LBB82_421:
	v_cmp_ne_u32_e32 vcc, 14, v0
	s_and_saveexec_b64 s[6:7], vcc
	s_cbranch_execz .LBB82_425
; %bb.422:
	v_mov_b32_e32 v21, 0x54
	v_lshl_add_u32 v24, v0, 2, v21
	v_mov_b32_e32 v22, v1
	s_mov_b64 s[8:9], 0
	v_mov_b32_e32 v21, v0
.LBB82_423:                             ; =>This Inner Loop Header: Depth=1
	v_add_co_u32_e32 v21, vcc, 1, v21
	v_addc_co_u32_e32 v22, vcc, 0, v22, vcc
	v_cmp_eq_u32_e32 vcc, 1, v21
	v_cndmask_b32_e32 v26, v2, v3, vcc
	v_cmp_lt_u32_e32 vcc, 13, v21
	v_cmp_eq_u32_e64 s[2:3], 2, v21
	v_cndmask_b32_e64 v26, v26, v4, s[2:3]
	s_or_b64 s[8:9], vcc, s[8:9]
	v_cmp_eq_u32_e32 vcc, 3, v21
	v_cndmask_b32_e32 v26, v26, v5, vcc
	v_cmp_eq_u32_e32 vcc, 4, v21
	v_cndmask_b32_e32 v26, v26, v6, vcc
	;; [unrolled: 2-line block ×11, first 2 shown]
	v_cmp_eq_u32_e32 vcc, 14, v21
	ds_read_b32 v25, v24
	v_cndmask_b32_e32 v26, v26, v16, vcc
	v_cmp_eq_u32_e32 vcc, 15, v21
	v_cndmask_b32_e32 v26, v26, v17, vcc
	v_cmp_eq_u32_e32 vcc, 16, v21
	;; [unrolled: 2-line block ×4, first 2 shown]
	v_cndmask_b32_e32 v26, v26, v20, vcc
	v_add_u32_e32 v24, 4, v24
	s_waitcnt lgkmcnt(0)
	v_fmac_f32_e32 v23, v26, v25
	s_andn2_b64 exec, exec, s[8:9]
	s_cbranch_execnz .LBB82_423
; %bb.424:
	s_or_b64 exec, exec, s[8:9]
.LBB82_425:
	s_or_b64 exec, exec, s[6:7]
	v_mov_b32_e32 v17, 0
	ds_read_b32 v17, v17 offset:60
	s_waitcnt lgkmcnt(0)
	v_mul_f32_e32 v17, v23, v17
.LBB82_426:
	s_or_b64 exec, exec, s[4:5]
	v_cmp_gt_u32_e32 vcc, 16, v0
	ds_write_b32 v104, v18
	s_waitcnt lgkmcnt(0)
	; wave barrier
	s_and_saveexec_b64 s[4:5], vcc
	s_cbranch_execz .LBB82_436
; %bb.427:
	s_and_b64 vcc, exec, s[0:1]
	s_cbranch_vccnz .LBB82_429
; %bb.428:
	v_cmp_eq_u32_e32 vcc, 1, v0
	v_cndmask_b32_e32 v21, v2, v3, vcc
	v_cmp_eq_u32_e32 vcc, 2, v0
	v_cndmask_b32_e32 v21, v21, v4, vcc
	;; [unrolled: 2-line block ×14, first 2 shown]
	v_cmp_eq_u32_e32 vcc, 15, v0
	ds_read_b32 v22, v104
	v_cndmask_b32_e32 v21, v21, v17, vcc
	v_cmp_eq_u32_e32 vcc, 16, v0
	v_cndmask_b32_e32 v21, v21, v18, vcc
	v_cmp_eq_u32_e32 vcc, 17, v0
	;; [unrolled: 2-line block ×3, first 2 shown]
	v_cndmask_b32_e32 v21, v21, v20, vcc
	s_waitcnt lgkmcnt(0)
	v_mul_f32_e32 v23, v21, v22
	s_cbranch_execz .LBB82_430
	s_branch .LBB82_431
.LBB82_429:
                                        ; implicit-def: $vgpr23
.LBB82_430:
	ds_read_b32 v23, v104
.LBB82_431:
	v_cmp_ne_u32_e32 vcc, 15, v0
	s_and_saveexec_b64 s[6:7], vcc
	s_cbranch_execz .LBB82_435
; %bb.432:
	v_mov_b32_e32 v21, 0x54
	v_lshl_add_u32 v24, v0, 2, v21
	v_mov_b32_e32 v22, v1
	s_mov_b64 s[8:9], 0
	v_mov_b32_e32 v21, v0
.LBB82_433:                             ; =>This Inner Loop Header: Depth=1
	v_add_co_u32_e32 v21, vcc, 1, v21
	v_addc_co_u32_e32 v22, vcc, 0, v22, vcc
	v_cmp_eq_u32_e32 vcc, 1, v21
	v_cndmask_b32_e32 v26, v2, v3, vcc
	v_cmp_lt_u32_e32 vcc, 14, v21
	v_cmp_eq_u32_e64 s[2:3], 2, v21
	v_cndmask_b32_e64 v26, v26, v4, s[2:3]
	s_or_b64 s[8:9], vcc, s[8:9]
	v_cmp_eq_u32_e32 vcc, 3, v21
	v_cndmask_b32_e32 v26, v26, v5, vcc
	v_cmp_eq_u32_e32 vcc, 4, v21
	v_cndmask_b32_e32 v26, v26, v6, vcc
	;; [unrolled: 2-line block ×11, first 2 shown]
	v_cmp_eq_u32_e32 vcc, 14, v21
	ds_read_b32 v25, v24
	v_cndmask_b32_e32 v26, v26, v16, vcc
	v_cmp_eq_u32_e32 vcc, 15, v21
	v_cndmask_b32_e32 v26, v26, v17, vcc
	v_cmp_eq_u32_e32 vcc, 16, v21
	;; [unrolled: 2-line block ×4, first 2 shown]
	v_cndmask_b32_e32 v26, v26, v20, vcc
	v_add_u32_e32 v24, 4, v24
	s_waitcnt lgkmcnt(0)
	v_fmac_f32_e32 v23, v26, v25
	s_andn2_b64 exec, exec, s[8:9]
	s_cbranch_execnz .LBB82_433
; %bb.434:
	s_or_b64 exec, exec, s[8:9]
.LBB82_435:
	s_or_b64 exec, exec, s[6:7]
	v_mov_b32_e32 v18, 0
	ds_read_b32 v18, v18 offset:64
	s_waitcnt lgkmcnt(0)
	v_mul_f32_e32 v18, v23, v18
.LBB82_436:
	s_or_b64 exec, exec, s[4:5]
	v_cmp_gt_u32_e64 s[2:3], 17, v0
	ds_write_b32 v104, v19
	s_waitcnt lgkmcnt(0)
	; wave barrier
	s_and_saveexec_b64 s[6:7], s[2:3]
	s_cbranch_execz .LBB82_446
; %bb.437:
	s_and_b64 vcc, exec, s[0:1]
	s_cbranch_vccnz .LBB82_439
; %bb.438:
	v_cmp_eq_u32_e32 vcc, 1, v0
	v_cndmask_b32_e32 v21, v2, v3, vcc
	v_cmp_eq_u32_e32 vcc, 2, v0
	v_cndmask_b32_e32 v21, v21, v4, vcc
	;; [unrolled: 2-line block ×14, first 2 shown]
	v_cmp_eq_u32_e32 vcc, 15, v0
	ds_read_b32 v22, v104
	v_cndmask_b32_e32 v21, v21, v17, vcc
	v_cmp_eq_u32_e32 vcc, 16, v0
	v_cndmask_b32_e32 v21, v21, v18, vcc
	v_cmp_eq_u32_e32 vcc, 17, v0
	;; [unrolled: 2-line block ×3, first 2 shown]
	v_cndmask_b32_e32 v21, v21, v20, vcc
	s_waitcnt lgkmcnt(0)
	v_mul_f32_e32 v23, v21, v22
	s_cbranch_execz .LBB82_440
	s_branch .LBB82_441
.LBB82_439:
                                        ; implicit-def: $vgpr23
.LBB82_440:
	ds_read_b32 v23, v104
.LBB82_441:
	v_cmp_ne_u32_e32 vcc, 16, v0
	s_and_saveexec_b64 s[8:9], vcc
	s_cbranch_execz .LBB82_445
; %bb.442:
	v_mov_b32_e32 v21, 0x54
	v_lshl_add_u32 v24, v0, 2, v21
	v_mov_b32_e32 v22, v1
	s_mov_b64 s[10:11], 0
	v_mov_b32_e32 v21, v0
.LBB82_443:                             ; =>This Inner Loop Header: Depth=1
	v_add_co_u32_e32 v21, vcc, 1, v21
	v_addc_co_u32_e32 v22, vcc, 0, v22, vcc
	v_cmp_eq_u32_e32 vcc, 1, v21
	v_cndmask_b32_e32 v26, v2, v3, vcc
	v_cmp_lt_u32_e32 vcc, 15, v21
	v_cmp_eq_u32_e64 s[4:5], 2, v21
	v_cndmask_b32_e64 v26, v26, v4, s[4:5]
	s_or_b64 s[10:11], vcc, s[10:11]
	v_cmp_eq_u32_e32 vcc, 3, v21
	v_cndmask_b32_e32 v26, v26, v5, vcc
	v_cmp_eq_u32_e32 vcc, 4, v21
	v_cndmask_b32_e32 v26, v26, v6, vcc
	;; [unrolled: 2-line block ×11, first 2 shown]
	v_cmp_eq_u32_e32 vcc, 14, v21
	ds_read_b32 v25, v24
	v_cndmask_b32_e32 v26, v26, v16, vcc
	v_cmp_eq_u32_e32 vcc, 15, v21
	v_cndmask_b32_e32 v26, v26, v17, vcc
	v_cmp_eq_u32_e32 vcc, 16, v21
	;; [unrolled: 2-line block ×4, first 2 shown]
	v_cndmask_b32_e32 v26, v26, v20, vcc
	v_add_u32_e32 v24, 4, v24
	s_waitcnt lgkmcnt(0)
	v_fmac_f32_e32 v23, v26, v25
	s_andn2_b64 exec, exec, s[10:11]
	s_cbranch_execnz .LBB82_443
; %bb.444:
	s_or_b64 exec, exec, s[10:11]
.LBB82_445:
	s_or_b64 exec, exec, s[8:9]
	v_mov_b32_e32 v19, 0
	ds_read_b32 v19, v19 offset:68
	s_waitcnt lgkmcnt(0)
	v_mul_f32_e32 v19, v23, v19
.LBB82_446:
	s_or_b64 exec, exec, s[6:7]
	v_cmp_ne_u32_e32 vcc, 18, v0
	ds_write_b32 v104, v20
	s_waitcnt lgkmcnt(0)
	; wave barrier
	s_and_saveexec_b64 s[4:5], vcc
	s_cbranch_execz .LBB82_456
; %bb.447:
	s_and_b64 vcc, exec, s[0:1]
	s_cbranch_vccnz .LBB82_449
; %bb.448:
	v_cmp_eq_u32_e32 vcc, 1, v0
	v_cndmask_b32_e32 v21, v2, v3, vcc
	v_cmp_eq_u32_e32 vcc, 2, v0
	v_cndmask_b32_e32 v21, v21, v4, vcc
	;; [unrolled: 2-line block ×14, first 2 shown]
	v_cmp_eq_u32_e32 vcc, 15, v0
	ds_read_b32 v22, v104
	v_cndmask_b32_e32 v21, v21, v17, vcc
	v_cmp_eq_u32_e32 vcc, 16, v0
	v_cndmask_b32_e32 v21, v21, v18, vcc
	v_cmp_eq_u32_e32 vcc, 17, v0
	;; [unrolled: 2-line block ×3, first 2 shown]
	v_cndmask_b32_e32 v21, v21, v20, vcc
	s_waitcnt lgkmcnt(0)
	v_mul_f32_e32 v21, v21, v22
	s_cbranch_execz .LBB82_450
	s_branch .LBB82_451
.LBB82_449:
                                        ; implicit-def: $vgpr21
.LBB82_450:
	ds_read_b32 v21, v104
.LBB82_451:
	s_and_saveexec_b64 s[6:7], s[2:3]
	s_cbranch_execz .LBB82_455
; %bb.452:
	v_mov_b32_e32 v22, 0x54
	v_lshl_add_u32 v22, v0, 2, v22
	s_mov_b64 s[2:3], 0
.LBB82_453:                             ; =>This Inner Loop Header: Depth=1
	v_add_co_u32_e32 v0, vcc, 1, v0
	v_addc_co_u32_e32 v1, vcc, 0, v1, vcc
	v_cmp_eq_u32_e32 vcc, 1, v0
	v_cndmask_b32_e32 v24, v2, v3, vcc
	v_cmp_lt_u32_e32 vcc, 16, v0
	v_cmp_eq_u32_e64 s[0:1], 2, v0
	v_cndmask_b32_e64 v24, v24, v4, s[0:1]
	s_or_b64 s[2:3], vcc, s[2:3]
	v_cmp_eq_u32_e32 vcc, 3, v0
	v_cndmask_b32_e32 v24, v24, v5, vcc
	v_cmp_eq_u32_e32 vcc, 4, v0
	v_cndmask_b32_e32 v24, v24, v6, vcc
	;; [unrolled: 2-line block ×11, first 2 shown]
	v_cmp_eq_u32_e32 vcc, 14, v0
	ds_read_b32 v23, v22
	v_cndmask_b32_e32 v24, v24, v16, vcc
	v_cmp_eq_u32_e32 vcc, 15, v0
	v_cndmask_b32_e32 v24, v24, v17, vcc
	v_cmp_eq_u32_e32 vcc, 16, v0
	;; [unrolled: 2-line block ×4, first 2 shown]
	v_cndmask_b32_e32 v24, v24, v20, vcc
	v_add_u32_e32 v22, 4, v22
	s_waitcnt lgkmcnt(0)
	v_fmac_f32_e32 v21, v24, v23
	s_andn2_b64 exec, exec, s[2:3]
	s_cbranch_execnz .LBB82_453
; %bb.454:
	s_or_b64 exec, exec, s[2:3]
.LBB82_455:
	s_or_b64 exec, exec, s[6:7]
	v_mov_b32_e32 v0, 0
	ds_read_b32 v0, v0 offset:72
	s_waitcnt lgkmcnt(0)
	v_mul_f32_e32 v20, v21, v0
.LBB82_456:
	s_or_b64 exec, exec, s[4:5]
	v_mov_b32_e32 v65, v33
	v_mov_b32_e32 v64, v32
	;; [unrolled: 1-line block ×32, first 2 shown]
.LBB82_457:
	flat_store_dword v[100:101], v34
	flat_store_dword v[102:103], v35
	;; [unrolled: 1-line block ×19, first 2 shown]
.LBB82_458:
	s_endpgm
	.section	.rodata,"a",@progbits
	.p2align	6, 0x0
	.amdhsa_kernel _ZN9rocsolver6v33100L18trti2_kernel_smallILi19EfPKPfEEv13rocblas_fill_17rocblas_diagonal_T1_iil
		.amdhsa_group_segment_fixed_size 156
		.amdhsa_private_segment_fixed_size 0
		.amdhsa_kernarg_size 32
		.amdhsa_user_sgpr_count 6
		.amdhsa_user_sgpr_private_segment_buffer 1
		.amdhsa_user_sgpr_dispatch_ptr 0
		.amdhsa_user_sgpr_queue_ptr 0
		.amdhsa_user_sgpr_kernarg_segment_ptr 1
		.amdhsa_user_sgpr_dispatch_id 0
		.amdhsa_user_sgpr_flat_scratch_init 0
		.amdhsa_user_sgpr_private_segment_size 0
		.amdhsa_uses_dynamic_stack 0
		.amdhsa_system_sgpr_private_segment_wavefront_offset 0
		.amdhsa_system_sgpr_workgroup_id_x 1
		.amdhsa_system_sgpr_workgroup_id_y 0
		.amdhsa_system_sgpr_workgroup_id_z 0
		.amdhsa_system_sgpr_workgroup_info 0
		.amdhsa_system_vgpr_workitem_id 0
		.amdhsa_next_free_vgpr 122
		.amdhsa_next_free_sgpr 46
		.amdhsa_reserve_vcc 1
		.amdhsa_reserve_flat_scratch 0
		.amdhsa_float_round_mode_32 0
		.amdhsa_float_round_mode_16_64 0
		.amdhsa_float_denorm_mode_32 3
		.amdhsa_float_denorm_mode_16_64 3
		.amdhsa_dx10_clamp 1
		.amdhsa_ieee_mode 1
		.amdhsa_fp16_overflow 0
		.amdhsa_exception_fp_ieee_invalid_op 0
		.amdhsa_exception_fp_denorm_src 0
		.amdhsa_exception_fp_ieee_div_zero 0
		.amdhsa_exception_fp_ieee_overflow 0
		.amdhsa_exception_fp_ieee_underflow 0
		.amdhsa_exception_fp_ieee_inexact 0
		.amdhsa_exception_int_div_zero 0
	.end_amdhsa_kernel
	.section	.text._ZN9rocsolver6v33100L18trti2_kernel_smallILi19EfPKPfEEv13rocblas_fill_17rocblas_diagonal_T1_iil,"axG",@progbits,_ZN9rocsolver6v33100L18trti2_kernel_smallILi19EfPKPfEEv13rocblas_fill_17rocblas_diagonal_T1_iil,comdat
.Lfunc_end82:
	.size	_ZN9rocsolver6v33100L18trti2_kernel_smallILi19EfPKPfEEv13rocblas_fill_17rocblas_diagonal_T1_iil, .Lfunc_end82-_ZN9rocsolver6v33100L18trti2_kernel_smallILi19EfPKPfEEv13rocblas_fill_17rocblas_diagonal_T1_iil
                                        ; -- End function
	.set _ZN9rocsolver6v33100L18trti2_kernel_smallILi19EfPKPfEEv13rocblas_fill_17rocblas_diagonal_T1_iil.num_vgpr, 122
	.set _ZN9rocsolver6v33100L18trti2_kernel_smallILi19EfPKPfEEv13rocblas_fill_17rocblas_diagonal_T1_iil.num_agpr, 0
	.set _ZN9rocsolver6v33100L18trti2_kernel_smallILi19EfPKPfEEv13rocblas_fill_17rocblas_diagonal_T1_iil.numbered_sgpr, 46
	.set _ZN9rocsolver6v33100L18trti2_kernel_smallILi19EfPKPfEEv13rocblas_fill_17rocblas_diagonal_T1_iil.num_named_barrier, 0
	.set _ZN9rocsolver6v33100L18trti2_kernel_smallILi19EfPKPfEEv13rocblas_fill_17rocblas_diagonal_T1_iil.private_seg_size, 0
	.set _ZN9rocsolver6v33100L18trti2_kernel_smallILi19EfPKPfEEv13rocblas_fill_17rocblas_diagonal_T1_iil.uses_vcc, 1
	.set _ZN9rocsolver6v33100L18trti2_kernel_smallILi19EfPKPfEEv13rocblas_fill_17rocblas_diagonal_T1_iil.uses_flat_scratch, 0
	.set _ZN9rocsolver6v33100L18trti2_kernel_smallILi19EfPKPfEEv13rocblas_fill_17rocblas_diagonal_T1_iil.has_dyn_sized_stack, 0
	.set _ZN9rocsolver6v33100L18trti2_kernel_smallILi19EfPKPfEEv13rocblas_fill_17rocblas_diagonal_T1_iil.has_recursion, 0
	.set _ZN9rocsolver6v33100L18trti2_kernel_smallILi19EfPKPfEEv13rocblas_fill_17rocblas_diagonal_T1_iil.has_indirect_call, 0
	.section	.AMDGPU.csdata,"",@progbits
; Kernel info:
; codeLenInByte = 24040
; TotalNumSgprs: 50
; NumVgprs: 122
; ScratchSize: 0
; MemoryBound: 0
; FloatMode: 240
; IeeeMode: 1
; LDSByteSize: 156 bytes/workgroup (compile time only)
; SGPRBlocks: 6
; VGPRBlocks: 30
; NumSGPRsForWavesPerEU: 50
; NumVGPRsForWavesPerEU: 122
; Occupancy: 2
; WaveLimiterHint : 1
; COMPUTE_PGM_RSRC2:SCRATCH_EN: 0
; COMPUTE_PGM_RSRC2:USER_SGPR: 6
; COMPUTE_PGM_RSRC2:TRAP_HANDLER: 0
; COMPUTE_PGM_RSRC2:TGID_X_EN: 1
; COMPUTE_PGM_RSRC2:TGID_Y_EN: 0
; COMPUTE_PGM_RSRC2:TGID_Z_EN: 0
; COMPUTE_PGM_RSRC2:TIDIG_COMP_CNT: 0
	.section	.text._ZN9rocsolver6v33100L18trti2_kernel_smallILi20EfPKPfEEv13rocblas_fill_17rocblas_diagonal_T1_iil,"axG",@progbits,_ZN9rocsolver6v33100L18trti2_kernel_smallILi20EfPKPfEEv13rocblas_fill_17rocblas_diagonal_T1_iil,comdat
	.globl	_ZN9rocsolver6v33100L18trti2_kernel_smallILi20EfPKPfEEv13rocblas_fill_17rocblas_diagonal_T1_iil ; -- Begin function _ZN9rocsolver6v33100L18trti2_kernel_smallILi20EfPKPfEEv13rocblas_fill_17rocblas_diagonal_T1_iil
	.p2align	8
	.type	_ZN9rocsolver6v33100L18trti2_kernel_smallILi20EfPKPfEEv13rocblas_fill_17rocblas_diagonal_T1_iil,@function
_ZN9rocsolver6v33100L18trti2_kernel_smallILi20EfPKPfEEv13rocblas_fill_17rocblas_diagonal_T1_iil: ; @_ZN9rocsolver6v33100L18trti2_kernel_smallILi20EfPKPfEEv13rocblas_fill_17rocblas_diagonal_T1_iil
; %bb.0:
	v_cmp_gt_u32_e32 vcc, 20, v0
	s_and_saveexec_b64 s[0:1], vcc
	s_cbranch_execz .LBB83_484
; %bb.1:
	s_load_dwordx2 s[0:1], s[4:5], 0x10
	s_load_dwordx4 s[44:47], s[4:5], 0x0
	s_ashr_i32 s7, s6, 31
	s_lshl_b64 s[2:3], s[6:7], 3
	v_lshlrev_b32_e32 v34, 2, v0
	s_waitcnt lgkmcnt(0)
	s_ashr_i32 s5, s0, 31
	s_add_u32 s2, s46, s2
	s_addc_u32 s3, s47, s3
	s_load_dwordx2 s[2:3], s[2:3], 0x0
	s_mov_b32 s4, s0
	s_lshl_b64 s[4:5], s[4:5], 2
	v_mov_b32_e32 v35, -1.0
	s_waitcnt lgkmcnt(0)
	s_add_u32 s0, s2, s4
	s_addc_u32 s2, s3, s5
	s_add_i32 s3, s1, s1
	v_add_u32_e32 v1, s3, v0
	v_ashrrev_i32_e32 v2, 31, v1
	v_lshlrev_b64 v[2:3], 2, v[1:2]
	v_add_u32_e32 v1, s1, v1
	v_mov_b32_e32 v4, s2
	v_add_co_u32_e32 v66, vcc, s0, v2
	v_ashrrev_i32_e32 v2, 31, v1
	v_addc_co_u32_e32 v67, vcc, v4, v3, vcc
	v_lshlrev_b64 v[2:3], 2, v[1:2]
	v_add_u32_e32 v1, s1, v1
	v_add_co_u32_e32 v68, vcc, s0, v2
	v_ashrrev_i32_e32 v2, 31, v1
	v_addc_co_u32_e32 v69, vcc, v4, v3, vcc
	v_lshlrev_b64 v[2:3], 2, v[1:2]
	v_add_u32_e32 v1, s1, v1
	;; [unrolled: 5-line block ×16, first 2 shown]
	v_add_co_u32_e32 v98, vcc, s0, v2
	v_ashrrev_i32_e32 v2, 31, v1
	v_lshlrev_b64 v[1:2], 2, v[1:2]
	v_addc_co_u32_e32 v99, vcc, v4, v3, vcc
	v_mov_b32_e32 v3, s2
	v_add_co_u32_e32 v100, vcc, s0, v1
	v_addc_co_u32_e32 v101, vcc, v3, v2, vcc
	v_mov_b32_e32 v1, s2
	v_add_co_u32_e32 v102, vcc, s0, v34
	s_ashr_i32 s3, s1, 31
	s_mov_b32 s2, s1
	v_addc_co_u32_e32 v103, vcc, 0, v1, vcc
	s_lshl_b64 s[0:1], s[2:3], 2
	v_mov_b32_e32 v1, s1
	v_add_co_u32_e32 v104, vcc, s0, v102
	v_addc_co_u32_e32 v105, vcc, v103, v1, vcc
	flat_load_dword v2, v[102:103]
	flat_load_dword v3, v[104:105]
	;; [unrolled: 1-line block ×20, first 2 shown]
	s_cmpk_lg_i32 s45, 0x84
	v_mov_b32_e32 v1, 0
	s_cselect_b64 s[42:43], -1, 0
	s_cmpk_eq_i32 s45, 0x84
	v_cmp_eq_u32_e64 s[0:1], 0, v0
	s_cbranch_scc1 .LBB83_3
; %bb.2:
	v_cmp_eq_u32_e64 s[2:3], 1, v0
	s_waitcnt vmcnt(0) lgkmcnt(0)
	v_cndmask_b32_e64 v22, v2, v3, s[2:3]
	v_cmp_eq_u32_e64 s[4:5], 2, v0
	v_cndmask_b32_e64 v22, v22, v4, s[4:5]
	v_cmp_eq_u32_e64 s[6:7], 3, v0
	v_cndmask_b32_e64 v22, v22, v5, s[6:7]
	v_cmp_eq_u32_e64 s[8:9], 4, v0
	v_cndmask_b32_e64 v22, v22, v6, s[8:9]
	v_cmp_eq_u32_e64 s[10:11], 5, v0
	v_cndmask_b32_e64 v22, v22, v7, s[10:11]
	v_cmp_eq_u32_e64 s[12:13], 6, v0
	v_cndmask_b32_e64 v22, v22, v8, s[12:13]
	v_cmp_eq_u32_e64 s[14:15], 7, v0
	v_cndmask_b32_e64 v22, v22, v9, s[14:15]
	v_cmp_eq_u32_e64 s[16:17], 8, v0
	v_cndmask_b32_e64 v22, v22, v10, s[16:17]
	v_cmp_eq_u32_e64 s[18:19], 9, v0
	v_cndmask_b32_e64 v22, v22, v11, s[18:19]
	v_cmp_eq_u32_e64 s[20:21], 10, v0
	v_cndmask_b32_e64 v22, v22, v12, s[20:21]
	v_cmp_eq_u32_e64 s[22:23], 11, v0
	v_cndmask_b32_e64 v22, v22, v13, s[22:23]
	v_cmp_eq_u32_e64 s[24:25], 12, v0
	v_cndmask_b32_e64 v22, v22, v14, s[24:25]
	v_cmp_eq_u32_e64 s[26:27], 13, v0
	v_cndmask_b32_e64 v22, v22, v15, s[26:27]
	v_cmp_eq_u32_e64 s[28:29], 14, v0
	v_cndmask_b32_e64 v22, v22, v16, s[28:29]
	v_cmp_eq_u32_e64 s[30:31], 15, v0
	v_cndmask_b32_e64 v22, v22, v17, s[30:31]
	v_cmp_eq_u32_e64 s[34:35], 16, v0
	v_cndmask_b32_e64 v22, v22, v18, s[34:35]
	v_cmp_eq_u32_e64 s[36:37], 17, v0
	v_cndmask_b32_e64 v22, v22, v19, s[36:37]
	v_cmp_eq_u32_e64 s[38:39], 18, v0
	v_cndmask_b32_e64 v22, v22, v20, s[38:39]
	v_cmp_eq_u32_e64 s[40:41], 19, v0
	v_cndmask_b32_e64 v22, v22, v21, s[40:41]
	v_div_scale_f32 v23, s[46:47], v22, v22, 1.0
	v_div_scale_f32 v24, vcc, 1.0, v22, 1.0
	v_rcp_f32_e32 v25, v23
	v_fma_f32 v26, -v23, v25, 1.0
	v_fmac_f32_e32 v25, v26, v25
	v_mul_f32_e32 v26, v24, v25
	v_fma_f32 v27, -v23, v26, v24
	v_fmac_f32_e32 v26, v27, v25
	v_fma_f32 v23, -v23, v26, v24
	v_div_fmas_f32 v23, v23, v25, v26
	v_div_fixup_f32 v22, v23, v22, 1.0
	v_cndmask_b32_e64 v21, v21, v22, s[40:41]
	v_cndmask_b32_e64 v20, v20, v22, s[38:39]
	;; [unrolled: 1-line block ×20, first 2 shown]
	v_xor_b32_e32 v35, 0x80000000, v22
.LBB83_3:
	s_cmpk_eq_i32 s44, 0x79
	v_add_u32_e32 v106, 0x50, v34
	ds_write_b32 v34, v35
	s_cbranch_scc1 .LBB83_7
; %bb.4:
	s_waitcnt vmcnt(0) lgkmcnt(0)
	v_mov_b32_e32 v65, v33
	v_mov_b32_e32 v64, v32
	;; [unrolled: 1-line block ×32, first 2 shown]
	v_cmp_eq_u32_e64 s[0:1], 19, v0
	ds_write_b32 v106, v20
	s_waitcnt lgkmcnt(0)
	; wave barrier
	s_and_saveexec_b64 s[2:3], s[0:1]
	s_cbranch_execz .LBB83_11
; %bb.5:
	s_and_b64 vcc, exec, s[42:43]
	s_cbranch_vccz .LBB83_8
; %bb.6:
	v_cmp_eq_u32_e32 vcc, 1, v0
	v_cndmask_b32_e32 v34, v2, v3, vcc
	v_cmp_eq_u32_e32 vcc, 2, v0
	v_cndmask_b32_e32 v34, v34, v4, vcc
	;; [unrolled: 2-line block ×15, first 2 shown]
	v_cmp_eq_u32_e32 vcc, 16, v0
	ds_read_b32 v35, v106
	v_cndmask_b32_e32 v34, v34, v18, vcc
	v_cmp_eq_u32_e32 vcc, 17, v0
	v_cndmask_b32_e32 v34, v34, v19, vcc
	v_cmp_eq_u32_e32 vcc, 18, v0
	;; [unrolled: 2-line block ×3, first 2 shown]
	v_cndmask_b32_e32 v34, v34, v21, vcc
	s_waitcnt lgkmcnt(0)
	v_mul_f32_e32 v38, v34, v35
	s_cbranch_execz .LBB83_9
	s_branch .LBB83_10
.LBB83_7:
                                        ; implicit-def: $vgpr34_vgpr35_vgpr36_vgpr37_vgpr38_vgpr39_vgpr40_vgpr41_vgpr42_vgpr43_vgpr44_vgpr45_vgpr46_vgpr47_vgpr48_vgpr49_vgpr50_vgpr51_vgpr52_vgpr53_vgpr54_vgpr55_vgpr56_vgpr57_vgpr58_vgpr59_vgpr60_vgpr61_vgpr62_vgpr63_vgpr64_vgpr65
	s_cbranch_execnz .LBB83_290
	s_branch .LBB83_483
.LBB83_8:
                                        ; implicit-def: $vgpr38
.LBB83_9:
	ds_read_b32 v38, v106
.LBB83_10:
	v_mov_b32_e32 v34, 0
	ds_read_b32 v39, v34 offset:72
	v_mov_b32_e32 v34, v2
	v_mov_b32_e32 v35, v3
	;; [unrolled: 1-line block ×4, first 2 shown]
	s_waitcnt lgkmcnt(0)
	v_mul_f32_e32 v52, v38, v39
	v_mov_b32_e32 v38, v6
	v_mov_b32_e32 v39, v7
	;; [unrolled: 1-line block ×15, first 2 shown]
.LBB83_11:
	s_or_b64 exec, exec, s[2:3]
	v_cmp_lt_u32_e64 s[2:3], 17, v0
	ds_write_b32 v106, v51
	s_waitcnt lgkmcnt(0)
	; wave barrier
	s_and_saveexec_b64 s[4:5], s[2:3]
	s_cbranch_execz .LBB83_17
; %bb.12:
	s_andn2_b64 vcc, exec, s[42:43]
	s_cbranch_vccnz .LBB83_14
; %bb.13:
	v_cmp_eq_u32_e32 vcc, 1, v0
	v_cndmask_b32_e32 v54, v34, v35, vcc
	v_cmp_eq_u32_e32 vcc, 2, v0
	v_cndmask_b32_e32 v54, v54, v36, vcc
	;; [unrolled: 2-line block ×17, first 2 shown]
	ds_read_b32 v54, v106
	v_cmp_eq_u32_e32 vcc, 18, v0
	v_cndmask_b32_e32 v51, v51, v52, vcc
	v_cmp_eq_u32_e32 vcc, 19, v0
	v_cndmask_b32_e32 v51, v51, v53, vcc
	s_waitcnt lgkmcnt(0)
	v_mul_f32_e32 v51, v51, v54
	s_cbranch_execz .LBB83_15
	s_branch .LBB83_16
.LBB83_14:
                                        ; implicit-def: $vgpr51
.LBB83_15:
	ds_read_b32 v51, v106
.LBB83_16:
	v_mov_b32_e32 v54, 0
	ds_read2_b32 v[54:55], v54 offset0:17 offset1:38
	s_waitcnt lgkmcnt(0)
	v_fma_f32 v55, v52, v55, v51
	v_cndmask_b32_e64 v51, v51, v55, s[0:1]
	v_mul_f32_e32 v51, v51, v54
.LBB83_17:
	s_or_b64 exec, exec, s[4:5]
	v_cmp_lt_u32_e64 s[0:1], 16, v0
	ds_write_b32 v106, v50
	s_waitcnt lgkmcnt(0)
	; wave barrier
	s_and_saveexec_b64 s[4:5], s[0:1]
	s_cbranch_execz .LBB83_33
; %bb.18:
	s_andn2_b64 vcc, exec, s[42:43]
	s_cbranch_vccnz .LBB83_20
; %bb.19:
	v_cmp_eq_u32_e32 vcc, 1, v0
	v_cndmask_b32_e32 v107, v34, v35, vcc
	v_cmp_eq_u32_e32 vcc, 2, v0
	v_cndmask_b32_e32 v107, v107, v36, vcc
	v_cmp_eq_u32_e32 vcc, 3, v0
	v_cndmask_b32_e32 v107, v107, v37, vcc
	v_cmp_eq_u32_e32 vcc, 4, v0
	v_cndmask_b32_e32 v107, v107, v38, vcc
	v_cmp_eq_u32_e32 vcc, 5, v0
	v_cndmask_b32_e32 v107, v107, v39, vcc
	v_cmp_eq_u32_e32 vcc, 6, v0
	v_cndmask_b32_e32 v107, v107, v40, vcc
	v_cmp_eq_u32_e32 vcc, 7, v0
	v_cndmask_b32_e32 v107, v107, v41, vcc
	v_cmp_eq_u32_e32 vcc, 8, v0
	v_cndmask_b32_e32 v107, v107, v42, vcc
	v_cmp_eq_u32_e32 vcc, 9, v0
	v_cndmask_b32_e32 v107, v107, v43, vcc
	v_cmp_eq_u32_e32 vcc, 10, v0
	v_cndmask_b32_e32 v107, v107, v44, vcc
	v_cmp_eq_u32_e32 vcc, 11, v0
	v_cndmask_b32_e32 v107, v107, v45, vcc
	v_cmp_eq_u32_e32 vcc, 12, v0
	v_cndmask_b32_e32 v107, v107, v46, vcc
	v_cmp_eq_u32_e32 vcc, 13, v0
	v_cndmask_b32_e32 v107, v107, v47, vcc
	v_cmp_eq_u32_e32 vcc, 14, v0
	v_cndmask_b32_e32 v107, v107, v48, vcc
	v_cmp_eq_u32_e32 vcc, 15, v0
	v_cndmask_b32_e32 v107, v107, v49, vcc
	v_cmp_eq_u32_e32 vcc, 16, v0
	ds_read_b32 v108, v106
	v_cndmask_b32_e32 v107, v107, v50, vcc
	v_cmp_eq_u32_e32 vcc, 17, v0
	v_cndmask_b32_e32 v107, v107, v51, vcc
	v_cmp_eq_u32_e32 vcc, 18, v0
	;; [unrolled: 2-line block ×3, first 2 shown]
	v_cndmask_b32_e32 v107, v107, v53, vcc
	s_waitcnt lgkmcnt(0)
	v_mul_f32_e32 v107, v107, v108
	s_cbranch_execz .LBB83_21
	s_branch .LBB83_22
.LBB83_20:
                                        ; implicit-def: $vgpr107
.LBB83_21:
	ds_read_b32 v107, v106
.LBB83_22:
	s_and_saveexec_b64 s[6:7], s[2:3]
	s_cbranch_execz .LBB83_32
; %bb.23:
	v_subrev_u32_e32 v110, 18, v0
	v_mov_b32_e32 v108, 17
	v_subrev_u32_e32 v109, 17, v0
	v_cmp_lt_u32_e32 vcc, 6, v110
	s_and_saveexec_b64 s[2:3], vcc
	s_cbranch_execz .LBB83_27
; %bb.24:
	v_and_b32_e32 v108, -8, v109
	v_sub_u32_e32 v110, 0, v108
	s_mov_b64 s[8:9], 24
	s_movk_i32 s12, 0x94
	s_mov_b64 s[10:11], 0
.LBB83_25:                              ; =>This Inner Loop Header: Depth=1
	s_add_i32 s13, s8, -7
	v_mov_b32_e32 v108, s12
	s_add_i32 s14, s8, -6
	s_set_gpr_idx_on s13, gpr_idx(SRC0)
	v_mov_b32_e32 v117, v34
	s_set_gpr_idx_off
	ds_read2_b32 v[111:112], v108 offset1:1
	s_add_i32 s15, s8, -5
	s_set_gpr_idx_on s14, gpr_idx(SRC0)
	v_mov_b32_e32 v118, v34
	s_set_gpr_idx_off
	s_add_i32 s16, s8, -4
	s_set_gpr_idx_on s15, gpr_idx(SRC0)
	v_mov_b32_e32 v119, v34
	s_set_gpr_idx_off
	ds_read2_b32 v[113:114], v108 offset0:2 offset1:3
	s_add_i32 s17, s8, -3
	s_set_gpr_idx_on s16, gpr_idx(SRC0)
	v_mov_b32_e32 v120, v34
	s_set_gpr_idx_off
	s_add_i32 s18, s8, -2
	s_set_gpr_idx_on s17, gpr_idx(SRC0)
	v_mov_b32_e32 v121, v34
	s_set_gpr_idx_off
	ds_read2_b32 v[115:116], v108 offset0:4 offset1:5
	s_add_i32 s19, s8, -1
	s_waitcnt lgkmcnt(2)
	v_fmac_f32_e32 v107, v117, v111
	s_set_gpr_idx_on s18, gpr_idx(SRC0)
	v_mov_b32_e32 v117, v34
	s_set_gpr_idx_off
	v_fmac_f32_e32 v107, v118, v112
	s_set_gpr_idx_on s19, gpr_idx(SRC0)
	v_mov_b32_e32 v118, v34
	s_set_gpr_idx_off
	ds_read2_b32 v[111:112], v108 offset0:6 offset1:7
	s_waitcnt lgkmcnt(2)
	v_fmac_f32_e32 v107, v119, v113
	s_set_gpr_idx_on s8, gpr_idx(SRC0)
	v_mov_b32_e32 v113, v34
	s_set_gpr_idx_off
	v_fmac_f32_e32 v107, v120, v114
	s_add_u32 s8, s8, 8
	s_waitcnt lgkmcnt(1)
	v_fmac_f32_e32 v107, v121, v115
	v_add_u32_e32 v108, s8, v110
	v_fmac_f32_e32 v107, v117, v116
	s_addc_u32 s9, s9, 0
	s_add_i32 s12, s12, 32
	s_add_i32 s13, s8, -7
	v_cmp_eq_u32_e32 vcc, 24, v108
	s_waitcnt lgkmcnt(0)
	v_fmac_f32_e32 v107, v118, v111
	v_mov_b32_e32 v108, s13
	s_or_b64 s[10:11], vcc, s[10:11]
	v_fmac_f32_e32 v107, v113, v112
	s_andn2_b64 exec, exec, s[10:11]
	s_cbranch_execnz .LBB83_25
; %bb.26:
	s_or_b64 exec, exec, s[10:11]
.LBB83_27:
	s_or_b64 exec, exec, s[2:3]
	v_and_b32_e32 v54, 7, v109
	v_cmp_ne_u32_e32 vcc, 0, v54
	s_and_saveexec_b64 s[8:9], vcc
	s_cbranch_execz .LBB83_31
; %bb.28:
	v_mov_b32_e32 v55, 0x50
	v_lshl_add_u32 v55, v108, 2, v55
	v_mov_b32_e32 v56, 0
	s_mov_b64 s[10:11], 0
.LBB83_29:                              ; =>This Inner Loop Header: Depth=1
	v_cmp_eq_u32_e32 vcc, 1, v108
	v_cndmask_b32_e32 v57, v34, v35, vcc
	v_add_u32_e32 v54, -1, v54
	v_cmp_eq_u32_e32 vcc, 2, v108
	v_cndmask_b32_e32 v57, v57, v36, vcc
	v_cmp_eq_u32_e32 vcc, 0, v54
	v_cmp_eq_u32_e64 s[2:3], 3, v108
	v_cndmask_b32_e64 v57, v57, v37, s[2:3]
	s_or_b64 s[10:11], vcc, s[10:11]
	v_cmp_eq_u32_e32 vcc, 4, v108
	v_cndmask_b32_e32 v57, v57, v38, vcc
	v_cmp_eq_u32_e32 vcc, 5, v108
	v_cndmask_b32_e32 v57, v57, v39, vcc
	;; [unrolled: 2-line block ×11, first 2 shown]
	v_cmp_eq_u32_e32 vcc, 15, v108
	ds_read_b32 v58, v55
	v_cndmask_b32_e32 v57, v57, v49, vcc
	v_cmp_eq_u32_e32 vcc, 16, v108
	v_cndmask_b32_e32 v57, v57, v50, vcc
	v_cmp_eq_u32_e32 vcc, 17, v108
	;; [unrolled: 2-line block ×4, first 2 shown]
	v_add_co_u32_e64 v108, s[2:3], 1, v108
	v_cndmask_b32_e32 v57, v57, v53, vcc
	v_add_u32_e32 v55, 4, v55
	v_addc_co_u32_e64 v56, s[2:3], 0, v56, s[2:3]
	s_waitcnt lgkmcnt(0)
	v_fmac_f32_e32 v107, v57, v58
	s_andn2_b64 exec, exec, s[10:11]
	s_cbranch_execnz .LBB83_29
; %bb.30:
	s_or_b64 exec, exec, s[10:11]
.LBB83_31:
	s_or_b64 exec, exec, s[8:9]
.LBB83_32:
	s_or_b64 exec, exec, s[6:7]
	v_mov_b32_e32 v50, 0
	ds_read_b32 v50, v50 offset:64
	s_waitcnt lgkmcnt(0)
	v_mul_f32_e32 v50, v107, v50
.LBB83_33:
	s_or_b64 exec, exec, s[4:5]
	v_cmp_lt_u32_e64 s[2:3], 15, v0
	ds_write_b32 v106, v49
	s_waitcnt lgkmcnt(0)
	; wave barrier
	s_and_saveexec_b64 s[4:5], s[2:3]
	s_cbranch_execz .LBB83_49
; %bb.34:
	s_andn2_b64 vcc, exec, s[42:43]
	s_cbranch_vccnz .LBB83_36
; %bb.35:
	v_cmp_eq_u32_e32 vcc, 1, v0
	v_cndmask_b32_e32 v107, v34, v35, vcc
	v_cmp_eq_u32_e32 vcc, 2, v0
	v_cndmask_b32_e32 v107, v107, v36, vcc
	;; [unrolled: 2-line block ×15, first 2 shown]
	v_cmp_eq_u32_e32 vcc, 16, v0
	ds_read_b32 v108, v106
	v_cndmask_b32_e32 v107, v107, v50, vcc
	v_cmp_eq_u32_e32 vcc, 17, v0
	v_cndmask_b32_e32 v107, v107, v51, vcc
	v_cmp_eq_u32_e32 vcc, 18, v0
	;; [unrolled: 2-line block ×3, first 2 shown]
	v_cndmask_b32_e32 v107, v107, v53, vcc
	s_waitcnt lgkmcnt(0)
	v_mul_f32_e32 v107, v107, v108
	s_cbranch_execz .LBB83_37
	s_branch .LBB83_38
.LBB83_36:
                                        ; implicit-def: $vgpr107
.LBB83_37:
	ds_read_b32 v107, v106
.LBB83_38:
	s_and_saveexec_b64 s[6:7], s[0:1]
	s_cbranch_execz .LBB83_48
; %bb.39:
	v_subrev_u32_e32 v108, 17, v0
	v_cmp_lt_u32_e32 vcc, 6, v108
	v_mov_b32_e32 v108, 16
	s_and_saveexec_b64 s[0:1], vcc
	s_cbranch_execz .LBB83_43
; %bb.40:
	v_and_b32_e32 v108, 24, v0
	v_sub_u32_e32 v109, 0, v108
	s_mov_b64 s[8:9], 23
	s_movk_i32 s12, 0x90
	s_mov_b64 s[10:11], 0
.LBB83_41:                              ; =>This Inner Loop Header: Depth=1
	s_add_i32 s13, s8, -7
	v_mov_b32_e32 v108, s12
	s_add_i32 s14, s8, -6
	s_set_gpr_idx_on s13, gpr_idx(SRC0)
	v_mov_b32_e32 v118, v34
	s_set_gpr_idx_off
	s_add_i32 s15, s8, -5
	ds_read_b128 v[110:113], v108
	ds_read_b128 v[114:117], v108 offset:16
	s_set_gpr_idx_on s14, gpr_idx(SRC0)
	v_mov_b32_e32 v108, v34
	s_set_gpr_idx_off
	s_add_i32 s16, s8, -4
	s_set_gpr_idx_on s15, gpr_idx(SRC0)
	v_mov_b32_e32 v119, v34
	s_set_gpr_idx_off
	s_add_i32 s17, s8, -3
	;; [unrolled: 4-line block ×4, first 2 shown]
	s_waitcnt lgkmcnt(1)
	v_fmac_f32_e32 v107, v118, v110
	s_set_gpr_idx_on s18, gpr_idx(SRC0)
	v_mov_b32_e32 v110, v34
	s_set_gpr_idx_off
	v_fmac_f32_e32 v107, v108, v111
	s_set_gpr_idx_on s19, gpr_idx(SRC0)
	v_mov_b32_e32 v111, v34
	s_set_gpr_idx_off
	;; [unrolled: 4-line block ×3, first 2 shown]
	v_fmac_f32_e32 v107, v120, v113
	s_add_u32 s8, s8, 8
	s_waitcnt lgkmcnt(0)
	v_fmac_f32_e32 v107, v121, v114
	v_add_u32_e32 v108, s8, v109
	v_fmac_f32_e32 v107, v110, v115
	s_addc_u32 s9, s9, 0
	s_add_i32 s12, s12, 32
	s_add_i32 s13, s8, -7
	v_cmp_eq_u32_e32 vcc, 7, v108
	v_fmac_f32_e32 v107, v111, v116
	v_mov_b32_e32 v108, s13
	s_or_b64 s[10:11], vcc, s[10:11]
	v_fmac_f32_e32 v107, v112, v117
	s_andn2_b64 exec, exec, s[10:11]
	s_cbranch_execnz .LBB83_41
; %bb.42:
	s_or_b64 exec, exec, s[10:11]
.LBB83_43:
	s_or_b64 exec, exec, s[0:1]
	v_and_b32_e32 v54, 7, v0
	v_cmp_ne_u32_e32 vcc, 0, v54
	s_and_saveexec_b64 s[8:9], vcc
	s_cbranch_execz .LBB83_47
; %bb.44:
	v_mov_b32_e32 v55, 0x50
	v_lshl_add_u32 v55, v108, 2, v55
	v_mov_b32_e32 v56, 0
	s_mov_b64 s[10:11], 0
.LBB83_45:                              ; =>This Inner Loop Header: Depth=1
	v_cmp_eq_u32_e32 vcc, 1, v108
	v_cndmask_b32_e32 v57, v34, v35, vcc
	v_add_u32_e32 v54, -1, v54
	v_cmp_eq_u32_e32 vcc, 2, v108
	v_cndmask_b32_e32 v57, v57, v36, vcc
	v_cmp_eq_u32_e32 vcc, 0, v54
	v_cmp_eq_u32_e64 s[0:1], 3, v108
	v_cndmask_b32_e64 v57, v57, v37, s[0:1]
	s_or_b64 s[10:11], vcc, s[10:11]
	v_cmp_eq_u32_e32 vcc, 4, v108
	v_cndmask_b32_e32 v57, v57, v38, vcc
	v_cmp_eq_u32_e32 vcc, 5, v108
	v_cndmask_b32_e32 v57, v57, v39, vcc
	;; [unrolled: 2-line block ×11, first 2 shown]
	v_cmp_eq_u32_e32 vcc, 15, v108
	ds_read_b32 v58, v55
	v_cndmask_b32_e32 v57, v57, v49, vcc
	v_cmp_eq_u32_e32 vcc, 16, v108
	v_cndmask_b32_e32 v57, v57, v50, vcc
	v_cmp_eq_u32_e32 vcc, 17, v108
	;; [unrolled: 2-line block ×4, first 2 shown]
	v_add_co_u32_e64 v108, s[0:1], 1, v108
	v_cndmask_b32_e32 v57, v57, v53, vcc
	v_add_u32_e32 v55, 4, v55
	v_addc_co_u32_e64 v56, s[0:1], 0, v56, s[0:1]
	s_waitcnt lgkmcnt(0)
	v_fmac_f32_e32 v107, v57, v58
	s_andn2_b64 exec, exec, s[10:11]
	s_cbranch_execnz .LBB83_45
; %bb.46:
	s_or_b64 exec, exec, s[10:11]
.LBB83_47:
	s_or_b64 exec, exec, s[8:9]
.LBB83_48:
	s_or_b64 exec, exec, s[6:7]
	v_mov_b32_e32 v49, 0
	ds_read_b32 v49, v49 offset:60
	s_waitcnt lgkmcnt(0)
	v_mul_f32_e32 v49, v107, v49
.LBB83_49:
	s_or_b64 exec, exec, s[4:5]
	v_cmp_lt_u32_e64 s[0:1], 14, v0
	ds_write_b32 v106, v48
	s_waitcnt lgkmcnt(0)
	; wave barrier
	s_and_saveexec_b64 s[4:5], s[0:1]
	s_cbranch_execz .LBB83_65
; %bb.50:
	s_andn2_b64 vcc, exec, s[42:43]
	s_cbranch_vccnz .LBB83_52
; %bb.51:
	v_cmp_eq_u32_e32 vcc, 1, v0
	v_cndmask_b32_e32 v107, v34, v35, vcc
	v_cmp_eq_u32_e32 vcc, 2, v0
	v_cndmask_b32_e32 v107, v107, v36, vcc
	;; [unrolled: 2-line block ×15, first 2 shown]
	v_cmp_eq_u32_e32 vcc, 16, v0
	ds_read_b32 v108, v106
	v_cndmask_b32_e32 v107, v107, v50, vcc
	v_cmp_eq_u32_e32 vcc, 17, v0
	v_cndmask_b32_e32 v107, v107, v51, vcc
	v_cmp_eq_u32_e32 vcc, 18, v0
	;; [unrolled: 2-line block ×3, first 2 shown]
	v_cndmask_b32_e32 v107, v107, v53, vcc
	s_waitcnt lgkmcnt(0)
	v_mul_f32_e32 v107, v107, v108
	s_cbranch_execz .LBB83_53
	s_branch .LBB83_54
.LBB83_52:
                                        ; implicit-def: $vgpr107
.LBB83_53:
	ds_read_b32 v107, v106
.LBB83_54:
	s_and_saveexec_b64 s[6:7], s[2:3]
	s_cbranch_execz .LBB83_64
; %bb.55:
	v_add_u32_e32 v108, -16, v0
	v_add_u32_e32 v109, -15, v0
	v_cmp_lt_u32_e32 vcc, 6, v108
	v_mov_b32_e32 v108, 15
	s_and_saveexec_b64 s[2:3], vcc
	s_cbranch_execz .LBB83_59
; %bb.56:
	v_and_b32_e32 v108, -8, v109
	v_sub_u32_e32 v110, 0, v108
	s_mov_b64 s[8:9], 22
	s_movk_i32 s12, 0x8c
	s_mov_b64 s[10:11], 0
.LBB83_57:                              ; =>This Inner Loop Header: Depth=1
	s_add_i32 s13, s8, -7
	v_mov_b32_e32 v108, s12
	s_add_i32 s14, s8, -6
	s_set_gpr_idx_on s13, gpr_idx(SRC0)
	v_mov_b32_e32 v117, v34
	s_set_gpr_idx_off
	ds_read2_b32 v[111:112], v108 offset1:1
	s_add_i32 s15, s8, -5
	s_set_gpr_idx_on s14, gpr_idx(SRC0)
	v_mov_b32_e32 v118, v34
	s_set_gpr_idx_off
	s_add_i32 s16, s8, -4
	s_set_gpr_idx_on s15, gpr_idx(SRC0)
	v_mov_b32_e32 v119, v34
	s_set_gpr_idx_off
	ds_read2_b32 v[113:114], v108 offset0:2 offset1:3
	s_add_i32 s17, s8, -3
	s_set_gpr_idx_on s16, gpr_idx(SRC0)
	v_mov_b32_e32 v120, v34
	s_set_gpr_idx_off
	s_add_i32 s18, s8, -2
	s_set_gpr_idx_on s17, gpr_idx(SRC0)
	v_mov_b32_e32 v121, v34
	s_set_gpr_idx_off
	ds_read2_b32 v[115:116], v108 offset0:4 offset1:5
	s_add_i32 s19, s8, -1
	s_waitcnt lgkmcnt(2)
	v_fmac_f32_e32 v107, v117, v111
	s_set_gpr_idx_on s18, gpr_idx(SRC0)
	v_mov_b32_e32 v117, v34
	s_set_gpr_idx_off
	v_fmac_f32_e32 v107, v118, v112
	s_set_gpr_idx_on s19, gpr_idx(SRC0)
	v_mov_b32_e32 v118, v34
	s_set_gpr_idx_off
	ds_read2_b32 v[111:112], v108 offset0:6 offset1:7
	s_waitcnt lgkmcnt(2)
	v_fmac_f32_e32 v107, v119, v113
	s_set_gpr_idx_on s8, gpr_idx(SRC0)
	v_mov_b32_e32 v113, v34
	s_set_gpr_idx_off
	v_fmac_f32_e32 v107, v120, v114
	s_add_u32 s8, s8, 8
	s_waitcnt lgkmcnt(1)
	v_fmac_f32_e32 v107, v121, v115
	v_add_u32_e32 v108, s8, v110
	v_fmac_f32_e32 v107, v117, v116
	s_addc_u32 s9, s9, 0
	s_add_i32 s12, s12, 32
	s_add_i32 s13, s8, -7
	v_cmp_eq_u32_e32 vcc, 22, v108
	s_waitcnt lgkmcnt(0)
	v_fmac_f32_e32 v107, v118, v111
	v_mov_b32_e32 v108, s13
	s_or_b64 s[10:11], vcc, s[10:11]
	v_fmac_f32_e32 v107, v113, v112
	s_andn2_b64 exec, exec, s[10:11]
	s_cbranch_execnz .LBB83_57
; %bb.58:
	s_or_b64 exec, exec, s[10:11]
.LBB83_59:
	s_or_b64 exec, exec, s[2:3]
	v_and_b32_e32 v54, 7, v109
	v_cmp_ne_u32_e32 vcc, 0, v54
	s_and_saveexec_b64 s[8:9], vcc
	s_cbranch_execz .LBB83_63
; %bb.60:
	v_mov_b32_e32 v55, 0x50
	v_lshl_add_u32 v55, v108, 2, v55
	v_mov_b32_e32 v56, 0
	s_mov_b64 s[10:11], 0
.LBB83_61:                              ; =>This Inner Loop Header: Depth=1
	v_cmp_eq_u32_e32 vcc, 1, v108
	v_cndmask_b32_e32 v57, v34, v35, vcc
	v_add_u32_e32 v54, -1, v54
	v_cmp_eq_u32_e32 vcc, 2, v108
	v_cndmask_b32_e32 v57, v57, v36, vcc
	v_cmp_eq_u32_e32 vcc, 0, v54
	v_cmp_eq_u32_e64 s[2:3], 3, v108
	v_cndmask_b32_e64 v57, v57, v37, s[2:3]
	s_or_b64 s[10:11], vcc, s[10:11]
	v_cmp_eq_u32_e32 vcc, 4, v108
	v_cndmask_b32_e32 v57, v57, v38, vcc
	v_cmp_eq_u32_e32 vcc, 5, v108
	v_cndmask_b32_e32 v57, v57, v39, vcc
	v_cmp_eq_u32_e32 vcc, 6, v108
	v_cndmask_b32_e32 v57, v57, v40, vcc
	v_cmp_eq_u32_e32 vcc, 7, v108
	v_cndmask_b32_e32 v57, v57, v41, vcc
	v_cmp_eq_u32_e32 vcc, 8, v108
	v_cndmask_b32_e32 v57, v57, v42, vcc
	v_cmp_eq_u32_e32 vcc, 9, v108
	v_cndmask_b32_e32 v57, v57, v43, vcc
	v_cmp_eq_u32_e32 vcc, 10, v108
	v_cndmask_b32_e32 v57, v57, v44, vcc
	v_cmp_eq_u32_e32 vcc, 11, v108
	v_cndmask_b32_e32 v57, v57, v45, vcc
	v_cmp_eq_u32_e32 vcc, 12, v108
	v_cndmask_b32_e32 v57, v57, v46, vcc
	v_cmp_eq_u32_e32 vcc, 13, v108
	v_cndmask_b32_e32 v57, v57, v47, vcc
	v_cmp_eq_u32_e32 vcc, 14, v108
	v_cndmask_b32_e32 v57, v57, v48, vcc
	v_cmp_eq_u32_e32 vcc, 15, v108
	ds_read_b32 v58, v55
	v_cndmask_b32_e32 v57, v57, v49, vcc
	v_cmp_eq_u32_e32 vcc, 16, v108
	v_cndmask_b32_e32 v57, v57, v50, vcc
	v_cmp_eq_u32_e32 vcc, 17, v108
	;; [unrolled: 2-line block ×4, first 2 shown]
	v_add_co_u32_e64 v108, s[2:3], 1, v108
	v_cndmask_b32_e32 v57, v57, v53, vcc
	v_add_u32_e32 v55, 4, v55
	v_addc_co_u32_e64 v56, s[2:3], 0, v56, s[2:3]
	s_waitcnt lgkmcnt(0)
	v_fmac_f32_e32 v107, v57, v58
	s_andn2_b64 exec, exec, s[10:11]
	s_cbranch_execnz .LBB83_61
; %bb.62:
	s_or_b64 exec, exec, s[10:11]
.LBB83_63:
	s_or_b64 exec, exec, s[8:9]
.LBB83_64:
	s_or_b64 exec, exec, s[6:7]
	v_mov_b32_e32 v48, 0
	ds_read_b32 v48, v48 offset:56
	s_waitcnt lgkmcnt(0)
	v_mul_f32_e32 v48, v107, v48
.LBB83_65:
	s_or_b64 exec, exec, s[4:5]
	v_cmp_lt_u32_e64 s[2:3], 13, v0
	ds_write_b32 v106, v47
	s_waitcnt lgkmcnt(0)
	; wave barrier
	s_and_saveexec_b64 s[4:5], s[2:3]
	s_cbranch_execz .LBB83_81
; %bb.66:
	s_andn2_b64 vcc, exec, s[42:43]
	s_cbranch_vccnz .LBB83_68
; %bb.67:
	v_cmp_eq_u32_e32 vcc, 1, v0
	v_cndmask_b32_e32 v107, v34, v35, vcc
	v_cmp_eq_u32_e32 vcc, 2, v0
	v_cndmask_b32_e32 v107, v107, v36, vcc
	;; [unrolled: 2-line block ×15, first 2 shown]
	v_cmp_eq_u32_e32 vcc, 16, v0
	ds_read_b32 v108, v106
	v_cndmask_b32_e32 v107, v107, v50, vcc
	v_cmp_eq_u32_e32 vcc, 17, v0
	v_cndmask_b32_e32 v107, v107, v51, vcc
	v_cmp_eq_u32_e32 vcc, 18, v0
	;; [unrolled: 2-line block ×3, first 2 shown]
	v_cndmask_b32_e32 v107, v107, v53, vcc
	s_waitcnt lgkmcnt(0)
	v_mul_f32_e32 v107, v107, v108
	s_cbranch_execz .LBB83_69
	s_branch .LBB83_70
.LBB83_68:
                                        ; implicit-def: $vgpr107
.LBB83_69:
	ds_read_b32 v107, v106
.LBB83_70:
	s_and_saveexec_b64 s[6:7], s[0:1]
	s_cbranch_execz .LBB83_80
; %bb.71:
	v_add_u32_e32 v108, -15, v0
	v_add_u32_e32 v109, -14, v0
	v_cmp_lt_u32_e32 vcc, 6, v108
	v_mov_b32_e32 v108, 14
	s_and_saveexec_b64 s[0:1], vcc
	s_cbranch_execz .LBB83_75
; %bb.72:
	v_and_b32_e32 v108, -8, v109
	v_sub_u32_e32 v110, 0, v108
	s_mov_b64 s[8:9], 21
	s_movk_i32 s12, 0x88
	s_mov_b64 s[10:11], 0
.LBB83_73:                              ; =>This Inner Loop Header: Depth=1
	s_add_i32 s13, s8, -7
	v_mov_b32_e32 v108, s12
	s_add_i32 s14, s8, -6
	s_set_gpr_idx_on s13, gpr_idx(SRC0)
	v_mov_b32_e32 v119, v34
	s_set_gpr_idx_off
	ds_read2_b64 v[111:114], v108 offset1:1
	s_add_i32 s15, s8, -5
	s_set_gpr_idx_on s14, gpr_idx(SRC0)
	v_mov_b32_e32 v120, v34
	s_set_gpr_idx_off
	s_add_i32 s16, s8, -4
	s_set_gpr_idx_on s15, gpr_idx(SRC0)
	v_mov_b32_e32 v121, v34
	s_set_gpr_idx_off
	;; [unrolled: 4-line block ×4, first 2 shown]
	ds_read2_b64 v[115:118], v108 offset0:2 offset1:3
	s_add_i32 s19, s8, -1
	s_waitcnt lgkmcnt(1)
	v_fmac_f32_e32 v107, v119, v111
	s_set_gpr_idx_on s18, gpr_idx(SRC0)
	v_mov_b32_e32 v111, v34
	s_set_gpr_idx_off
	v_fmac_f32_e32 v107, v120, v112
	s_set_gpr_idx_on s19, gpr_idx(SRC0)
	v_mov_b32_e32 v112, v34
	s_set_gpr_idx_off
	;; [unrolled: 4-line block ×3, first 2 shown]
	v_fmac_f32_e32 v107, v122, v114
	s_add_u32 s8, s8, 8
	s_waitcnt lgkmcnt(0)
	v_fmac_f32_e32 v107, v123, v115
	v_add_u32_e32 v108, s8, v110
	v_fmac_f32_e32 v107, v111, v116
	s_addc_u32 s9, s9, 0
	s_add_i32 s12, s12, 32
	s_add_i32 s13, s8, -7
	v_cmp_eq_u32_e32 vcc, 21, v108
	v_fmac_f32_e32 v107, v112, v117
	v_mov_b32_e32 v108, s13
	s_or_b64 s[10:11], vcc, s[10:11]
	v_fmac_f32_e32 v107, v113, v118
	s_andn2_b64 exec, exec, s[10:11]
	s_cbranch_execnz .LBB83_73
; %bb.74:
	s_or_b64 exec, exec, s[10:11]
.LBB83_75:
	s_or_b64 exec, exec, s[0:1]
	v_and_b32_e32 v54, 7, v109
	v_cmp_ne_u32_e32 vcc, 0, v54
	s_and_saveexec_b64 s[8:9], vcc
	s_cbranch_execz .LBB83_79
; %bb.76:
	v_mov_b32_e32 v55, 0x50
	v_lshl_add_u32 v55, v108, 2, v55
	v_mov_b32_e32 v56, 0
	s_mov_b64 s[10:11], 0
.LBB83_77:                              ; =>This Inner Loop Header: Depth=1
	v_cmp_eq_u32_e32 vcc, 1, v108
	v_cndmask_b32_e32 v57, v34, v35, vcc
	v_add_u32_e32 v54, -1, v54
	v_cmp_eq_u32_e32 vcc, 2, v108
	v_cndmask_b32_e32 v57, v57, v36, vcc
	v_cmp_eq_u32_e32 vcc, 0, v54
	v_cmp_eq_u32_e64 s[0:1], 3, v108
	v_cndmask_b32_e64 v57, v57, v37, s[0:1]
	s_or_b64 s[10:11], vcc, s[10:11]
	v_cmp_eq_u32_e32 vcc, 4, v108
	v_cndmask_b32_e32 v57, v57, v38, vcc
	v_cmp_eq_u32_e32 vcc, 5, v108
	v_cndmask_b32_e32 v57, v57, v39, vcc
	;; [unrolled: 2-line block ×11, first 2 shown]
	v_cmp_eq_u32_e32 vcc, 15, v108
	ds_read_b32 v58, v55
	v_cndmask_b32_e32 v57, v57, v49, vcc
	v_cmp_eq_u32_e32 vcc, 16, v108
	v_cndmask_b32_e32 v57, v57, v50, vcc
	v_cmp_eq_u32_e32 vcc, 17, v108
	;; [unrolled: 2-line block ×4, first 2 shown]
	v_add_co_u32_e64 v108, s[0:1], 1, v108
	v_cndmask_b32_e32 v57, v57, v53, vcc
	v_add_u32_e32 v55, 4, v55
	v_addc_co_u32_e64 v56, s[0:1], 0, v56, s[0:1]
	s_waitcnt lgkmcnt(0)
	v_fmac_f32_e32 v107, v57, v58
	s_andn2_b64 exec, exec, s[10:11]
	s_cbranch_execnz .LBB83_77
; %bb.78:
	s_or_b64 exec, exec, s[10:11]
.LBB83_79:
	s_or_b64 exec, exec, s[8:9]
.LBB83_80:
	s_or_b64 exec, exec, s[6:7]
	v_mov_b32_e32 v47, 0
	ds_read_b32 v47, v47 offset:52
	s_waitcnt lgkmcnt(0)
	v_mul_f32_e32 v47, v107, v47
.LBB83_81:
	s_or_b64 exec, exec, s[4:5]
	v_cmp_lt_u32_e64 s[0:1], 12, v0
	ds_write_b32 v106, v46
	s_waitcnt lgkmcnt(0)
	; wave barrier
	s_and_saveexec_b64 s[4:5], s[0:1]
	s_cbranch_execz .LBB83_97
; %bb.82:
	s_andn2_b64 vcc, exec, s[42:43]
	s_cbranch_vccnz .LBB83_84
; %bb.83:
	v_cmp_eq_u32_e32 vcc, 1, v0
	v_cndmask_b32_e32 v107, v34, v35, vcc
	v_cmp_eq_u32_e32 vcc, 2, v0
	v_cndmask_b32_e32 v107, v107, v36, vcc
	;; [unrolled: 2-line block ×15, first 2 shown]
	v_cmp_eq_u32_e32 vcc, 16, v0
	ds_read_b32 v108, v106
	v_cndmask_b32_e32 v107, v107, v50, vcc
	v_cmp_eq_u32_e32 vcc, 17, v0
	v_cndmask_b32_e32 v107, v107, v51, vcc
	v_cmp_eq_u32_e32 vcc, 18, v0
	;; [unrolled: 2-line block ×3, first 2 shown]
	v_cndmask_b32_e32 v107, v107, v53, vcc
	s_waitcnt lgkmcnt(0)
	v_mul_f32_e32 v107, v107, v108
	s_cbranch_execz .LBB83_85
	s_branch .LBB83_86
.LBB83_84:
                                        ; implicit-def: $vgpr107
.LBB83_85:
	ds_read_b32 v107, v106
.LBB83_86:
	s_and_saveexec_b64 s[6:7], s[2:3]
	s_cbranch_execz .LBB83_96
; %bb.87:
	v_add_u32_e32 v108, -14, v0
	v_add_u32_e32 v109, -13, v0
	v_cmp_lt_u32_e32 vcc, 6, v108
	v_mov_b32_e32 v108, 13
	s_and_saveexec_b64 s[2:3], vcc
	s_cbranch_execz .LBB83_91
; %bb.88:
	v_and_b32_e32 v108, -8, v109
	v_sub_u32_e32 v110, 0, v108
	s_mov_b64 s[8:9], 20
	s_movk_i32 s12, 0x84
	s_mov_b64 s[10:11], 0
.LBB83_89:                              ; =>This Inner Loop Header: Depth=1
	s_add_i32 s13, s8, -7
	v_mov_b32_e32 v108, s12
	s_add_i32 s14, s8, -6
	s_set_gpr_idx_on s13, gpr_idx(SRC0)
	v_mov_b32_e32 v117, v34
	s_set_gpr_idx_off
	ds_read2_b32 v[111:112], v108 offset1:1
	s_add_i32 s15, s8, -5
	s_set_gpr_idx_on s14, gpr_idx(SRC0)
	v_mov_b32_e32 v118, v34
	s_set_gpr_idx_off
	s_add_i32 s16, s8, -4
	s_set_gpr_idx_on s15, gpr_idx(SRC0)
	v_mov_b32_e32 v119, v34
	s_set_gpr_idx_off
	ds_read2_b32 v[113:114], v108 offset0:2 offset1:3
	s_add_i32 s17, s8, -3
	s_set_gpr_idx_on s16, gpr_idx(SRC0)
	v_mov_b32_e32 v120, v34
	s_set_gpr_idx_off
	s_add_i32 s18, s8, -2
	s_set_gpr_idx_on s17, gpr_idx(SRC0)
	v_mov_b32_e32 v121, v34
	s_set_gpr_idx_off
	ds_read2_b32 v[115:116], v108 offset0:4 offset1:5
	s_add_i32 s19, s8, -1
	s_waitcnt lgkmcnt(2)
	v_fmac_f32_e32 v107, v117, v111
	s_set_gpr_idx_on s18, gpr_idx(SRC0)
	v_mov_b32_e32 v117, v34
	s_set_gpr_idx_off
	v_fmac_f32_e32 v107, v118, v112
	s_set_gpr_idx_on s19, gpr_idx(SRC0)
	v_mov_b32_e32 v118, v34
	s_set_gpr_idx_off
	ds_read2_b32 v[111:112], v108 offset0:6 offset1:7
	s_waitcnt lgkmcnt(2)
	v_fmac_f32_e32 v107, v119, v113
	s_set_gpr_idx_on s8, gpr_idx(SRC0)
	v_mov_b32_e32 v113, v34
	s_set_gpr_idx_off
	v_fmac_f32_e32 v107, v120, v114
	s_add_u32 s8, s8, 8
	s_waitcnt lgkmcnt(1)
	v_fmac_f32_e32 v107, v121, v115
	v_add_u32_e32 v108, s8, v110
	v_fmac_f32_e32 v107, v117, v116
	s_addc_u32 s9, s9, 0
	s_add_i32 s12, s12, 32
	s_add_i32 s13, s8, -7
	v_cmp_eq_u32_e32 vcc, 20, v108
	s_waitcnt lgkmcnt(0)
	v_fmac_f32_e32 v107, v118, v111
	v_mov_b32_e32 v108, s13
	s_or_b64 s[10:11], vcc, s[10:11]
	v_fmac_f32_e32 v107, v113, v112
	s_andn2_b64 exec, exec, s[10:11]
	s_cbranch_execnz .LBB83_89
; %bb.90:
	s_or_b64 exec, exec, s[10:11]
.LBB83_91:
	s_or_b64 exec, exec, s[2:3]
	v_and_b32_e32 v54, 7, v109
	v_cmp_ne_u32_e32 vcc, 0, v54
	s_and_saveexec_b64 s[8:9], vcc
	s_cbranch_execz .LBB83_95
; %bb.92:
	v_mov_b32_e32 v55, 0x50
	v_lshl_add_u32 v55, v108, 2, v55
	v_mov_b32_e32 v56, 0
	s_mov_b64 s[10:11], 0
.LBB83_93:                              ; =>This Inner Loop Header: Depth=1
	v_cmp_eq_u32_e32 vcc, 1, v108
	v_cndmask_b32_e32 v57, v34, v35, vcc
	v_add_u32_e32 v54, -1, v54
	v_cmp_eq_u32_e32 vcc, 2, v108
	v_cndmask_b32_e32 v57, v57, v36, vcc
	v_cmp_eq_u32_e32 vcc, 0, v54
	v_cmp_eq_u32_e64 s[2:3], 3, v108
	v_cndmask_b32_e64 v57, v57, v37, s[2:3]
	s_or_b64 s[10:11], vcc, s[10:11]
	v_cmp_eq_u32_e32 vcc, 4, v108
	v_cndmask_b32_e32 v57, v57, v38, vcc
	v_cmp_eq_u32_e32 vcc, 5, v108
	v_cndmask_b32_e32 v57, v57, v39, vcc
	;; [unrolled: 2-line block ×11, first 2 shown]
	v_cmp_eq_u32_e32 vcc, 15, v108
	ds_read_b32 v58, v55
	v_cndmask_b32_e32 v57, v57, v49, vcc
	v_cmp_eq_u32_e32 vcc, 16, v108
	v_cndmask_b32_e32 v57, v57, v50, vcc
	v_cmp_eq_u32_e32 vcc, 17, v108
	;; [unrolled: 2-line block ×4, first 2 shown]
	v_add_co_u32_e64 v108, s[2:3], 1, v108
	v_cndmask_b32_e32 v57, v57, v53, vcc
	v_add_u32_e32 v55, 4, v55
	v_addc_co_u32_e64 v56, s[2:3], 0, v56, s[2:3]
	s_waitcnt lgkmcnt(0)
	v_fmac_f32_e32 v107, v57, v58
	s_andn2_b64 exec, exec, s[10:11]
	s_cbranch_execnz .LBB83_93
; %bb.94:
	s_or_b64 exec, exec, s[10:11]
.LBB83_95:
	s_or_b64 exec, exec, s[8:9]
.LBB83_96:
	s_or_b64 exec, exec, s[6:7]
	v_mov_b32_e32 v46, 0
	ds_read_b32 v46, v46 offset:48
	s_waitcnt lgkmcnt(0)
	v_mul_f32_e32 v46, v107, v46
.LBB83_97:
	s_or_b64 exec, exec, s[4:5]
	v_cmp_lt_u32_e64 s[2:3], 11, v0
	ds_write_b32 v106, v45
	s_waitcnt lgkmcnt(0)
	; wave barrier
	s_and_saveexec_b64 s[4:5], s[2:3]
	s_cbranch_execz .LBB83_113
; %bb.98:
	s_andn2_b64 vcc, exec, s[42:43]
	s_cbranch_vccnz .LBB83_100
; %bb.99:
	v_cmp_eq_u32_e32 vcc, 1, v0
	v_cndmask_b32_e32 v107, v34, v35, vcc
	v_cmp_eq_u32_e32 vcc, 2, v0
	v_cndmask_b32_e32 v107, v107, v36, vcc
	;; [unrolled: 2-line block ×15, first 2 shown]
	v_cmp_eq_u32_e32 vcc, 16, v0
	ds_read_b32 v108, v106
	v_cndmask_b32_e32 v107, v107, v50, vcc
	v_cmp_eq_u32_e32 vcc, 17, v0
	v_cndmask_b32_e32 v107, v107, v51, vcc
	v_cmp_eq_u32_e32 vcc, 18, v0
	;; [unrolled: 2-line block ×3, first 2 shown]
	v_cndmask_b32_e32 v107, v107, v53, vcc
	s_waitcnt lgkmcnt(0)
	v_mul_f32_e32 v107, v107, v108
	s_cbranch_execz .LBB83_101
	s_branch .LBB83_102
.LBB83_100:
                                        ; implicit-def: $vgpr107
.LBB83_101:
	ds_read_b32 v107, v106
.LBB83_102:
	s_and_saveexec_b64 s[6:7], s[0:1]
	s_cbranch_execz .LBB83_112
; %bb.103:
	v_add_u32_e32 v108, -13, v0
	v_add_u32_e32 v109, -12, v0
	v_cmp_lt_u32_e32 vcc, 6, v108
	v_mov_b32_e32 v108, 12
	s_and_saveexec_b64 s[0:1], vcc
	s_cbranch_execz .LBB83_107
; %bb.104:
	v_and_b32_e32 v108, -8, v109
	v_sub_u32_e32 v110, 0, v108
	s_mov_b64 s[8:9], 19
	s_movk_i32 s12, 0x80
	s_mov_b64 s[10:11], 0
.LBB83_105:                             ; =>This Inner Loop Header: Depth=1
	s_add_i32 s13, s8, -7
	v_mov_b32_e32 v108, s12
	s_add_i32 s14, s8, -6
	s_set_gpr_idx_on s13, gpr_idx(SRC0)
	v_mov_b32_e32 v119, v34
	s_set_gpr_idx_off
	s_add_i32 s15, s8, -5
	ds_read_b128 v[111:114], v108
	ds_read_b128 v[115:118], v108 offset:16
	s_set_gpr_idx_on s14, gpr_idx(SRC0)
	v_mov_b32_e32 v108, v34
	s_set_gpr_idx_off
	s_add_i32 s16, s8, -4
	s_set_gpr_idx_on s15, gpr_idx(SRC0)
	v_mov_b32_e32 v120, v34
	s_set_gpr_idx_off
	s_add_i32 s17, s8, -3
	;; [unrolled: 4-line block ×4, first 2 shown]
	s_waitcnt lgkmcnt(1)
	v_fmac_f32_e32 v107, v119, v111
	s_set_gpr_idx_on s18, gpr_idx(SRC0)
	v_mov_b32_e32 v111, v34
	s_set_gpr_idx_off
	v_fmac_f32_e32 v107, v108, v112
	s_set_gpr_idx_on s19, gpr_idx(SRC0)
	v_mov_b32_e32 v112, v34
	s_set_gpr_idx_off
	;; [unrolled: 4-line block ×3, first 2 shown]
	v_fmac_f32_e32 v107, v121, v114
	s_add_u32 s8, s8, 8
	s_waitcnt lgkmcnt(0)
	v_fmac_f32_e32 v107, v122, v115
	v_add_u32_e32 v108, s8, v110
	v_fmac_f32_e32 v107, v111, v116
	s_addc_u32 s9, s9, 0
	s_add_i32 s12, s12, 32
	s_add_i32 s13, s8, -7
	v_cmp_eq_u32_e32 vcc, 19, v108
	v_fmac_f32_e32 v107, v112, v117
	v_mov_b32_e32 v108, s13
	s_or_b64 s[10:11], vcc, s[10:11]
	v_fmac_f32_e32 v107, v113, v118
	s_andn2_b64 exec, exec, s[10:11]
	s_cbranch_execnz .LBB83_105
; %bb.106:
	s_or_b64 exec, exec, s[10:11]
.LBB83_107:
	s_or_b64 exec, exec, s[0:1]
	v_and_b32_e32 v54, 7, v109
	v_cmp_ne_u32_e32 vcc, 0, v54
	s_and_saveexec_b64 s[8:9], vcc
	s_cbranch_execz .LBB83_111
; %bb.108:
	v_mov_b32_e32 v55, 0x50
	v_lshl_add_u32 v55, v108, 2, v55
	v_mov_b32_e32 v56, 0
	s_mov_b64 s[10:11], 0
.LBB83_109:                             ; =>This Inner Loop Header: Depth=1
	v_cmp_eq_u32_e32 vcc, 1, v108
	v_cndmask_b32_e32 v57, v34, v35, vcc
	v_add_u32_e32 v54, -1, v54
	v_cmp_eq_u32_e32 vcc, 2, v108
	v_cndmask_b32_e32 v57, v57, v36, vcc
	v_cmp_eq_u32_e32 vcc, 0, v54
	v_cmp_eq_u32_e64 s[0:1], 3, v108
	v_cndmask_b32_e64 v57, v57, v37, s[0:1]
	s_or_b64 s[10:11], vcc, s[10:11]
	v_cmp_eq_u32_e32 vcc, 4, v108
	v_cndmask_b32_e32 v57, v57, v38, vcc
	v_cmp_eq_u32_e32 vcc, 5, v108
	v_cndmask_b32_e32 v57, v57, v39, vcc
	;; [unrolled: 2-line block ×11, first 2 shown]
	v_cmp_eq_u32_e32 vcc, 15, v108
	ds_read_b32 v58, v55
	v_cndmask_b32_e32 v57, v57, v49, vcc
	v_cmp_eq_u32_e32 vcc, 16, v108
	v_cndmask_b32_e32 v57, v57, v50, vcc
	v_cmp_eq_u32_e32 vcc, 17, v108
	v_cndmask_b32_e32 v57, v57, v51, vcc
	v_cmp_eq_u32_e32 vcc, 18, v108
	v_cndmask_b32_e32 v57, v57, v52, vcc
	v_cmp_eq_u32_e32 vcc, 19, v108
	v_add_co_u32_e64 v108, s[0:1], 1, v108
	v_cndmask_b32_e32 v57, v57, v53, vcc
	v_add_u32_e32 v55, 4, v55
	v_addc_co_u32_e64 v56, s[0:1], 0, v56, s[0:1]
	s_waitcnt lgkmcnt(0)
	v_fmac_f32_e32 v107, v57, v58
	s_andn2_b64 exec, exec, s[10:11]
	s_cbranch_execnz .LBB83_109
; %bb.110:
	s_or_b64 exec, exec, s[10:11]
.LBB83_111:
	s_or_b64 exec, exec, s[8:9]
.LBB83_112:
	s_or_b64 exec, exec, s[6:7]
	v_mov_b32_e32 v45, 0
	ds_read_b32 v45, v45 offset:44
	s_waitcnt lgkmcnt(0)
	v_mul_f32_e32 v45, v107, v45
.LBB83_113:
	s_or_b64 exec, exec, s[4:5]
	v_cmp_lt_u32_e64 s[0:1], 10, v0
	ds_write_b32 v106, v44
	s_waitcnt lgkmcnt(0)
	; wave barrier
	s_and_saveexec_b64 s[4:5], s[0:1]
	s_cbranch_execz .LBB83_129
; %bb.114:
	s_andn2_b64 vcc, exec, s[42:43]
	s_cbranch_vccnz .LBB83_116
; %bb.115:
	v_cmp_eq_u32_e32 vcc, 1, v0
	v_cndmask_b32_e32 v107, v34, v35, vcc
	v_cmp_eq_u32_e32 vcc, 2, v0
	v_cndmask_b32_e32 v107, v107, v36, vcc
	;; [unrolled: 2-line block ×15, first 2 shown]
	v_cmp_eq_u32_e32 vcc, 16, v0
	ds_read_b32 v108, v106
	v_cndmask_b32_e32 v107, v107, v50, vcc
	v_cmp_eq_u32_e32 vcc, 17, v0
	v_cndmask_b32_e32 v107, v107, v51, vcc
	v_cmp_eq_u32_e32 vcc, 18, v0
	;; [unrolled: 2-line block ×3, first 2 shown]
	v_cndmask_b32_e32 v107, v107, v53, vcc
	s_waitcnt lgkmcnt(0)
	v_mul_f32_e32 v107, v107, v108
	s_cbranch_execz .LBB83_117
	s_branch .LBB83_118
.LBB83_116:
                                        ; implicit-def: $vgpr107
.LBB83_117:
	ds_read_b32 v107, v106
.LBB83_118:
	s_and_saveexec_b64 s[6:7], s[2:3]
	s_cbranch_execz .LBB83_128
; %bb.119:
	v_add_u32_e32 v108, -12, v0
	v_add_u32_e32 v109, -11, v0
	v_cmp_lt_u32_e32 vcc, 6, v108
	v_mov_b32_e32 v108, 11
	s_and_saveexec_b64 s[2:3], vcc
	s_cbranch_execz .LBB83_123
; %bb.120:
	v_and_b32_e32 v108, -8, v109
	v_sub_u32_e32 v110, 0, v108
	s_mov_b64 s[8:9], 18
	s_movk_i32 s12, 0x7c
	s_mov_b64 s[10:11], 0
.LBB83_121:                             ; =>This Inner Loop Header: Depth=1
	s_add_i32 s13, s8, -7
	v_mov_b32_e32 v108, s12
	s_add_i32 s14, s8, -6
	s_set_gpr_idx_on s13, gpr_idx(SRC0)
	v_mov_b32_e32 v117, v34
	s_set_gpr_idx_off
	ds_read2_b32 v[111:112], v108 offset1:1
	s_add_i32 s15, s8, -5
	s_set_gpr_idx_on s14, gpr_idx(SRC0)
	v_mov_b32_e32 v118, v34
	s_set_gpr_idx_off
	s_add_i32 s16, s8, -4
	s_set_gpr_idx_on s15, gpr_idx(SRC0)
	v_mov_b32_e32 v119, v34
	s_set_gpr_idx_off
	ds_read2_b32 v[113:114], v108 offset0:2 offset1:3
	s_add_i32 s17, s8, -3
	s_set_gpr_idx_on s16, gpr_idx(SRC0)
	v_mov_b32_e32 v120, v34
	s_set_gpr_idx_off
	s_add_i32 s18, s8, -2
	s_set_gpr_idx_on s17, gpr_idx(SRC0)
	v_mov_b32_e32 v121, v34
	s_set_gpr_idx_off
	ds_read2_b32 v[115:116], v108 offset0:4 offset1:5
	s_add_i32 s19, s8, -1
	s_waitcnt lgkmcnt(2)
	v_fmac_f32_e32 v107, v117, v111
	s_set_gpr_idx_on s18, gpr_idx(SRC0)
	v_mov_b32_e32 v117, v34
	s_set_gpr_idx_off
	v_fmac_f32_e32 v107, v118, v112
	s_set_gpr_idx_on s19, gpr_idx(SRC0)
	v_mov_b32_e32 v118, v34
	s_set_gpr_idx_off
	ds_read2_b32 v[111:112], v108 offset0:6 offset1:7
	s_waitcnt lgkmcnt(2)
	v_fmac_f32_e32 v107, v119, v113
	s_set_gpr_idx_on s8, gpr_idx(SRC0)
	v_mov_b32_e32 v113, v34
	s_set_gpr_idx_off
	v_fmac_f32_e32 v107, v120, v114
	s_add_u32 s8, s8, 8
	s_waitcnt lgkmcnt(1)
	v_fmac_f32_e32 v107, v121, v115
	v_add_u32_e32 v108, s8, v110
	v_fmac_f32_e32 v107, v117, v116
	s_addc_u32 s9, s9, 0
	s_add_i32 s12, s12, 32
	s_add_i32 s13, s8, -7
	v_cmp_eq_u32_e32 vcc, 18, v108
	s_waitcnt lgkmcnt(0)
	v_fmac_f32_e32 v107, v118, v111
	v_mov_b32_e32 v108, s13
	s_or_b64 s[10:11], vcc, s[10:11]
	v_fmac_f32_e32 v107, v113, v112
	s_andn2_b64 exec, exec, s[10:11]
	s_cbranch_execnz .LBB83_121
; %bb.122:
	s_or_b64 exec, exec, s[10:11]
.LBB83_123:
	s_or_b64 exec, exec, s[2:3]
	v_and_b32_e32 v54, 7, v109
	v_cmp_ne_u32_e32 vcc, 0, v54
	s_and_saveexec_b64 s[8:9], vcc
	s_cbranch_execz .LBB83_127
; %bb.124:
	v_mov_b32_e32 v55, 0x50
	v_lshl_add_u32 v55, v108, 2, v55
	v_mov_b32_e32 v56, 0
	s_mov_b64 s[10:11], 0
.LBB83_125:                             ; =>This Inner Loop Header: Depth=1
	v_cmp_eq_u32_e32 vcc, 1, v108
	v_cndmask_b32_e32 v57, v34, v35, vcc
	v_add_u32_e32 v54, -1, v54
	v_cmp_eq_u32_e32 vcc, 2, v108
	v_cndmask_b32_e32 v57, v57, v36, vcc
	v_cmp_eq_u32_e32 vcc, 0, v54
	v_cmp_eq_u32_e64 s[2:3], 3, v108
	v_cndmask_b32_e64 v57, v57, v37, s[2:3]
	s_or_b64 s[10:11], vcc, s[10:11]
	v_cmp_eq_u32_e32 vcc, 4, v108
	v_cndmask_b32_e32 v57, v57, v38, vcc
	v_cmp_eq_u32_e32 vcc, 5, v108
	v_cndmask_b32_e32 v57, v57, v39, vcc
	;; [unrolled: 2-line block ×11, first 2 shown]
	v_cmp_eq_u32_e32 vcc, 15, v108
	ds_read_b32 v58, v55
	v_cndmask_b32_e32 v57, v57, v49, vcc
	v_cmp_eq_u32_e32 vcc, 16, v108
	v_cndmask_b32_e32 v57, v57, v50, vcc
	v_cmp_eq_u32_e32 vcc, 17, v108
	;; [unrolled: 2-line block ×4, first 2 shown]
	v_add_co_u32_e64 v108, s[2:3], 1, v108
	v_cndmask_b32_e32 v57, v57, v53, vcc
	v_add_u32_e32 v55, 4, v55
	v_addc_co_u32_e64 v56, s[2:3], 0, v56, s[2:3]
	s_waitcnt lgkmcnt(0)
	v_fmac_f32_e32 v107, v57, v58
	s_andn2_b64 exec, exec, s[10:11]
	s_cbranch_execnz .LBB83_125
; %bb.126:
	s_or_b64 exec, exec, s[10:11]
.LBB83_127:
	s_or_b64 exec, exec, s[8:9]
.LBB83_128:
	s_or_b64 exec, exec, s[6:7]
	v_mov_b32_e32 v44, 0
	ds_read_b32 v44, v44 offset:40
	s_waitcnt lgkmcnt(0)
	v_mul_f32_e32 v44, v107, v44
.LBB83_129:
	s_or_b64 exec, exec, s[4:5]
	v_cmp_lt_u32_e64 s[2:3], 9, v0
	ds_write_b32 v106, v43
	s_waitcnt lgkmcnt(0)
	; wave barrier
	s_and_saveexec_b64 s[4:5], s[2:3]
	s_cbranch_execz .LBB83_145
; %bb.130:
	s_andn2_b64 vcc, exec, s[42:43]
	s_cbranch_vccnz .LBB83_132
; %bb.131:
	v_cmp_eq_u32_e32 vcc, 1, v0
	v_cndmask_b32_e32 v107, v34, v35, vcc
	v_cmp_eq_u32_e32 vcc, 2, v0
	v_cndmask_b32_e32 v107, v107, v36, vcc
	;; [unrolled: 2-line block ×15, first 2 shown]
	v_cmp_eq_u32_e32 vcc, 16, v0
	ds_read_b32 v108, v106
	v_cndmask_b32_e32 v107, v107, v50, vcc
	v_cmp_eq_u32_e32 vcc, 17, v0
	v_cndmask_b32_e32 v107, v107, v51, vcc
	v_cmp_eq_u32_e32 vcc, 18, v0
	;; [unrolled: 2-line block ×3, first 2 shown]
	v_cndmask_b32_e32 v107, v107, v53, vcc
	s_waitcnt lgkmcnt(0)
	v_mul_f32_e32 v107, v107, v108
	s_cbranch_execz .LBB83_133
	s_branch .LBB83_134
.LBB83_132:
                                        ; implicit-def: $vgpr107
.LBB83_133:
	ds_read_b32 v107, v106
.LBB83_134:
	s_and_saveexec_b64 s[6:7], s[0:1]
	s_cbranch_execz .LBB83_144
; %bb.135:
	v_add_u32_e32 v108, -11, v0
	v_add_u32_e32 v109, -10, v0
	v_cmp_lt_u32_e32 vcc, 6, v108
	v_mov_b32_e32 v108, 10
	s_and_saveexec_b64 s[0:1], vcc
	s_cbranch_execz .LBB83_139
; %bb.136:
	v_and_b32_e32 v108, -8, v109
	v_sub_u32_e32 v110, 0, v108
	s_mov_b64 s[8:9], 17
	s_movk_i32 s12, 0x78
	s_mov_b64 s[10:11], 0
.LBB83_137:                             ; =>This Inner Loop Header: Depth=1
	s_add_i32 s13, s8, -7
	v_mov_b32_e32 v108, s12
	s_add_i32 s14, s8, -6
	s_set_gpr_idx_on s13, gpr_idx(SRC0)
	v_mov_b32_e32 v119, v34
	s_set_gpr_idx_off
	ds_read2_b64 v[111:114], v108 offset1:1
	s_add_i32 s15, s8, -5
	s_set_gpr_idx_on s14, gpr_idx(SRC0)
	v_mov_b32_e32 v120, v34
	s_set_gpr_idx_off
	s_add_i32 s16, s8, -4
	s_set_gpr_idx_on s15, gpr_idx(SRC0)
	v_mov_b32_e32 v121, v34
	s_set_gpr_idx_off
	;; [unrolled: 4-line block ×4, first 2 shown]
	ds_read2_b64 v[115:118], v108 offset0:2 offset1:3
	s_add_i32 s19, s8, -1
	s_waitcnt lgkmcnt(1)
	v_fmac_f32_e32 v107, v119, v111
	s_set_gpr_idx_on s18, gpr_idx(SRC0)
	v_mov_b32_e32 v111, v34
	s_set_gpr_idx_off
	v_fmac_f32_e32 v107, v120, v112
	s_set_gpr_idx_on s19, gpr_idx(SRC0)
	v_mov_b32_e32 v112, v34
	s_set_gpr_idx_off
	;; [unrolled: 4-line block ×3, first 2 shown]
	v_fmac_f32_e32 v107, v122, v114
	s_add_u32 s8, s8, 8
	s_waitcnt lgkmcnt(0)
	v_fmac_f32_e32 v107, v123, v115
	v_add_u32_e32 v108, s8, v110
	v_fmac_f32_e32 v107, v111, v116
	s_addc_u32 s9, s9, 0
	s_add_i32 s12, s12, 32
	s_add_i32 s13, s8, -7
	v_cmp_eq_u32_e32 vcc, 17, v108
	v_fmac_f32_e32 v107, v112, v117
	v_mov_b32_e32 v108, s13
	s_or_b64 s[10:11], vcc, s[10:11]
	v_fmac_f32_e32 v107, v113, v118
	s_andn2_b64 exec, exec, s[10:11]
	s_cbranch_execnz .LBB83_137
; %bb.138:
	s_or_b64 exec, exec, s[10:11]
.LBB83_139:
	s_or_b64 exec, exec, s[0:1]
	v_and_b32_e32 v54, 7, v109
	v_cmp_ne_u32_e32 vcc, 0, v54
	s_and_saveexec_b64 s[8:9], vcc
	s_cbranch_execz .LBB83_143
; %bb.140:
	v_mov_b32_e32 v55, 0x50
	v_lshl_add_u32 v55, v108, 2, v55
	v_mov_b32_e32 v56, 0
	s_mov_b64 s[10:11], 0
.LBB83_141:                             ; =>This Inner Loop Header: Depth=1
	v_cmp_eq_u32_e32 vcc, 1, v108
	v_cndmask_b32_e32 v57, v34, v35, vcc
	v_add_u32_e32 v54, -1, v54
	v_cmp_eq_u32_e32 vcc, 2, v108
	v_cndmask_b32_e32 v57, v57, v36, vcc
	v_cmp_eq_u32_e32 vcc, 0, v54
	v_cmp_eq_u32_e64 s[0:1], 3, v108
	v_cndmask_b32_e64 v57, v57, v37, s[0:1]
	s_or_b64 s[10:11], vcc, s[10:11]
	v_cmp_eq_u32_e32 vcc, 4, v108
	v_cndmask_b32_e32 v57, v57, v38, vcc
	v_cmp_eq_u32_e32 vcc, 5, v108
	v_cndmask_b32_e32 v57, v57, v39, vcc
	;; [unrolled: 2-line block ×11, first 2 shown]
	v_cmp_eq_u32_e32 vcc, 15, v108
	ds_read_b32 v58, v55
	v_cndmask_b32_e32 v57, v57, v49, vcc
	v_cmp_eq_u32_e32 vcc, 16, v108
	v_cndmask_b32_e32 v57, v57, v50, vcc
	v_cmp_eq_u32_e32 vcc, 17, v108
	;; [unrolled: 2-line block ×4, first 2 shown]
	v_add_co_u32_e64 v108, s[0:1], 1, v108
	v_cndmask_b32_e32 v57, v57, v53, vcc
	v_add_u32_e32 v55, 4, v55
	v_addc_co_u32_e64 v56, s[0:1], 0, v56, s[0:1]
	s_waitcnt lgkmcnt(0)
	v_fmac_f32_e32 v107, v57, v58
	s_andn2_b64 exec, exec, s[10:11]
	s_cbranch_execnz .LBB83_141
; %bb.142:
	s_or_b64 exec, exec, s[10:11]
.LBB83_143:
	s_or_b64 exec, exec, s[8:9]
.LBB83_144:
	s_or_b64 exec, exec, s[6:7]
	v_mov_b32_e32 v43, 0
	ds_read_b32 v43, v43 offset:36
	s_waitcnt lgkmcnt(0)
	v_mul_f32_e32 v43, v107, v43
.LBB83_145:
	s_or_b64 exec, exec, s[4:5]
	v_cmp_lt_u32_e64 s[0:1], 8, v0
	ds_write_b32 v106, v42
	s_waitcnt lgkmcnt(0)
	; wave barrier
	s_and_saveexec_b64 s[4:5], s[0:1]
	s_cbranch_execz .LBB83_161
; %bb.146:
	s_andn2_b64 vcc, exec, s[42:43]
	s_cbranch_vccnz .LBB83_148
; %bb.147:
	v_cmp_eq_u32_e32 vcc, 1, v0
	v_cndmask_b32_e32 v107, v34, v35, vcc
	v_cmp_eq_u32_e32 vcc, 2, v0
	v_cndmask_b32_e32 v107, v107, v36, vcc
	;; [unrolled: 2-line block ×15, first 2 shown]
	v_cmp_eq_u32_e32 vcc, 16, v0
	ds_read_b32 v108, v106
	v_cndmask_b32_e32 v107, v107, v50, vcc
	v_cmp_eq_u32_e32 vcc, 17, v0
	v_cndmask_b32_e32 v107, v107, v51, vcc
	v_cmp_eq_u32_e32 vcc, 18, v0
	;; [unrolled: 2-line block ×3, first 2 shown]
	v_cndmask_b32_e32 v107, v107, v53, vcc
	s_waitcnt lgkmcnt(0)
	v_mul_f32_e32 v107, v107, v108
	s_cbranch_execz .LBB83_149
	s_branch .LBB83_150
.LBB83_148:
                                        ; implicit-def: $vgpr107
.LBB83_149:
	ds_read_b32 v107, v106
.LBB83_150:
	s_and_saveexec_b64 s[6:7], s[2:3]
	s_cbranch_execz .LBB83_160
; %bb.151:
	v_add_u32_e32 v108, -10, v0
	v_add_u32_e32 v109, -9, v0
	v_cmp_lt_u32_e32 vcc, 6, v108
	v_mov_b32_e32 v108, 9
	s_and_saveexec_b64 s[2:3], vcc
	s_cbranch_execz .LBB83_155
; %bb.152:
	v_and_b32_e32 v108, -8, v109
	v_sub_u32_e32 v110, 0, v108
	s_mov_b64 s[8:9], 16
	s_movk_i32 s12, 0x74
	s_mov_b64 s[10:11], 0
.LBB83_153:                             ; =>This Inner Loop Header: Depth=1
	s_add_i32 s13, s8, -7
	v_mov_b32_e32 v108, s12
	s_add_i32 s14, s8, -6
	s_set_gpr_idx_on s13, gpr_idx(SRC0)
	v_mov_b32_e32 v117, v34
	s_set_gpr_idx_off
	ds_read2_b32 v[111:112], v108 offset1:1
	s_add_i32 s15, s8, -5
	s_set_gpr_idx_on s14, gpr_idx(SRC0)
	v_mov_b32_e32 v118, v34
	s_set_gpr_idx_off
	s_add_i32 s16, s8, -4
	s_set_gpr_idx_on s15, gpr_idx(SRC0)
	v_mov_b32_e32 v119, v34
	s_set_gpr_idx_off
	ds_read2_b32 v[113:114], v108 offset0:2 offset1:3
	s_add_i32 s17, s8, -3
	s_set_gpr_idx_on s16, gpr_idx(SRC0)
	v_mov_b32_e32 v120, v34
	s_set_gpr_idx_off
	s_add_i32 s18, s8, -2
	s_set_gpr_idx_on s17, gpr_idx(SRC0)
	v_mov_b32_e32 v121, v34
	s_set_gpr_idx_off
	ds_read2_b32 v[115:116], v108 offset0:4 offset1:5
	s_add_i32 s19, s8, -1
	s_waitcnt lgkmcnt(2)
	v_fmac_f32_e32 v107, v117, v111
	s_set_gpr_idx_on s18, gpr_idx(SRC0)
	v_mov_b32_e32 v117, v34
	s_set_gpr_idx_off
	v_fmac_f32_e32 v107, v118, v112
	s_set_gpr_idx_on s19, gpr_idx(SRC0)
	v_mov_b32_e32 v118, v34
	s_set_gpr_idx_off
	ds_read2_b32 v[111:112], v108 offset0:6 offset1:7
	s_waitcnt lgkmcnt(2)
	v_fmac_f32_e32 v107, v119, v113
	s_set_gpr_idx_on s8, gpr_idx(SRC0)
	v_mov_b32_e32 v113, v34
	s_set_gpr_idx_off
	v_fmac_f32_e32 v107, v120, v114
	s_add_u32 s8, s8, 8
	s_waitcnt lgkmcnt(1)
	v_fmac_f32_e32 v107, v121, v115
	v_add_u32_e32 v108, s8, v110
	v_fmac_f32_e32 v107, v117, v116
	s_addc_u32 s9, s9, 0
	s_add_i32 s12, s12, 32
	s_add_i32 s13, s8, -7
	v_cmp_eq_u32_e32 vcc, 16, v108
	s_waitcnt lgkmcnt(0)
	v_fmac_f32_e32 v107, v118, v111
	v_mov_b32_e32 v108, s13
	s_or_b64 s[10:11], vcc, s[10:11]
	v_fmac_f32_e32 v107, v113, v112
	s_andn2_b64 exec, exec, s[10:11]
	s_cbranch_execnz .LBB83_153
; %bb.154:
	s_or_b64 exec, exec, s[10:11]
.LBB83_155:
	s_or_b64 exec, exec, s[2:3]
	v_and_b32_e32 v54, 7, v109
	v_cmp_ne_u32_e32 vcc, 0, v54
	s_and_saveexec_b64 s[8:9], vcc
	s_cbranch_execz .LBB83_159
; %bb.156:
	v_mov_b32_e32 v55, 0x50
	v_lshl_add_u32 v55, v108, 2, v55
	v_mov_b32_e32 v56, 0
	s_mov_b64 s[10:11], 0
.LBB83_157:                             ; =>This Inner Loop Header: Depth=1
	v_cmp_eq_u32_e32 vcc, 1, v108
	v_cndmask_b32_e32 v57, v34, v35, vcc
	v_add_u32_e32 v54, -1, v54
	v_cmp_eq_u32_e32 vcc, 2, v108
	v_cndmask_b32_e32 v57, v57, v36, vcc
	v_cmp_eq_u32_e32 vcc, 0, v54
	v_cmp_eq_u32_e64 s[2:3], 3, v108
	v_cndmask_b32_e64 v57, v57, v37, s[2:3]
	s_or_b64 s[10:11], vcc, s[10:11]
	v_cmp_eq_u32_e32 vcc, 4, v108
	v_cndmask_b32_e32 v57, v57, v38, vcc
	v_cmp_eq_u32_e32 vcc, 5, v108
	v_cndmask_b32_e32 v57, v57, v39, vcc
	;; [unrolled: 2-line block ×11, first 2 shown]
	v_cmp_eq_u32_e32 vcc, 15, v108
	ds_read_b32 v58, v55
	v_cndmask_b32_e32 v57, v57, v49, vcc
	v_cmp_eq_u32_e32 vcc, 16, v108
	v_cndmask_b32_e32 v57, v57, v50, vcc
	v_cmp_eq_u32_e32 vcc, 17, v108
	;; [unrolled: 2-line block ×4, first 2 shown]
	v_add_co_u32_e64 v108, s[2:3], 1, v108
	v_cndmask_b32_e32 v57, v57, v53, vcc
	v_add_u32_e32 v55, 4, v55
	v_addc_co_u32_e64 v56, s[2:3], 0, v56, s[2:3]
	s_waitcnt lgkmcnt(0)
	v_fmac_f32_e32 v107, v57, v58
	s_andn2_b64 exec, exec, s[10:11]
	s_cbranch_execnz .LBB83_157
; %bb.158:
	s_or_b64 exec, exec, s[10:11]
.LBB83_159:
	s_or_b64 exec, exec, s[8:9]
.LBB83_160:
	s_or_b64 exec, exec, s[6:7]
	v_mov_b32_e32 v42, 0
	ds_read_b32 v42, v42 offset:32
	s_waitcnt lgkmcnt(0)
	v_mul_f32_e32 v42, v107, v42
.LBB83_161:
	s_or_b64 exec, exec, s[4:5]
	v_cmp_lt_u32_e64 s[2:3], 7, v0
	ds_write_b32 v106, v41
	s_waitcnt lgkmcnt(0)
	; wave barrier
	s_and_saveexec_b64 s[4:5], s[2:3]
	s_cbranch_execz .LBB83_177
; %bb.162:
	s_andn2_b64 vcc, exec, s[42:43]
	s_cbranch_vccnz .LBB83_164
; %bb.163:
	v_cmp_eq_u32_e32 vcc, 1, v0
	v_cndmask_b32_e32 v107, v34, v35, vcc
	v_cmp_eq_u32_e32 vcc, 2, v0
	v_cndmask_b32_e32 v107, v107, v36, vcc
	;; [unrolled: 2-line block ×15, first 2 shown]
	v_cmp_eq_u32_e32 vcc, 16, v0
	ds_read_b32 v108, v106
	v_cndmask_b32_e32 v107, v107, v50, vcc
	v_cmp_eq_u32_e32 vcc, 17, v0
	v_cndmask_b32_e32 v107, v107, v51, vcc
	v_cmp_eq_u32_e32 vcc, 18, v0
	;; [unrolled: 2-line block ×3, first 2 shown]
	v_cndmask_b32_e32 v107, v107, v53, vcc
	s_waitcnt lgkmcnt(0)
	v_mul_f32_e32 v107, v107, v108
	s_cbranch_execz .LBB83_165
	s_branch .LBB83_166
.LBB83_164:
                                        ; implicit-def: $vgpr107
.LBB83_165:
	ds_read_b32 v107, v106
.LBB83_166:
	s_and_saveexec_b64 s[6:7], s[0:1]
	s_cbranch_execz .LBB83_176
; %bb.167:
	v_add_u32_e32 v108, -9, v0
	v_cmp_lt_u32_e32 vcc, 6, v108
	v_mov_b32_e32 v108, 8
	s_and_saveexec_b64 s[0:1], vcc
	s_cbranch_execz .LBB83_171
; %bb.168:
	v_and_b32_e32 v108, 24, v0
	v_sub_u32_e32 v109, 0, v108
	s_mov_b64 s[8:9], 15
	s_movk_i32 s12, 0x70
	s_mov_b64 s[10:11], 0
.LBB83_169:                             ; =>This Inner Loop Header: Depth=1
	s_add_i32 s13, s8, -7
	v_mov_b32_e32 v108, s12
	s_add_i32 s14, s8, -6
	s_set_gpr_idx_on s13, gpr_idx(SRC0)
	v_mov_b32_e32 v118, v34
	s_set_gpr_idx_off
	s_add_i32 s15, s8, -5
	ds_read_b128 v[110:113], v108
	ds_read_b128 v[114:117], v108 offset:16
	s_set_gpr_idx_on s14, gpr_idx(SRC0)
	v_mov_b32_e32 v108, v34
	s_set_gpr_idx_off
	s_add_i32 s16, s8, -4
	s_set_gpr_idx_on s15, gpr_idx(SRC0)
	v_mov_b32_e32 v119, v34
	s_set_gpr_idx_off
	s_add_i32 s17, s8, -3
	;; [unrolled: 4-line block ×4, first 2 shown]
	s_waitcnt lgkmcnt(1)
	v_fmac_f32_e32 v107, v118, v110
	s_set_gpr_idx_on s18, gpr_idx(SRC0)
	v_mov_b32_e32 v110, v34
	s_set_gpr_idx_off
	v_fmac_f32_e32 v107, v108, v111
	s_set_gpr_idx_on s19, gpr_idx(SRC0)
	v_mov_b32_e32 v111, v34
	s_set_gpr_idx_off
	;; [unrolled: 4-line block ×3, first 2 shown]
	v_fmac_f32_e32 v107, v120, v113
	s_add_u32 s8, s8, 8
	s_waitcnt lgkmcnt(0)
	v_fmac_f32_e32 v107, v121, v114
	v_add_u32_e32 v108, s8, v109
	v_fmac_f32_e32 v107, v110, v115
	s_addc_u32 s9, s9, 0
	s_add_i32 s12, s12, 32
	s_add_i32 s13, s8, -7
	v_cmp_eq_u32_e32 vcc, 7, v108
	v_fmac_f32_e32 v107, v111, v116
	v_mov_b32_e32 v108, s13
	s_or_b64 s[10:11], vcc, s[10:11]
	v_fmac_f32_e32 v107, v112, v117
	s_andn2_b64 exec, exec, s[10:11]
	s_cbranch_execnz .LBB83_169
; %bb.170:
	s_or_b64 exec, exec, s[10:11]
.LBB83_171:
	s_or_b64 exec, exec, s[0:1]
	v_and_b32_e32 v54, 7, v0
	v_cmp_ne_u32_e32 vcc, 0, v54
	s_and_saveexec_b64 s[8:9], vcc
	s_cbranch_execz .LBB83_175
; %bb.172:
	v_mov_b32_e32 v55, 0x50
	v_lshl_add_u32 v55, v108, 2, v55
	v_mov_b32_e32 v56, 0
	s_mov_b64 s[10:11], 0
.LBB83_173:                             ; =>This Inner Loop Header: Depth=1
	v_cmp_eq_u32_e32 vcc, 1, v108
	v_cndmask_b32_e32 v57, v34, v35, vcc
	v_add_u32_e32 v54, -1, v54
	v_cmp_eq_u32_e32 vcc, 2, v108
	v_cndmask_b32_e32 v57, v57, v36, vcc
	v_cmp_eq_u32_e32 vcc, 0, v54
	v_cmp_eq_u32_e64 s[0:1], 3, v108
	v_cndmask_b32_e64 v57, v57, v37, s[0:1]
	s_or_b64 s[10:11], vcc, s[10:11]
	v_cmp_eq_u32_e32 vcc, 4, v108
	v_cndmask_b32_e32 v57, v57, v38, vcc
	v_cmp_eq_u32_e32 vcc, 5, v108
	v_cndmask_b32_e32 v57, v57, v39, vcc
	;; [unrolled: 2-line block ×11, first 2 shown]
	v_cmp_eq_u32_e32 vcc, 15, v108
	ds_read_b32 v58, v55
	v_cndmask_b32_e32 v57, v57, v49, vcc
	v_cmp_eq_u32_e32 vcc, 16, v108
	v_cndmask_b32_e32 v57, v57, v50, vcc
	v_cmp_eq_u32_e32 vcc, 17, v108
	;; [unrolled: 2-line block ×4, first 2 shown]
	v_add_co_u32_e64 v108, s[0:1], 1, v108
	v_cndmask_b32_e32 v57, v57, v53, vcc
	v_add_u32_e32 v55, 4, v55
	v_addc_co_u32_e64 v56, s[0:1], 0, v56, s[0:1]
	s_waitcnt lgkmcnt(0)
	v_fmac_f32_e32 v107, v57, v58
	s_andn2_b64 exec, exec, s[10:11]
	s_cbranch_execnz .LBB83_173
; %bb.174:
	s_or_b64 exec, exec, s[10:11]
.LBB83_175:
	s_or_b64 exec, exec, s[8:9]
.LBB83_176:
	s_or_b64 exec, exec, s[6:7]
	v_mov_b32_e32 v41, 0
	ds_read_b32 v41, v41 offset:28
	s_waitcnt lgkmcnt(0)
	v_mul_f32_e32 v41, v107, v41
.LBB83_177:
	s_or_b64 exec, exec, s[4:5]
	v_cmp_lt_u32_e64 s[0:1], 6, v0
	ds_write_b32 v106, v40
	s_waitcnt lgkmcnt(0)
	; wave barrier
	s_and_saveexec_b64 s[4:5], s[0:1]
	s_cbranch_execz .LBB83_193
; %bb.178:
	s_andn2_b64 vcc, exec, s[42:43]
	s_cbranch_vccnz .LBB83_180
; %bb.179:
	v_cmp_eq_u32_e32 vcc, 1, v0
	v_cndmask_b32_e32 v107, v34, v35, vcc
	v_cmp_eq_u32_e32 vcc, 2, v0
	v_cndmask_b32_e32 v107, v107, v36, vcc
	v_cmp_eq_u32_e32 vcc, 3, v0
	v_cndmask_b32_e32 v107, v107, v37, vcc
	v_cmp_eq_u32_e32 vcc, 4, v0
	v_cndmask_b32_e32 v107, v107, v38, vcc
	v_cmp_eq_u32_e32 vcc, 5, v0
	v_cndmask_b32_e32 v107, v107, v39, vcc
	v_cmp_eq_u32_e32 vcc, 6, v0
	v_cndmask_b32_e32 v107, v107, v40, vcc
	v_cmp_eq_u32_e32 vcc, 7, v0
	v_cndmask_b32_e32 v107, v107, v41, vcc
	v_cmp_eq_u32_e32 vcc, 8, v0
	v_cndmask_b32_e32 v107, v107, v42, vcc
	v_cmp_eq_u32_e32 vcc, 9, v0
	v_cndmask_b32_e32 v107, v107, v43, vcc
	v_cmp_eq_u32_e32 vcc, 10, v0
	v_cndmask_b32_e32 v107, v107, v44, vcc
	v_cmp_eq_u32_e32 vcc, 11, v0
	v_cndmask_b32_e32 v107, v107, v45, vcc
	v_cmp_eq_u32_e32 vcc, 12, v0
	v_cndmask_b32_e32 v107, v107, v46, vcc
	v_cmp_eq_u32_e32 vcc, 13, v0
	v_cndmask_b32_e32 v107, v107, v47, vcc
	v_cmp_eq_u32_e32 vcc, 14, v0
	v_cndmask_b32_e32 v107, v107, v48, vcc
	v_cmp_eq_u32_e32 vcc, 15, v0
	v_cndmask_b32_e32 v107, v107, v49, vcc
	v_cmp_eq_u32_e32 vcc, 16, v0
	ds_read_b32 v108, v106
	v_cndmask_b32_e32 v107, v107, v50, vcc
	v_cmp_eq_u32_e32 vcc, 17, v0
	v_cndmask_b32_e32 v107, v107, v51, vcc
	v_cmp_eq_u32_e32 vcc, 18, v0
	;; [unrolled: 2-line block ×3, first 2 shown]
	v_cndmask_b32_e32 v107, v107, v53, vcc
	s_waitcnt lgkmcnt(0)
	v_mul_f32_e32 v107, v107, v108
	s_cbranch_execz .LBB83_181
	s_branch .LBB83_182
.LBB83_180:
                                        ; implicit-def: $vgpr107
.LBB83_181:
	ds_read_b32 v107, v106
.LBB83_182:
	s_and_saveexec_b64 s[6:7], s[2:3]
	s_cbranch_execz .LBB83_192
; %bb.183:
	v_add_u32_e32 v108, -8, v0
	v_add_u32_e32 v109, -7, v0
	v_cmp_lt_u32_e32 vcc, 6, v108
	v_mov_b32_e32 v108, 7
	s_and_saveexec_b64 s[2:3], vcc
	s_cbranch_execz .LBB83_187
; %bb.184:
	v_and_b32_e32 v108, -8, v109
	v_sub_u32_e32 v110, 0, v108
	s_mov_b64 s[8:9], 14
	s_movk_i32 s12, 0x6c
	s_mov_b64 s[10:11], 0
.LBB83_185:                             ; =>This Inner Loop Header: Depth=1
	s_add_i32 s13, s8, -7
	v_mov_b32_e32 v108, s12
	s_add_i32 s14, s8, -6
	s_set_gpr_idx_on s13, gpr_idx(SRC0)
	v_mov_b32_e32 v117, v34
	s_set_gpr_idx_off
	ds_read2_b32 v[111:112], v108 offset1:1
	s_add_i32 s15, s8, -5
	s_set_gpr_idx_on s14, gpr_idx(SRC0)
	v_mov_b32_e32 v118, v34
	s_set_gpr_idx_off
	s_add_i32 s16, s8, -4
	s_set_gpr_idx_on s15, gpr_idx(SRC0)
	v_mov_b32_e32 v119, v34
	s_set_gpr_idx_off
	ds_read2_b32 v[113:114], v108 offset0:2 offset1:3
	s_add_i32 s17, s8, -3
	s_set_gpr_idx_on s16, gpr_idx(SRC0)
	v_mov_b32_e32 v120, v34
	s_set_gpr_idx_off
	s_add_i32 s18, s8, -2
	s_set_gpr_idx_on s17, gpr_idx(SRC0)
	v_mov_b32_e32 v121, v34
	s_set_gpr_idx_off
	ds_read2_b32 v[115:116], v108 offset0:4 offset1:5
	s_add_i32 s19, s8, -1
	s_waitcnt lgkmcnt(2)
	v_fmac_f32_e32 v107, v117, v111
	s_set_gpr_idx_on s18, gpr_idx(SRC0)
	v_mov_b32_e32 v117, v34
	s_set_gpr_idx_off
	v_fmac_f32_e32 v107, v118, v112
	s_set_gpr_idx_on s19, gpr_idx(SRC0)
	v_mov_b32_e32 v118, v34
	s_set_gpr_idx_off
	ds_read2_b32 v[111:112], v108 offset0:6 offset1:7
	s_waitcnt lgkmcnt(2)
	v_fmac_f32_e32 v107, v119, v113
	s_set_gpr_idx_on s8, gpr_idx(SRC0)
	v_mov_b32_e32 v113, v34
	s_set_gpr_idx_off
	v_fmac_f32_e32 v107, v120, v114
	s_add_u32 s8, s8, 8
	s_waitcnt lgkmcnt(1)
	v_fmac_f32_e32 v107, v121, v115
	v_add_u32_e32 v108, s8, v110
	v_fmac_f32_e32 v107, v117, v116
	s_addc_u32 s9, s9, 0
	s_add_i32 s12, s12, 32
	s_add_i32 s13, s8, -7
	v_cmp_eq_u32_e32 vcc, 14, v108
	s_waitcnt lgkmcnt(0)
	v_fmac_f32_e32 v107, v118, v111
	v_mov_b32_e32 v108, s13
	s_or_b64 s[10:11], vcc, s[10:11]
	v_fmac_f32_e32 v107, v113, v112
	s_andn2_b64 exec, exec, s[10:11]
	s_cbranch_execnz .LBB83_185
; %bb.186:
	s_or_b64 exec, exec, s[10:11]
.LBB83_187:
	s_or_b64 exec, exec, s[2:3]
	v_and_b32_e32 v54, 7, v109
	v_cmp_ne_u32_e32 vcc, 0, v54
	s_and_saveexec_b64 s[8:9], vcc
	s_cbranch_execz .LBB83_191
; %bb.188:
	v_mov_b32_e32 v55, 0x50
	v_lshl_add_u32 v55, v108, 2, v55
	v_mov_b32_e32 v56, 0
	s_mov_b64 s[10:11], 0
.LBB83_189:                             ; =>This Inner Loop Header: Depth=1
	v_cmp_eq_u32_e32 vcc, 1, v108
	v_cndmask_b32_e32 v57, v34, v35, vcc
	v_add_u32_e32 v54, -1, v54
	v_cmp_eq_u32_e32 vcc, 2, v108
	v_cndmask_b32_e32 v57, v57, v36, vcc
	v_cmp_eq_u32_e32 vcc, 0, v54
	v_cmp_eq_u32_e64 s[2:3], 3, v108
	v_cndmask_b32_e64 v57, v57, v37, s[2:3]
	s_or_b64 s[10:11], vcc, s[10:11]
	v_cmp_eq_u32_e32 vcc, 4, v108
	v_cndmask_b32_e32 v57, v57, v38, vcc
	v_cmp_eq_u32_e32 vcc, 5, v108
	v_cndmask_b32_e32 v57, v57, v39, vcc
	;; [unrolled: 2-line block ×11, first 2 shown]
	v_cmp_eq_u32_e32 vcc, 15, v108
	ds_read_b32 v58, v55
	v_cndmask_b32_e32 v57, v57, v49, vcc
	v_cmp_eq_u32_e32 vcc, 16, v108
	v_cndmask_b32_e32 v57, v57, v50, vcc
	v_cmp_eq_u32_e32 vcc, 17, v108
	;; [unrolled: 2-line block ×4, first 2 shown]
	v_add_co_u32_e64 v108, s[2:3], 1, v108
	v_cndmask_b32_e32 v57, v57, v53, vcc
	v_add_u32_e32 v55, 4, v55
	v_addc_co_u32_e64 v56, s[2:3], 0, v56, s[2:3]
	s_waitcnt lgkmcnt(0)
	v_fmac_f32_e32 v107, v57, v58
	s_andn2_b64 exec, exec, s[10:11]
	s_cbranch_execnz .LBB83_189
; %bb.190:
	s_or_b64 exec, exec, s[10:11]
.LBB83_191:
	s_or_b64 exec, exec, s[8:9]
.LBB83_192:
	s_or_b64 exec, exec, s[6:7]
	v_mov_b32_e32 v40, 0
	ds_read_b32 v40, v40 offset:24
	s_waitcnt lgkmcnt(0)
	v_mul_f32_e32 v40, v107, v40
.LBB83_193:
	s_or_b64 exec, exec, s[4:5]
	v_cmp_lt_u32_e64 s[2:3], 5, v0
	ds_write_b32 v106, v39
	s_waitcnt lgkmcnt(0)
	; wave barrier
	s_and_saveexec_b64 s[4:5], s[2:3]
	s_cbranch_execz .LBB83_209
; %bb.194:
	s_andn2_b64 vcc, exec, s[42:43]
	s_cbranch_vccnz .LBB83_196
; %bb.195:
	v_cmp_eq_u32_e32 vcc, 1, v0
	v_cndmask_b32_e32 v107, v34, v35, vcc
	v_cmp_eq_u32_e32 vcc, 2, v0
	v_cndmask_b32_e32 v107, v107, v36, vcc
	;; [unrolled: 2-line block ×15, first 2 shown]
	v_cmp_eq_u32_e32 vcc, 16, v0
	ds_read_b32 v108, v106
	v_cndmask_b32_e32 v107, v107, v50, vcc
	v_cmp_eq_u32_e32 vcc, 17, v0
	v_cndmask_b32_e32 v107, v107, v51, vcc
	v_cmp_eq_u32_e32 vcc, 18, v0
	;; [unrolled: 2-line block ×3, first 2 shown]
	v_cndmask_b32_e32 v107, v107, v53, vcc
	s_waitcnt lgkmcnt(0)
	v_mul_f32_e32 v107, v107, v108
	s_cbranch_execz .LBB83_197
	s_branch .LBB83_198
.LBB83_196:
                                        ; implicit-def: $vgpr107
.LBB83_197:
	ds_read_b32 v107, v106
.LBB83_198:
	s_and_saveexec_b64 s[6:7], s[0:1]
	s_cbranch_execz .LBB83_208
; %bb.199:
	v_add_u32_e32 v110, -7, v0
	v_add_u32_e32 v109, -6, v0
	v_mov_b32_e32 v108, 6
	v_cmp_lt_u32_e32 vcc, 6, v110
	s_and_saveexec_b64 s[0:1], vcc
	s_cbranch_execz .LBB83_203
; %bb.200:
	v_and_b32_e32 v108, -8, v109
	v_sub_u32_e32 v110, 0, v108
	s_mov_b64 s[8:9], 13
	s_movk_i32 s12, 0x68
	s_mov_b64 s[10:11], 0
.LBB83_201:                             ; =>This Inner Loop Header: Depth=1
	s_add_i32 s13, s8, -7
	v_mov_b32_e32 v108, s12
	s_add_i32 s14, s8, -6
	s_set_gpr_idx_on s13, gpr_idx(SRC0)
	v_mov_b32_e32 v119, v34
	s_set_gpr_idx_off
	ds_read2_b64 v[111:114], v108 offset1:1
	s_add_i32 s15, s8, -5
	s_set_gpr_idx_on s14, gpr_idx(SRC0)
	v_mov_b32_e32 v120, v34
	s_set_gpr_idx_off
	s_add_i32 s16, s8, -4
	s_set_gpr_idx_on s15, gpr_idx(SRC0)
	v_mov_b32_e32 v121, v34
	s_set_gpr_idx_off
	;; [unrolled: 4-line block ×4, first 2 shown]
	ds_read2_b64 v[115:118], v108 offset0:2 offset1:3
	s_add_i32 s19, s8, -1
	s_waitcnt lgkmcnt(1)
	v_fmac_f32_e32 v107, v119, v111
	s_set_gpr_idx_on s18, gpr_idx(SRC0)
	v_mov_b32_e32 v111, v34
	s_set_gpr_idx_off
	v_fmac_f32_e32 v107, v120, v112
	s_set_gpr_idx_on s19, gpr_idx(SRC0)
	v_mov_b32_e32 v112, v34
	s_set_gpr_idx_off
	v_fmac_f32_e32 v107, v121, v113
	s_set_gpr_idx_on s8, gpr_idx(SRC0)
	v_mov_b32_e32 v113, v34
	s_set_gpr_idx_off
	v_fmac_f32_e32 v107, v122, v114
	s_add_u32 s8, s8, 8
	s_waitcnt lgkmcnt(0)
	v_fmac_f32_e32 v107, v123, v115
	v_add_u32_e32 v108, s8, v110
	v_fmac_f32_e32 v107, v111, v116
	s_addc_u32 s9, s9, 0
	s_add_i32 s12, s12, 32
	s_add_i32 s13, s8, -7
	v_cmp_eq_u32_e32 vcc, 13, v108
	v_fmac_f32_e32 v107, v112, v117
	v_mov_b32_e32 v108, s13
	s_or_b64 s[10:11], vcc, s[10:11]
	v_fmac_f32_e32 v107, v113, v118
	s_andn2_b64 exec, exec, s[10:11]
	s_cbranch_execnz .LBB83_201
; %bb.202:
	s_or_b64 exec, exec, s[10:11]
.LBB83_203:
	s_or_b64 exec, exec, s[0:1]
	v_and_b32_e32 v54, 7, v109
	v_cmp_ne_u32_e32 vcc, 0, v54
	s_and_saveexec_b64 s[8:9], vcc
	s_cbranch_execz .LBB83_207
; %bb.204:
	v_mov_b32_e32 v55, 0x50
	v_lshl_add_u32 v55, v108, 2, v55
	v_mov_b32_e32 v56, 0
	s_mov_b64 s[10:11], 0
.LBB83_205:                             ; =>This Inner Loop Header: Depth=1
	v_cmp_eq_u32_e32 vcc, 1, v108
	v_cndmask_b32_e32 v57, v34, v35, vcc
	v_add_u32_e32 v54, -1, v54
	v_cmp_eq_u32_e32 vcc, 2, v108
	v_cndmask_b32_e32 v57, v57, v36, vcc
	v_cmp_eq_u32_e32 vcc, 0, v54
	v_cmp_eq_u32_e64 s[0:1], 3, v108
	v_cndmask_b32_e64 v57, v57, v37, s[0:1]
	s_or_b64 s[10:11], vcc, s[10:11]
	v_cmp_eq_u32_e32 vcc, 4, v108
	v_cndmask_b32_e32 v57, v57, v38, vcc
	v_cmp_eq_u32_e32 vcc, 5, v108
	v_cndmask_b32_e32 v57, v57, v39, vcc
	;; [unrolled: 2-line block ×11, first 2 shown]
	v_cmp_eq_u32_e32 vcc, 15, v108
	ds_read_b32 v58, v55
	v_cndmask_b32_e32 v57, v57, v49, vcc
	v_cmp_eq_u32_e32 vcc, 16, v108
	v_cndmask_b32_e32 v57, v57, v50, vcc
	v_cmp_eq_u32_e32 vcc, 17, v108
	v_cndmask_b32_e32 v57, v57, v51, vcc
	v_cmp_eq_u32_e32 vcc, 18, v108
	v_cndmask_b32_e32 v57, v57, v52, vcc
	v_cmp_eq_u32_e32 vcc, 19, v108
	v_add_co_u32_e64 v108, s[0:1], 1, v108
	v_cndmask_b32_e32 v57, v57, v53, vcc
	v_add_u32_e32 v55, 4, v55
	v_addc_co_u32_e64 v56, s[0:1], 0, v56, s[0:1]
	s_waitcnt lgkmcnt(0)
	v_fmac_f32_e32 v107, v57, v58
	s_andn2_b64 exec, exec, s[10:11]
	s_cbranch_execnz .LBB83_205
; %bb.206:
	s_or_b64 exec, exec, s[10:11]
.LBB83_207:
	s_or_b64 exec, exec, s[8:9]
.LBB83_208:
	s_or_b64 exec, exec, s[6:7]
	v_mov_b32_e32 v39, 0
	ds_read_b32 v39, v39 offset:20
	s_waitcnt lgkmcnt(0)
	v_mul_f32_e32 v39, v107, v39
.LBB83_209:
	s_or_b64 exec, exec, s[4:5]
	v_cmp_lt_u32_e64 s[0:1], 4, v0
	ds_write_b32 v106, v38
	s_waitcnt lgkmcnt(0)
	; wave barrier
	s_and_saveexec_b64 s[4:5], s[0:1]
	s_cbranch_execz .LBB83_225
; %bb.210:
	s_andn2_b64 vcc, exec, s[42:43]
	s_cbranch_vccnz .LBB83_212
; %bb.211:
	v_cmp_eq_u32_e32 vcc, 1, v0
	v_cndmask_b32_e32 v107, v34, v35, vcc
	v_cmp_eq_u32_e32 vcc, 2, v0
	v_cndmask_b32_e32 v107, v107, v36, vcc
	;; [unrolled: 2-line block ×15, first 2 shown]
	v_cmp_eq_u32_e32 vcc, 16, v0
	ds_read_b32 v108, v106
	v_cndmask_b32_e32 v107, v107, v50, vcc
	v_cmp_eq_u32_e32 vcc, 17, v0
	v_cndmask_b32_e32 v107, v107, v51, vcc
	v_cmp_eq_u32_e32 vcc, 18, v0
	;; [unrolled: 2-line block ×3, first 2 shown]
	v_cndmask_b32_e32 v107, v107, v53, vcc
	s_waitcnt lgkmcnt(0)
	v_mul_f32_e32 v107, v107, v108
	s_cbranch_execz .LBB83_213
	s_branch .LBB83_214
.LBB83_212:
                                        ; implicit-def: $vgpr107
.LBB83_213:
	ds_read_b32 v107, v106
.LBB83_214:
	s_and_saveexec_b64 s[6:7], s[2:3]
	s_cbranch_execz .LBB83_224
; %bb.215:
	v_add_u32_e32 v108, -6, v0
	v_add_u32_e32 v109, -5, v0
	v_cmp_lt_u32_e32 vcc, 6, v108
	v_mov_b32_e32 v108, 5
	s_and_saveexec_b64 s[2:3], vcc
	s_cbranch_execz .LBB83_219
; %bb.216:
	v_and_b32_e32 v108, -8, v109
	v_sub_u32_e32 v110, 0, v108
	s_mov_b64 s[8:9], 12
	s_movk_i32 s12, 0x64
	s_mov_b64 s[10:11], 0
.LBB83_217:                             ; =>This Inner Loop Header: Depth=1
	s_add_i32 s13, s8, -7
	v_mov_b32_e32 v108, s12
	s_add_i32 s14, s8, -6
	s_set_gpr_idx_on s13, gpr_idx(SRC0)
	v_mov_b32_e32 v117, v34
	s_set_gpr_idx_off
	ds_read2_b32 v[111:112], v108 offset1:1
	s_add_i32 s15, s8, -5
	s_set_gpr_idx_on s14, gpr_idx(SRC0)
	v_mov_b32_e32 v118, v34
	s_set_gpr_idx_off
	s_add_i32 s16, s8, -4
	s_set_gpr_idx_on s15, gpr_idx(SRC0)
	v_mov_b32_e32 v119, v34
	s_set_gpr_idx_off
	ds_read2_b32 v[113:114], v108 offset0:2 offset1:3
	s_add_i32 s17, s8, -3
	s_set_gpr_idx_on s16, gpr_idx(SRC0)
	v_mov_b32_e32 v120, v34
	s_set_gpr_idx_off
	s_add_i32 s18, s8, -2
	s_set_gpr_idx_on s17, gpr_idx(SRC0)
	v_mov_b32_e32 v121, v34
	s_set_gpr_idx_off
	ds_read2_b32 v[115:116], v108 offset0:4 offset1:5
	s_add_i32 s19, s8, -1
	s_waitcnt lgkmcnt(2)
	v_fmac_f32_e32 v107, v117, v111
	s_set_gpr_idx_on s18, gpr_idx(SRC0)
	v_mov_b32_e32 v117, v34
	s_set_gpr_idx_off
	v_fmac_f32_e32 v107, v118, v112
	s_set_gpr_idx_on s19, gpr_idx(SRC0)
	v_mov_b32_e32 v118, v34
	s_set_gpr_idx_off
	ds_read2_b32 v[111:112], v108 offset0:6 offset1:7
	s_waitcnt lgkmcnt(2)
	v_fmac_f32_e32 v107, v119, v113
	s_set_gpr_idx_on s8, gpr_idx(SRC0)
	v_mov_b32_e32 v113, v34
	s_set_gpr_idx_off
	v_fmac_f32_e32 v107, v120, v114
	s_add_u32 s8, s8, 8
	s_waitcnt lgkmcnt(1)
	v_fmac_f32_e32 v107, v121, v115
	v_add_u32_e32 v108, s8, v110
	v_fmac_f32_e32 v107, v117, v116
	s_addc_u32 s9, s9, 0
	s_add_i32 s12, s12, 32
	s_add_i32 s13, s8, -7
	v_cmp_eq_u32_e32 vcc, 12, v108
	s_waitcnt lgkmcnt(0)
	v_fmac_f32_e32 v107, v118, v111
	v_mov_b32_e32 v108, s13
	s_or_b64 s[10:11], vcc, s[10:11]
	v_fmac_f32_e32 v107, v113, v112
	s_andn2_b64 exec, exec, s[10:11]
	s_cbranch_execnz .LBB83_217
; %bb.218:
	s_or_b64 exec, exec, s[10:11]
.LBB83_219:
	s_or_b64 exec, exec, s[2:3]
	v_and_b32_e32 v54, 7, v109
	v_cmp_ne_u32_e32 vcc, 0, v54
	s_and_saveexec_b64 s[8:9], vcc
	s_cbranch_execz .LBB83_223
; %bb.220:
	v_mov_b32_e32 v55, 0x50
	v_lshl_add_u32 v55, v108, 2, v55
	v_mov_b32_e32 v56, 0
	s_mov_b64 s[10:11], 0
.LBB83_221:                             ; =>This Inner Loop Header: Depth=1
	v_cmp_eq_u32_e32 vcc, 1, v108
	v_cndmask_b32_e32 v57, v34, v35, vcc
	v_add_u32_e32 v54, -1, v54
	v_cmp_eq_u32_e32 vcc, 2, v108
	v_cndmask_b32_e32 v57, v57, v36, vcc
	v_cmp_eq_u32_e32 vcc, 0, v54
	v_cmp_eq_u32_e64 s[2:3], 3, v108
	v_cndmask_b32_e64 v57, v57, v37, s[2:3]
	s_or_b64 s[10:11], vcc, s[10:11]
	v_cmp_eq_u32_e32 vcc, 4, v108
	v_cndmask_b32_e32 v57, v57, v38, vcc
	v_cmp_eq_u32_e32 vcc, 5, v108
	v_cndmask_b32_e32 v57, v57, v39, vcc
	;; [unrolled: 2-line block ×11, first 2 shown]
	v_cmp_eq_u32_e32 vcc, 15, v108
	ds_read_b32 v58, v55
	v_cndmask_b32_e32 v57, v57, v49, vcc
	v_cmp_eq_u32_e32 vcc, 16, v108
	v_cndmask_b32_e32 v57, v57, v50, vcc
	v_cmp_eq_u32_e32 vcc, 17, v108
	;; [unrolled: 2-line block ×4, first 2 shown]
	v_add_co_u32_e64 v108, s[2:3], 1, v108
	v_cndmask_b32_e32 v57, v57, v53, vcc
	v_add_u32_e32 v55, 4, v55
	v_addc_co_u32_e64 v56, s[2:3], 0, v56, s[2:3]
	s_waitcnt lgkmcnt(0)
	v_fmac_f32_e32 v107, v57, v58
	s_andn2_b64 exec, exec, s[10:11]
	s_cbranch_execnz .LBB83_221
; %bb.222:
	s_or_b64 exec, exec, s[10:11]
.LBB83_223:
	s_or_b64 exec, exec, s[8:9]
.LBB83_224:
	s_or_b64 exec, exec, s[6:7]
	v_mov_b32_e32 v38, 0
	ds_read_b32 v38, v38 offset:16
	s_waitcnt lgkmcnt(0)
	v_mul_f32_e32 v38, v107, v38
.LBB83_225:
	s_or_b64 exec, exec, s[4:5]
	v_cmp_lt_u32_e64 s[2:3], 3, v0
	ds_write_b32 v106, v37
	s_waitcnt lgkmcnt(0)
	; wave barrier
	s_and_saveexec_b64 s[4:5], s[2:3]
	s_cbranch_execz .LBB83_241
; %bb.226:
	s_andn2_b64 vcc, exec, s[42:43]
	s_cbranch_vccnz .LBB83_228
; %bb.227:
	v_cmp_eq_u32_e32 vcc, 1, v0
	v_cndmask_b32_e32 v107, v34, v35, vcc
	v_cmp_eq_u32_e32 vcc, 2, v0
	v_cndmask_b32_e32 v107, v107, v36, vcc
	;; [unrolled: 2-line block ×15, first 2 shown]
	v_cmp_eq_u32_e32 vcc, 16, v0
	ds_read_b32 v108, v106
	v_cndmask_b32_e32 v107, v107, v50, vcc
	v_cmp_eq_u32_e32 vcc, 17, v0
	v_cndmask_b32_e32 v107, v107, v51, vcc
	v_cmp_eq_u32_e32 vcc, 18, v0
	;; [unrolled: 2-line block ×3, first 2 shown]
	v_cndmask_b32_e32 v107, v107, v53, vcc
	s_waitcnt lgkmcnt(0)
	v_mul_f32_e32 v107, v107, v108
	s_cbranch_execz .LBB83_229
	s_branch .LBB83_230
.LBB83_228:
                                        ; implicit-def: $vgpr107
.LBB83_229:
	ds_read_b32 v107, v106
.LBB83_230:
	s_and_saveexec_b64 s[6:7], s[0:1]
	s_cbranch_execz .LBB83_240
; %bb.231:
	v_add_u32_e32 v108, -5, v0
	v_add_u32_e32 v109, -4, v0
	v_cmp_lt_u32_e32 vcc, 6, v108
	v_mov_b32_e32 v108, 4
	s_and_saveexec_b64 s[0:1], vcc
	s_cbranch_execz .LBB83_235
; %bb.232:
	v_and_b32_e32 v108, -8, v109
	v_sub_u32_e32 v110, 0, v108
	s_mov_b64 s[8:9], 5
	s_movk_i32 s12, 0x60
	s_mov_b64 s[10:11], 0
.LBB83_233:                             ; =>This Inner Loop Header: Depth=1
	s_add_i32 s13, s8, -1
	v_mov_b32_e32 v108, s12
	s_set_gpr_idx_on s13, gpr_idx(SRC0)
	v_mov_b32_e32 v119, v34
	s_set_gpr_idx_off
	s_add_i32 s14, s8, 1
	ds_read_b128 v[111:114], v108
	ds_read_b128 v[115:118], v108 offset:16
	s_set_gpr_idx_on s8, gpr_idx(SRC0)
	v_mov_b32_e32 v120, v34
	s_set_gpr_idx_off
	s_add_i32 s15, s8, 2
	s_set_gpr_idx_on s14, gpr_idx(SRC0)
	v_mov_b32_e32 v121, v34
	s_set_gpr_idx_off
	s_add_i32 s16, s8, 3
	;; [unrolled: 4-line block ×4, first 2 shown]
	s_waitcnt lgkmcnt(1)
	v_fmac_f32_e32 v107, v119, v111
	s_set_gpr_idx_on s17, gpr_idx(SRC0)
	v_mov_b32_e32 v111, v34
	s_set_gpr_idx_off
	s_add_i32 s19, s8, 6
	v_fmac_f32_e32 v107, v120, v112
	s_set_gpr_idx_on s18, gpr_idx(SRC0)
	v_mov_b32_e32 v112, v34
	s_set_gpr_idx_off
	v_fmac_f32_e32 v107, v121, v113
	s_set_gpr_idx_on s19, gpr_idx(SRC0)
	v_mov_b32_e32 v113, v34
	s_set_gpr_idx_off
	v_fmac_f32_e32 v107, v122, v114
	s_add_u32 s8, s8, 8
	s_waitcnt lgkmcnt(0)
	v_fmac_f32_e32 v107, v123, v115
	v_add_u32_e32 v108, s8, v110
	v_fmac_f32_e32 v107, v111, v116
	s_addc_u32 s9, s9, 0
	s_add_i32 s12, s12, 32
	s_add_i32 s13, s8, -1
	v_cmp_eq_u32_e32 vcc, 5, v108
	v_fmac_f32_e32 v107, v112, v117
	v_mov_b32_e32 v108, s13
	s_or_b64 s[10:11], vcc, s[10:11]
	v_fmac_f32_e32 v107, v113, v118
	s_andn2_b64 exec, exec, s[10:11]
	s_cbranch_execnz .LBB83_233
; %bb.234:
	s_or_b64 exec, exec, s[10:11]
.LBB83_235:
	s_or_b64 exec, exec, s[0:1]
	v_and_b32_e32 v54, 7, v109
	v_cmp_ne_u32_e32 vcc, 0, v54
	s_and_saveexec_b64 s[8:9], vcc
	s_cbranch_execz .LBB83_239
; %bb.236:
	v_mov_b32_e32 v55, 0x50
	v_lshl_add_u32 v55, v108, 2, v55
	v_mov_b32_e32 v56, 0
	s_mov_b64 s[10:11], 0
.LBB83_237:                             ; =>This Inner Loop Header: Depth=1
	v_cmp_eq_u32_e32 vcc, 1, v108
	v_cndmask_b32_e32 v57, v34, v35, vcc
	v_add_u32_e32 v54, -1, v54
	v_cmp_eq_u32_e32 vcc, 2, v108
	v_cndmask_b32_e32 v57, v57, v36, vcc
	v_cmp_eq_u32_e32 vcc, 0, v54
	v_cmp_eq_u32_e64 s[0:1], 3, v108
	v_cndmask_b32_e64 v57, v57, v37, s[0:1]
	s_or_b64 s[10:11], vcc, s[10:11]
	v_cmp_eq_u32_e32 vcc, 4, v108
	v_cndmask_b32_e32 v57, v57, v38, vcc
	v_cmp_eq_u32_e32 vcc, 5, v108
	v_cndmask_b32_e32 v57, v57, v39, vcc
	;; [unrolled: 2-line block ×11, first 2 shown]
	v_cmp_eq_u32_e32 vcc, 15, v108
	ds_read_b32 v58, v55
	v_cndmask_b32_e32 v57, v57, v49, vcc
	v_cmp_eq_u32_e32 vcc, 16, v108
	v_cndmask_b32_e32 v57, v57, v50, vcc
	v_cmp_eq_u32_e32 vcc, 17, v108
	;; [unrolled: 2-line block ×4, first 2 shown]
	v_add_co_u32_e64 v108, s[0:1], 1, v108
	v_cndmask_b32_e32 v57, v57, v53, vcc
	v_add_u32_e32 v55, 4, v55
	v_addc_co_u32_e64 v56, s[0:1], 0, v56, s[0:1]
	s_waitcnt lgkmcnt(0)
	v_fmac_f32_e32 v107, v57, v58
	s_andn2_b64 exec, exec, s[10:11]
	s_cbranch_execnz .LBB83_237
; %bb.238:
	s_or_b64 exec, exec, s[10:11]
.LBB83_239:
	s_or_b64 exec, exec, s[8:9]
.LBB83_240:
	s_or_b64 exec, exec, s[6:7]
	v_mov_b32_e32 v37, 0
	ds_read_b32 v37, v37 offset:12
	s_waitcnt lgkmcnt(0)
	v_mul_f32_e32 v37, v107, v37
.LBB83_241:
	s_or_b64 exec, exec, s[4:5]
	v_cmp_lt_u32_e64 s[0:1], 2, v0
	ds_write_b32 v106, v36
	s_waitcnt lgkmcnt(0)
	; wave barrier
	s_and_saveexec_b64 s[4:5], s[0:1]
	s_cbranch_execz .LBB83_257
; %bb.242:
	s_andn2_b64 vcc, exec, s[42:43]
	s_cbranch_vccnz .LBB83_244
; %bb.243:
	v_cmp_eq_u32_e32 vcc, 1, v0
	v_cndmask_b32_e32 v107, v34, v35, vcc
	v_cmp_eq_u32_e32 vcc, 2, v0
	v_cndmask_b32_e32 v107, v107, v36, vcc
	;; [unrolled: 2-line block ×15, first 2 shown]
	v_cmp_eq_u32_e32 vcc, 16, v0
	ds_read_b32 v108, v106
	v_cndmask_b32_e32 v107, v107, v50, vcc
	v_cmp_eq_u32_e32 vcc, 17, v0
	v_cndmask_b32_e32 v107, v107, v51, vcc
	v_cmp_eq_u32_e32 vcc, 18, v0
	;; [unrolled: 2-line block ×3, first 2 shown]
	v_cndmask_b32_e32 v107, v107, v53, vcc
	s_waitcnt lgkmcnt(0)
	v_mul_f32_e32 v107, v107, v108
	s_cbranch_execz .LBB83_245
	s_branch .LBB83_246
.LBB83_244:
                                        ; implicit-def: $vgpr107
.LBB83_245:
	ds_read_b32 v107, v106
.LBB83_246:
	s_and_saveexec_b64 s[6:7], s[2:3]
	s_cbranch_execz .LBB83_256
; %bb.247:
	v_add_u32_e32 v108, -4, v0
	v_add_u32_e32 v109, -3, v0
	v_cmp_lt_u32_e32 vcc, 6, v108
	v_mov_b32_e32 v108, 3
	s_and_saveexec_b64 s[2:3], vcc
	s_cbranch_execz .LBB83_251
; %bb.248:
	v_and_b32_e32 v108, -8, v109
	v_sub_u32_e32 v110, 0, v108
	s_mov_b64 s[8:9], 10
	s_movk_i32 s12, 0x5c
	s_mov_b64 s[10:11], 0
.LBB83_249:                             ; =>This Inner Loop Header: Depth=1
	s_add_i32 s13, s8, -7
	v_mov_b32_e32 v108, s12
	s_add_i32 s14, s8, -6
	s_set_gpr_idx_on s13, gpr_idx(SRC0)
	v_mov_b32_e32 v117, v34
	s_set_gpr_idx_off
	ds_read2_b32 v[111:112], v108 offset1:1
	s_add_i32 s15, s8, -5
	s_set_gpr_idx_on s14, gpr_idx(SRC0)
	v_mov_b32_e32 v118, v34
	s_set_gpr_idx_off
	s_add_i32 s16, s8, -4
	s_set_gpr_idx_on s15, gpr_idx(SRC0)
	v_mov_b32_e32 v119, v34
	s_set_gpr_idx_off
	ds_read2_b32 v[113:114], v108 offset0:2 offset1:3
	s_add_i32 s17, s8, -3
	s_set_gpr_idx_on s16, gpr_idx(SRC0)
	v_mov_b32_e32 v120, v34
	s_set_gpr_idx_off
	s_add_i32 s18, s8, -2
	s_set_gpr_idx_on s17, gpr_idx(SRC0)
	v_mov_b32_e32 v121, v34
	s_set_gpr_idx_off
	ds_read2_b32 v[115:116], v108 offset0:4 offset1:5
	s_add_i32 s19, s8, -1
	s_waitcnt lgkmcnt(2)
	v_fmac_f32_e32 v107, v117, v111
	s_set_gpr_idx_on s18, gpr_idx(SRC0)
	v_mov_b32_e32 v117, v34
	s_set_gpr_idx_off
	v_fmac_f32_e32 v107, v118, v112
	s_set_gpr_idx_on s19, gpr_idx(SRC0)
	v_mov_b32_e32 v118, v34
	s_set_gpr_idx_off
	ds_read2_b32 v[111:112], v108 offset0:6 offset1:7
	s_waitcnt lgkmcnt(2)
	v_fmac_f32_e32 v107, v119, v113
	s_set_gpr_idx_on s8, gpr_idx(SRC0)
	v_mov_b32_e32 v113, v34
	s_set_gpr_idx_off
	v_fmac_f32_e32 v107, v120, v114
	s_add_u32 s8, s8, 8
	s_waitcnt lgkmcnt(1)
	v_fmac_f32_e32 v107, v121, v115
	v_add_u32_e32 v108, s8, v110
	v_fmac_f32_e32 v107, v117, v116
	s_addc_u32 s9, s9, 0
	s_add_i32 s12, s12, 32
	s_add_i32 s13, s8, -7
	v_cmp_eq_u32_e32 vcc, 10, v108
	s_waitcnt lgkmcnt(0)
	v_fmac_f32_e32 v107, v118, v111
	v_mov_b32_e32 v108, s13
	s_or_b64 s[10:11], vcc, s[10:11]
	v_fmac_f32_e32 v107, v113, v112
	s_andn2_b64 exec, exec, s[10:11]
	s_cbranch_execnz .LBB83_249
; %bb.250:
	s_or_b64 exec, exec, s[10:11]
.LBB83_251:
	s_or_b64 exec, exec, s[2:3]
	v_and_b32_e32 v54, 7, v109
	v_cmp_ne_u32_e32 vcc, 0, v54
	s_and_saveexec_b64 s[8:9], vcc
	s_cbranch_execz .LBB83_255
; %bb.252:
	v_mov_b32_e32 v55, 0x50
	v_lshl_add_u32 v55, v108, 2, v55
	v_mov_b32_e32 v56, 0
	s_mov_b64 s[10:11], 0
.LBB83_253:                             ; =>This Inner Loop Header: Depth=1
	v_cmp_eq_u32_e32 vcc, 1, v108
	v_cndmask_b32_e32 v57, v34, v35, vcc
	v_add_u32_e32 v54, -1, v54
	v_cmp_eq_u32_e32 vcc, 2, v108
	v_cndmask_b32_e32 v57, v57, v36, vcc
	v_cmp_eq_u32_e32 vcc, 0, v54
	v_cmp_eq_u32_e64 s[2:3], 3, v108
	v_cndmask_b32_e64 v57, v57, v37, s[2:3]
	s_or_b64 s[10:11], vcc, s[10:11]
	v_cmp_eq_u32_e32 vcc, 4, v108
	v_cndmask_b32_e32 v57, v57, v38, vcc
	v_cmp_eq_u32_e32 vcc, 5, v108
	v_cndmask_b32_e32 v57, v57, v39, vcc
	v_cmp_eq_u32_e32 vcc, 6, v108
	v_cndmask_b32_e32 v57, v57, v40, vcc
	v_cmp_eq_u32_e32 vcc, 7, v108
	v_cndmask_b32_e32 v57, v57, v41, vcc
	v_cmp_eq_u32_e32 vcc, 8, v108
	v_cndmask_b32_e32 v57, v57, v42, vcc
	v_cmp_eq_u32_e32 vcc, 9, v108
	v_cndmask_b32_e32 v57, v57, v43, vcc
	v_cmp_eq_u32_e32 vcc, 10, v108
	v_cndmask_b32_e32 v57, v57, v44, vcc
	v_cmp_eq_u32_e32 vcc, 11, v108
	v_cndmask_b32_e32 v57, v57, v45, vcc
	v_cmp_eq_u32_e32 vcc, 12, v108
	v_cndmask_b32_e32 v57, v57, v46, vcc
	v_cmp_eq_u32_e32 vcc, 13, v108
	v_cndmask_b32_e32 v57, v57, v47, vcc
	v_cmp_eq_u32_e32 vcc, 14, v108
	v_cndmask_b32_e32 v57, v57, v48, vcc
	v_cmp_eq_u32_e32 vcc, 15, v108
	ds_read_b32 v58, v55
	v_cndmask_b32_e32 v57, v57, v49, vcc
	v_cmp_eq_u32_e32 vcc, 16, v108
	v_cndmask_b32_e32 v57, v57, v50, vcc
	v_cmp_eq_u32_e32 vcc, 17, v108
	v_cndmask_b32_e32 v57, v57, v51, vcc
	v_cmp_eq_u32_e32 vcc, 18, v108
	v_cndmask_b32_e32 v57, v57, v52, vcc
	v_cmp_eq_u32_e32 vcc, 19, v108
	v_add_co_u32_e64 v108, s[2:3], 1, v108
	v_cndmask_b32_e32 v57, v57, v53, vcc
	v_add_u32_e32 v55, 4, v55
	v_addc_co_u32_e64 v56, s[2:3], 0, v56, s[2:3]
	s_waitcnt lgkmcnt(0)
	v_fmac_f32_e32 v107, v57, v58
	s_andn2_b64 exec, exec, s[10:11]
	s_cbranch_execnz .LBB83_253
; %bb.254:
	s_or_b64 exec, exec, s[10:11]
.LBB83_255:
	s_or_b64 exec, exec, s[8:9]
.LBB83_256:
	s_or_b64 exec, exec, s[6:7]
	v_mov_b32_e32 v36, 0
	ds_read_b32 v36, v36 offset:8
	s_waitcnt lgkmcnt(0)
	v_mul_f32_e32 v36, v107, v36
.LBB83_257:
	s_or_b64 exec, exec, s[4:5]
	v_cmp_lt_u32_e64 s[2:3], 1, v0
	ds_write_b32 v106, v35
	s_waitcnt lgkmcnt(0)
	; wave barrier
	s_and_saveexec_b64 s[4:5], s[2:3]
	s_cbranch_execz .LBB83_273
; %bb.258:
	s_andn2_b64 vcc, exec, s[42:43]
	s_cbranch_vccnz .LBB83_260
; %bb.259:
	v_cmp_eq_u32_e32 vcc, 1, v0
	v_cndmask_b32_e32 v107, v34, v35, vcc
	v_cmp_eq_u32_e32 vcc, 2, v0
	v_cndmask_b32_e32 v107, v107, v36, vcc
	v_cmp_eq_u32_e32 vcc, 3, v0
	v_cndmask_b32_e32 v107, v107, v37, vcc
	v_cmp_eq_u32_e32 vcc, 4, v0
	v_cndmask_b32_e32 v107, v107, v38, vcc
	v_cmp_eq_u32_e32 vcc, 5, v0
	v_cndmask_b32_e32 v107, v107, v39, vcc
	v_cmp_eq_u32_e32 vcc, 6, v0
	v_cndmask_b32_e32 v107, v107, v40, vcc
	v_cmp_eq_u32_e32 vcc, 7, v0
	v_cndmask_b32_e32 v107, v107, v41, vcc
	v_cmp_eq_u32_e32 vcc, 8, v0
	v_cndmask_b32_e32 v107, v107, v42, vcc
	v_cmp_eq_u32_e32 vcc, 9, v0
	v_cndmask_b32_e32 v107, v107, v43, vcc
	v_cmp_eq_u32_e32 vcc, 10, v0
	v_cndmask_b32_e32 v107, v107, v44, vcc
	v_cmp_eq_u32_e32 vcc, 11, v0
	v_cndmask_b32_e32 v107, v107, v45, vcc
	v_cmp_eq_u32_e32 vcc, 12, v0
	v_cndmask_b32_e32 v107, v107, v46, vcc
	v_cmp_eq_u32_e32 vcc, 13, v0
	v_cndmask_b32_e32 v107, v107, v47, vcc
	v_cmp_eq_u32_e32 vcc, 14, v0
	v_cndmask_b32_e32 v107, v107, v48, vcc
	v_cmp_eq_u32_e32 vcc, 15, v0
	v_cndmask_b32_e32 v107, v107, v49, vcc
	v_cmp_eq_u32_e32 vcc, 16, v0
	ds_read_b32 v108, v106
	v_cndmask_b32_e32 v107, v107, v50, vcc
	v_cmp_eq_u32_e32 vcc, 17, v0
	v_cndmask_b32_e32 v107, v107, v51, vcc
	v_cmp_eq_u32_e32 vcc, 18, v0
	;; [unrolled: 2-line block ×3, first 2 shown]
	v_cndmask_b32_e32 v107, v107, v53, vcc
	s_waitcnt lgkmcnt(0)
	v_mul_f32_e32 v107, v107, v108
	s_cbranch_execz .LBB83_261
	s_branch .LBB83_262
.LBB83_260:
                                        ; implicit-def: $vgpr107
.LBB83_261:
	ds_read_b32 v107, v106
.LBB83_262:
	s_and_saveexec_b64 s[6:7], s[0:1]
	s_cbranch_execz .LBB83_272
; %bb.263:
	v_add_u32_e32 v108, -3, v0
	v_add_u32_e32 v109, -2, v0
	v_cmp_lt_u32_e32 vcc, 6, v108
	v_mov_b32_e32 v108, 2
	s_and_saveexec_b64 s[0:1], vcc
	s_cbranch_execz .LBB83_267
; %bb.264:
	v_and_b32_e32 v108, -8, v109
	v_sub_u32_e32 v110, 0, v108
	s_mov_b64 s[8:9], 9
	s_movk_i32 s12, 0x58
	s_mov_b64 s[10:11], 0
.LBB83_265:                             ; =>This Inner Loop Header: Depth=1
	s_add_i32 s13, s8, -7
	v_mov_b32_e32 v108, s12
	s_add_i32 s14, s8, -6
	s_set_gpr_idx_on s13, gpr_idx(SRC0)
	v_mov_b32_e32 v119, v34
	s_set_gpr_idx_off
	ds_read2_b64 v[111:114], v108 offset1:1
	s_add_i32 s15, s8, -5
	s_set_gpr_idx_on s14, gpr_idx(SRC0)
	v_mov_b32_e32 v120, v34
	s_set_gpr_idx_off
	s_add_i32 s16, s8, -4
	s_set_gpr_idx_on s15, gpr_idx(SRC0)
	v_mov_b32_e32 v121, v34
	s_set_gpr_idx_off
	s_add_i32 s17, s8, -3
	s_set_gpr_idx_on s16, gpr_idx(SRC0)
	v_mov_b32_e32 v122, v34
	s_set_gpr_idx_off
	s_add_i32 s18, s8, -2
	s_set_gpr_idx_on s17, gpr_idx(SRC0)
	v_mov_b32_e32 v123, v34
	s_set_gpr_idx_off
	ds_read2_b64 v[115:118], v108 offset0:2 offset1:3
	s_add_i32 s19, s8, -1
	s_waitcnt lgkmcnt(1)
	v_fmac_f32_e32 v107, v119, v111
	s_set_gpr_idx_on s18, gpr_idx(SRC0)
	v_mov_b32_e32 v111, v34
	s_set_gpr_idx_off
	v_fmac_f32_e32 v107, v120, v112
	s_set_gpr_idx_on s19, gpr_idx(SRC0)
	v_mov_b32_e32 v112, v34
	s_set_gpr_idx_off
	;; [unrolled: 4-line block ×3, first 2 shown]
	v_fmac_f32_e32 v107, v122, v114
	s_add_u32 s8, s8, 8
	s_waitcnt lgkmcnt(0)
	v_fmac_f32_e32 v107, v123, v115
	v_add_u32_e32 v108, s8, v110
	v_fmac_f32_e32 v107, v111, v116
	s_addc_u32 s9, s9, 0
	s_add_i32 s12, s12, 32
	s_add_i32 s13, s8, -7
	v_cmp_eq_u32_e32 vcc, 9, v108
	v_fmac_f32_e32 v107, v112, v117
	v_mov_b32_e32 v108, s13
	s_or_b64 s[10:11], vcc, s[10:11]
	v_fmac_f32_e32 v107, v113, v118
	s_andn2_b64 exec, exec, s[10:11]
	s_cbranch_execnz .LBB83_265
; %bb.266:
	s_or_b64 exec, exec, s[10:11]
.LBB83_267:
	s_or_b64 exec, exec, s[0:1]
	v_and_b32_e32 v54, 7, v109
	v_cmp_ne_u32_e32 vcc, 0, v54
	s_and_saveexec_b64 s[8:9], vcc
	s_cbranch_execz .LBB83_271
; %bb.268:
	v_mov_b32_e32 v55, 0x50
	v_lshl_add_u32 v55, v108, 2, v55
	v_mov_b32_e32 v56, 0
	s_mov_b64 s[10:11], 0
.LBB83_269:                             ; =>This Inner Loop Header: Depth=1
	v_cmp_eq_u32_e32 vcc, 1, v108
	v_cndmask_b32_e32 v57, v34, v35, vcc
	v_add_u32_e32 v54, -1, v54
	v_cmp_eq_u32_e32 vcc, 2, v108
	v_cndmask_b32_e32 v57, v57, v36, vcc
	v_cmp_eq_u32_e32 vcc, 0, v54
	v_cmp_eq_u32_e64 s[0:1], 3, v108
	v_cndmask_b32_e64 v57, v57, v37, s[0:1]
	s_or_b64 s[10:11], vcc, s[10:11]
	v_cmp_eq_u32_e32 vcc, 4, v108
	v_cndmask_b32_e32 v57, v57, v38, vcc
	v_cmp_eq_u32_e32 vcc, 5, v108
	v_cndmask_b32_e32 v57, v57, v39, vcc
	v_cmp_eq_u32_e32 vcc, 6, v108
	v_cndmask_b32_e32 v57, v57, v40, vcc
	v_cmp_eq_u32_e32 vcc, 7, v108
	v_cndmask_b32_e32 v57, v57, v41, vcc
	v_cmp_eq_u32_e32 vcc, 8, v108
	v_cndmask_b32_e32 v57, v57, v42, vcc
	v_cmp_eq_u32_e32 vcc, 9, v108
	v_cndmask_b32_e32 v57, v57, v43, vcc
	v_cmp_eq_u32_e32 vcc, 10, v108
	v_cndmask_b32_e32 v57, v57, v44, vcc
	v_cmp_eq_u32_e32 vcc, 11, v108
	v_cndmask_b32_e32 v57, v57, v45, vcc
	v_cmp_eq_u32_e32 vcc, 12, v108
	v_cndmask_b32_e32 v57, v57, v46, vcc
	v_cmp_eq_u32_e32 vcc, 13, v108
	v_cndmask_b32_e32 v57, v57, v47, vcc
	v_cmp_eq_u32_e32 vcc, 14, v108
	v_cndmask_b32_e32 v57, v57, v48, vcc
	v_cmp_eq_u32_e32 vcc, 15, v108
	ds_read_b32 v58, v55
	v_cndmask_b32_e32 v57, v57, v49, vcc
	v_cmp_eq_u32_e32 vcc, 16, v108
	v_cndmask_b32_e32 v57, v57, v50, vcc
	v_cmp_eq_u32_e32 vcc, 17, v108
	;; [unrolled: 2-line block ×4, first 2 shown]
	v_add_co_u32_e64 v108, s[0:1], 1, v108
	v_cndmask_b32_e32 v57, v57, v53, vcc
	v_add_u32_e32 v55, 4, v55
	v_addc_co_u32_e64 v56, s[0:1], 0, v56, s[0:1]
	s_waitcnt lgkmcnt(0)
	v_fmac_f32_e32 v107, v57, v58
	s_andn2_b64 exec, exec, s[10:11]
	s_cbranch_execnz .LBB83_269
; %bb.270:
	s_or_b64 exec, exec, s[10:11]
.LBB83_271:
	s_or_b64 exec, exec, s[8:9]
.LBB83_272:
	s_or_b64 exec, exec, s[6:7]
	v_mov_b32_e32 v35, 0
	ds_read_b32 v35, v35 offset:4
	s_waitcnt lgkmcnt(0)
	v_mul_f32_e32 v35, v107, v35
.LBB83_273:
	s_or_b64 exec, exec, s[4:5]
	v_cmp_ne_u32_e32 vcc, 0, v0
	ds_write_b32 v106, v34
	s_waitcnt lgkmcnt(0)
	; wave barrier
	s_and_saveexec_b64 s[4:5], vcc
	s_cbranch_execz .LBB83_289
; %bb.274:
	s_andn2_b64 vcc, exec, s[42:43]
	s_cbranch_vccnz .LBB83_276
; %bb.275:
	v_cmp_eq_u32_e32 vcc, 1, v0
	v_cndmask_b32_e32 v107, v34, v35, vcc
	v_cmp_eq_u32_e32 vcc, 2, v0
	v_cndmask_b32_e32 v107, v107, v36, vcc
	;; [unrolled: 2-line block ×15, first 2 shown]
	v_cmp_eq_u32_e32 vcc, 16, v0
	ds_read_b32 v108, v106
	v_cndmask_b32_e32 v107, v107, v50, vcc
	v_cmp_eq_u32_e32 vcc, 17, v0
	v_cndmask_b32_e32 v107, v107, v51, vcc
	v_cmp_eq_u32_e32 vcc, 18, v0
	;; [unrolled: 2-line block ×3, first 2 shown]
	v_cndmask_b32_e32 v107, v107, v53, vcc
	s_waitcnt lgkmcnt(0)
	v_mul_f32_e32 v107, v107, v108
	s_cbranch_execz .LBB83_277
	s_branch .LBB83_278
.LBB83_276:
                                        ; implicit-def: $vgpr107
.LBB83_277:
	ds_read_b32 v107, v106
.LBB83_278:
	s_and_saveexec_b64 s[6:7], s[2:3]
	s_cbranch_execz .LBB83_288
; %bb.279:
	v_add_u32_e32 v108, -2, v0
	v_add_u32_e32 v109, -1, v0
	v_cmp_lt_u32_e32 vcc, 6, v108
	v_mov_b32_e32 v108, 1
	s_and_saveexec_b64 s[0:1], vcc
	s_cbranch_execz .LBB83_283
; %bb.280:
	v_and_b32_e32 v108, -8, v109
	v_sub_u32_e32 v110, 0, v108
	s_mov_b64 s[2:3], 8
	s_movk_i32 s10, 0x54
	s_mov_b64 s[8:9], 0
.LBB83_281:                             ; =>This Inner Loop Header: Depth=1
	s_add_i32 s11, s2, -7
	v_mov_b32_e32 v108, s10
	s_add_i32 s12, s2, -6
	s_set_gpr_idx_on s11, gpr_idx(SRC0)
	v_mov_b32_e32 v117, v34
	s_set_gpr_idx_off
	ds_read2_b32 v[111:112], v108 offset1:1
	s_add_i32 s13, s2, -5
	s_set_gpr_idx_on s12, gpr_idx(SRC0)
	v_mov_b32_e32 v118, v34
	s_set_gpr_idx_off
	s_add_i32 s14, s2, -4
	s_set_gpr_idx_on s13, gpr_idx(SRC0)
	v_mov_b32_e32 v119, v34
	s_set_gpr_idx_off
	ds_read2_b32 v[113:114], v108 offset0:2 offset1:3
	s_add_i32 s15, s2, -3
	s_set_gpr_idx_on s14, gpr_idx(SRC0)
	v_mov_b32_e32 v120, v34
	s_set_gpr_idx_off
	s_add_i32 s16, s2, -2
	s_set_gpr_idx_on s15, gpr_idx(SRC0)
	v_mov_b32_e32 v121, v34
	s_set_gpr_idx_off
	ds_read2_b32 v[115:116], v108 offset0:4 offset1:5
	s_add_i32 s17, s2, -1
	s_waitcnt lgkmcnt(2)
	v_fmac_f32_e32 v107, v117, v111
	s_set_gpr_idx_on s16, gpr_idx(SRC0)
	v_mov_b32_e32 v117, v34
	s_set_gpr_idx_off
	v_fmac_f32_e32 v107, v118, v112
	s_set_gpr_idx_on s17, gpr_idx(SRC0)
	v_mov_b32_e32 v118, v34
	s_set_gpr_idx_off
	ds_read2_b32 v[111:112], v108 offset0:6 offset1:7
	s_waitcnt lgkmcnt(2)
	v_fmac_f32_e32 v107, v119, v113
	s_set_gpr_idx_on s2, gpr_idx(SRC0)
	v_mov_b32_e32 v113, v34
	s_set_gpr_idx_off
	v_fmac_f32_e32 v107, v120, v114
	s_add_u32 s2, s2, 8
	s_waitcnt lgkmcnt(1)
	v_fmac_f32_e32 v107, v121, v115
	v_add_u32_e32 v108, s2, v110
	v_fmac_f32_e32 v107, v117, v116
	s_addc_u32 s3, s3, 0
	s_add_i32 s10, s10, 32
	s_add_i32 s11, s2, -7
	v_cmp_eq_u32_e32 vcc, 8, v108
	s_waitcnt lgkmcnt(0)
	v_fmac_f32_e32 v107, v118, v111
	v_mov_b32_e32 v108, s11
	s_or_b64 s[8:9], vcc, s[8:9]
	v_fmac_f32_e32 v107, v113, v112
	s_andn2_b64 exec, exec, s[8:9]
	s_cbranch_execnz .LBB83_281
; %bb.282:
	s_or_b64 exec, exec, s[8:9]
.LBB83_283:
	s_or_b64 exec, exec, s[0:1]
	v_and_b32_e32 v54, 7, v109
	v_cmp_ne_u32_e32 vcc, 0, v54
	s_and_saveexec_b64 s[2:3], vcc
	s_cbranch_execz .LBB83_287
; %bb.284:
	v_mov_b32_e32 v55, 0x50
	v_lshl_add_u32 v55, v108, 2, v55
	v_mov_b32_e32 v56, 0
	s_mov_b64 s[8:9], 0
.LBB83_285:                             ; =>This Inner Loop Header: Depth=1
	v_cmp_eq_u32_e32 vcc, 1, v108
	v_cndmask_b32_e32 v57, v34, v35, vcc
	v_add_u32_e32 v54, -1, v54
	v_cmp_eq_u32_e32 vcc, 2, v108
	v_cndmask_b32_e32 v57, v57, v36, vcc
	v_cmp_eq_u32_e32 vcc, 0, v54
	v_cmp_eq_u32_e64 s[0:1], 3, v108
	v_cndmask_b32_e64 v57, v57, v37, s[0:1]
	s_or_b64 s[8:9], vcc, s[8:9]
	v_cmp_eq_u32_e32 vcc, 4, v108
	v_cndmask_b32_e32 v57, v57, v38, vcc
	v_cmp_eq_u32_e32 vcc, 5, v108
	v_cndmask_b32_e32 v57, v57, v39, vcc
	v_cmp_eq_u32_e32 vcc, 6, v108
	v_cndmask_b32_e32 v57, v57, v40, vcc
	v_cmp_eq_u32_e32 vcc, 7, v108
	v_cndmask_b32_e32 v57, v57, v41, vcc
	v_cmp_eq_u32_e32 vcc, 8, v108
	v_cndmask_b32_e32 v57, v57, v42, vcc
	v_cmp_eq_u32_e32 vcc, 9, v108
	v_cndmask_b32_e32 v57, v57, v43, vcc
	v_cmp_eq_u32_e32 vcc, 10, v108
	v_cndmask_b32_e32 v57, v57, v44, vcc
	v_cmp_eq_u32_e32 vcc, 11, v108
	v_cndmask_b32_e32 v57, v57, v45, vcc
	v_cmp_eq_u32_e32 vcc, 12, v108
	v_cndmask_b32_e32 v57, v57, v46, vcc
	v_cmp_eq_u32_e32 vcc, 13, v108
	v_cndmask_b32_e32 v57, v57, v47, vcc
	v_cmp_eq_u32_e32 vcc, 14, v108
	v_cndmask_b32_e32 v57, v57, v48, vcc
	v_cmp_eq_u32_e32 vcc, 15, v108
	ds_read_b32 v58, v55
	v_cndmask_b32_e32 v57, v57, v49, vcc
	v_cmp_eq_u32_e32 vcc, 16, v108
	v_cndmask_b32_e32 v57, v57, v50, vcc
	v_cmp_eq_u32_e32 vcc, 17, v108
	v_cndmask_b32_e32 v57, v57, v51, vcc
	v_cmp_eq_u32_e32 vcc, 18, v108
	v_cndmask_b32_e32 v57, v57, v52, vcc
	v_cmp_eq_u32_e32 vcc, 19, v108
	v_add_co_u32_e64 v108, s[0:1], 1, v108
	v_cndmask_b32_e32 v57, v57, v53, vcc
	v_add_u32_e32 v55, 4, v55
	v_addc_co_u32_e64 v56, s[0:1], 0, v56, s[0:1]
	s_waitcnt lgkmcnt(0)
	v_fmac_f32_e32 v107, v57, v58
	s_andn2_b64 exec, exec, s[8:9]
	s_cbranch_execnz .LBB83_285
; %bb.286:
	s_or_b64 exec, exec, s[8:9]
.LBB83_287:
	s_or_b64 exec, exec, s[2:3]
.LBB83_288:
	s_or_b64 exec, exec, s[6:7]
	v_mov_b32_e32 v34, 0
	ds_read_b32 v34, v34
	s_waitcnt lgkmcnt(0)
	v_mul_f32_e32 v34, v107, v34
.LBB83_289:
	s_or_b64 exec, exec, s[4:5]
	s_branch .LBB83_483
.LBB83_290:
	v_cmp_eq_u32_e64 s[2:3], 0, v0
	s_waitcnt vmcnt(0) lgkmcnt(0)
	ds_write_b32 v106, v3
	s_waitcnt lgkmcnt(0)
	; wave barrier
	s_and_saveexec_b64 s[0:1], s[2:3]
	s_cbranch_execz .LBB83_296
; %bb.291:
	s_and_b64 vcc, exec, s[42:43]
	s_cbranch_vccz .LBB83_293
; %bb.292:
	v_cmp_eq_u32_e32 vcc, 1, v0
	v_cndmask_b32_e32 v3, v2, v3, vcc
	v_cmp_eq_u32_e32 vcc, 2, v0
	v_cndmask_b32_e32 v3, v3, v4, vcc
	;; [unrolled: 2-line block ×15, first 2 shown]
	v_cmp_eq_u32_e32 vcc, 16, v0
	ds_read_b32 v22, v106
	v_cndmask_b32_e32 v3, v3, v18, vcc
	v_cmp_eq_u32_e32 vcc, 17, v0
	v_cndmask_b32_e32 v3, v3, v19, vcc
	v_cmp_eq_u32_e32 vcc, 18, v0
	;; [unrolled: 2-line block ×3, first 2 shown]
	v_cndmask_b32_e32 v3, v3, v21, vcc
	s_waitcnt lgkmcnt(0)
	v_mul_f32_e32 v3, v3, v22
	s_cbranch_execz .LBB83_294
	s_branch .LBB83_295
.LBB83_293:
                                        ; implicit-def: $vgpr3
.LBB83_294:
	ds_read_b32 v3, v106
.LBB83_295:
	v_mov_b32_e32 v22, 0
	ds_read_b32 v22, v22 offset:4
	s_waitcnt lgkmcnt(0)
	v_mul_f32_e32 v3, v3, v22
.LBB83_296:
	s_or_b64 exec, exec, s[0:1]
	v_cndmask_b32_e64 v34, 0, 1, s[42:43]
	v_cmp_gt_u32_e32 vcc, 2, v0
	v_cmp_ne_u32_e64 s[0:1], 1, v34
	ds_write_b32 v106, v4
	s_waitcnt lgkmcnt(0)
	; wave barrier
	s_and_saveexec_b64 s[4:5], vcc
	s_cbranch_execz .LBB83_302
; %bb.297:
	s_and_b64 vcc, exec, s[0:1]
	s_cbranch_vccnz .LBB83_299
; %bb.298:
	v_cmp_eq_u32_e32 vcc, 1, v0
	v_cndmask_b32_e32 v22, v2, v3, vcc
	v_cmp_eq_u32_e32 vcc, 2, v0
	v_cndmask_b32_e32 v4, v22, v4, vcc
	;; [unrolled: 2-line block ×15, first 2 shown]
	v_cmp_eq_u32_e32 vcc, 16, v0
	ds_read_b32 v22, v106
	v_cndmask_b32_e32 v4, v4, v18, vcc
	v_cmp_eq_u32_e32 vcc, 17, v0
	v_cndmask_b32_e32 v4, v4, v19, vcc
	v_cmp_eq_u32_e32 vcc, 18, v0
	;; [unrolled: 2-line block ×3, first 2 shown]
	v_cndmask_b32_e32 v4, v4, v21, vcc
	s_waitcnt lgkmcnt(0)
	v_mul_f32_e32 v4, v4, v22
	s_cbranch_execz .LBB83_300
	s_branch .LBB83_301
.LBB83_299:
                                        ; implicit-def: $vgpr4
.LBB83_300:
	ds_read_b32 v4, v106
.LBB83_301:
	v_mov_b32_e32 v22, 0
	ds_read2_b32 v[22:23], v22 offset0:2 offset1:21
	s_waitcnt lgkmcnt(0)
	v_fma_f32 v23, v3, v23, v4
	v_cndmask_b32_e64 v4, v4, v23, s[2:3]
	v_mul_f32_e32 v4, v4, v22
.LBB83_302:
	s_or_b64 exec, exec, s[4:5]
	v_add_u32_e32 v34, 1, v0
	v_cmp_gt_u32_e64 s[4:5], 3, v0
	ds_write_b32 v106, v5
	s_waitcnt lgkmcnt(0)
	; wave barrier
	s_and_saveexec_b64 s[6:7], s[4:5]
	s_cbranch_execz .LBB83_310
; %bb.303:
	s_and_b64 vcc, exec, s[0:1]
	s_cbranch_vccnz .LBB83_305
; %bb.304:
	v_cmp_eq_u32_e32 vcc, 1, v0
	v_cndmask_b32_e32 v22, v2, v3, vcc
	v_cmp_eq_u32_e32 vcc, 2, v0
	v_cndmask_b32_e32 v22, v22, v4, vcc
	;; [unrolled: 2-line block ×15, first 2 shown]
	v_cmp_eq_u32_e32 vcc, 16, v0
	ds_read_b32 v23, v106
	v_cndmask_b32_e32 v22, v22, v18, vcc
	v_cmp_eq_u32_e32 vcc, 17, v0
	v_cndmask_b32_e32 v22, v22, v19, vcc
	v_cmp_eq_u32_e32 vcc, 18, v0
	;; [unrolled: 2-line block ×3, first 2 shown]
	v_cndmask_b32_e32 v22, v22, v21, vcc
	s_waitcnt lgkmcnt(0)
	v_mul_f32_e32 v22, v22, v23
	s_cbranch_execz .LBB83_306
	s_branch .LBB83_307
.LBB83_305:
                                        ; implicit-def: $vgpr22
.LBB83_306:
	ds_read_b32 v22, v106
.LBB83_307:
	v_cmp_ne_u32_e32 vcc, 2, v0
	s_and_saveexec_b64 s[8:9], vcc
	s_cbranch_execz .LBB83_309
; %bb.308:
	v_cmp_eq_u32_e32 vcc, 1, v34
	v_cndmask_b32_e32 v23, v2, v3, vcc
	v_cmp_eq_u32_e32 vcc, 2, v34
	v_cndmask_b32_e32 v23, v23, v4, vcc
	v_cmp_eq_u32_e32 vcc, 3, v34
	v_cndmask_b32_e32 v5, v23, v5, vcc
	v_cmp_eq_u32_e32 vcc, 4, v34
	v_cndmask_b32_e32 v5, v5, v6, vcc
	v_cmp_eq_u32_e32 vcc, 5, v34
	v_cndmask_b32_e32 v5, v5, v7, vcc
	v_cmp_eq_u32_e32 vcc, 6, v34
	v_cndmask_b32_e32 v5, v5, v8, vcc
	v_cmp_eq_u32_e32 vcc, 7, v34
	v_cndmask_b32_e32 v5, v5, v9, vcc
	v_cmp_eq_u32_e32 vcc, 8, v34
	v_cndmask_b32_e32 v5, v5, v10, vcc
	v_cmp_eq_u32_e32 vcc, 9, v34
	v_cndmask_b32_e32 v5, v5, v11, vcc
	v_cmp_eq_u32_e32 vcc, 10, v34
	v_cndmask_b32_e32 v5, v5, v12, vcc
	v_cmp_eq_u32_e32 vcc, 11, v34
	v_cndmask_b32_e32 v5, v5, v13, vcc
	v_cmp_eq_u32_e32 vcc, 12, v34
	v_cndmask_b32_e32 v5, v5, v14, vcc
	v_cmp_eq_u32_e32 vcc, 13, v34
	v_cndmask_b32_e32 v5, v5, v15, vcc
	v_cmp_eq_u32_e32 vcc, 14, v34
	v_cndmask_b32_e32 v5, v5, v16, vcc
	v_cmp_eq_u32_e32 vcc, 15, v34
	v_cndmask_b32_e32 v5, v5, v17, vcc
	v_cmp_eq_u32_e32 vcc, 16, v34
	v_mov_b32_e32 v23, 0
	v_cndmask_b32_e32 v5, v5, v18, vcc
	v_cmp_eq_u32_e32 vcc, 17, v34
	ds_read_b32 v24, v106 offset:4
	ds_read_b32 v23, v23 offset:88
	v_cndmask_b32_e32 v5, v5, v19, vcc
	v_cmp_eq_u32_e32 vcc, 18, v34
	v_cndmask_b32_e32 v5, v5, v20, vcc
	v_cmp_eq_u32_e32 vcc, 19, v34
	v_cndmask_b32_e32 v5, v5, v21, vcc
	s_waitcnt lgkmcnt(1)
	v_fmac_f32_e32 v22, v5, v24
	s_waitcnt lgkmcnt(0)
	v_fma_f32 v5, v4, v23, v22
	v_cndmask_b32_e64 v22, v22, v5, s[2:3]
.LBB83_309:
	s_or_b64 exec, exec, s[8:9]
	v_mov_b32_e32 v5, 0
	ds_read_b32 v5, v5 offset:12
	s_waitcnt lgkmcnt(0)
	v_mul_f32_e32 v5, v22, v5
.LBB83_310:
	s_or_b64 exec, exec, s[6:7]
	v_cmp_gt_u32_e32 vcc, 4, v0
	ds_write_b32 v106, v6
	s_waitcnt lgkmcnt(0)
	; wave barrier
	s_and_saveexec_b64 s[8:9], vcc
	s_cbranch_execz .LBB83_320
; %bb.311:
	s_and_b64 vcc, exec, s[0:1]
	s_cbranch_vccnz .LBB83_313
; %bb.312:
	v_cmp_eq_u32_e32 vcc, 1, v0
	v_cndmask_b32_e32 v22, v2, v3, vcc
	v_cmp_eq_u32_e32 vcc, 2, v0
	v_cndmask_b32_e32 v22, v22, v4, vcc
	;; [unrolled: 2-line block ×15, first 2 shown]
	v_cmp_eq_u32_e32 vcc, 16, v0
	ds_read_b32 v23, v106
	v_cndmask_b32_e32 v22, v22, v18, vcc
	v_cmp_eq_u32_e32 vcc, 17, v0
	v_cndmask_b32_e32 v22, v22, v19, vcc
	v_cmp_eq_u32_e32 vcc, 18, v0
	;; [unrolled: 2-line block ×3, first 2 shown]
	v_cndmask_b32_e32 v22, v22, v21, vcc
	s_waitcnt lgkmcnt(0)
	v_mul_f32_e32 v24, v22, v23
	s_cbranch_execz .LBB83_314
	s_branch .LBB83_315
.LBB83_313:
                                        ; implicit-def: $vgpr24
.LBB83_314:
	ds_read_b32 v24, v106
.LBB83_315:
	v_cmp_ne_u32_e32 vcc, 3, v0
	s_and_saveexec_b64 s[10:11], vcc
	s_cbranch_execz .LBB83_319
; %bb.316:
	v_mov_b32_e32 v22, 0x54
	v_lshl_add_u32 v25, v0, 2, v22
	v_mov_b32_e32 v23, v1
	s_mov_b64 s[12:13], 0
	v_mov_b32_e32 v22, v0
.LBB83_317:                             ; =>This Inner Loop Header: Depth=1
	v_add_co_u32_e32 v22, vcc, 1, v22
	v_addc_co_u32_e32 v23, vcc, 0, v23, vcc
	v_cmp_eq_u32_e32 vcc, 1, v22
	v_cndmask_b32_e32 v27, v2, v3, vcc
	v_cmp_lt_u32_e32 vcc, 2, v22
	v_cmp_eq_u32_e64 s[6:7], 2, v22
	v_cndmask_b32_e64 v27, v27, v4, s[6:7]
	s_or_b64 s[12:13], vcc, s[12:13]
	v_cmp_eq_u32_e32 vcc, 3, v22
	v_cndmask_b32_e32 v27, v27, v5, vcc
	v_cmp_eq_u32_e32 vcc, 4, v22
	v_cndmask_b32_e32 v27, v27, v6, vcc
	;; [unrolled: 2-line block ×12, first 2 shown]
	v_cmp_eq_u32_e32 vcc, 15, v22
	ds_read_b32 v26, v25
	v_cndmask_b32_e32 v27, v27, v17, vcc
	v_cmp_eq_u32_e32 vcc, 16, v22
	v_cndmask_b32_e32 v27, v27, v18, vcc
	v_cmp_eq_u32_e32 vcc, 17, v22
	v_cndmask_b32_e32 v27, v27, v19, vcc
	v_cmp_eq_u32_e32 vcc, 18, v22
	v_cndmask_b32_e32 v27, v27, v20, vcc
	v_cmp_eq_u32_e32 vcc, 19, v22
	v_cndmask_b32_e32 v27, v27, v21, vcc
	v_add_u32_e32 v25, 4, v25
	s_waitcnt lgkmcnt(0)
	v_fmac_f32_e32 v24, v27, v26
	s_andn2_b64 exec, exec, s[12:13]
	s_cbranch_execnz .LBB83_317
; %bb.318:
	s_or_b64 exec, exec, s[12:13]
.LBB83_319:
	s_or_b64 exec, exec, s[10:11]
	v_mov_b32_e32 v6, 0
	ds_read_b32 v6, v6 offset:16
	s_waitcnt lgkmcnt(0)
	v_mul_f32_e32 v6, v24, v6
.LBB83_320:
	s_or_b64 exec, exec, s[8:9]
	v_cmp_gt_u32_e64 s[6:7], 5, v0
	ds_write_b32 v106, v7
	s_waitcnt lgkmcnt(0)
	; wave barrier
	s_and_saveexec_b64 s[10:11], s[6:7]
	s_cbranch_execz .LBB83_330
; %bb.321:
	s_and_b64 vcc, exec, s[0:1]
	s_cbranch_vccnz .LBB83_323
; %bb.322:
	v_cmp_eq_u32_e32 vcc, 1, v0
	v_cndmask_b32_e32 v22, v2, v3, vcc
	v_cmp_eq_u32_e32 vcc, 2, v0
	v_cndmask_b32_e32 v22, v22, v4, vcc
	;; [unrolled: 2-line block ×15, first 2 shown]
	v_cmp_eq_u32_e32 vcc, 16, v0
	ds_read_b32 v23, v106
	v_cndmask_b32_e32 v22, v22, v18, vcc
	v_cmp_eq_u32_e32 vcc, 17, v0
	v_cndmask_b32_e32 v22, v22, v19, vcc
	v_cmp_eq_u32_e32 vcc, 18, v0
	;; [unrolled: 2-line block ×3, first 2 shown]
	v_cndmask_b32_e32 v22, v22, v21, vcc
	s_waitcnt lgkmcnt(0)
	v_mul_f32_e32 v24, v22, v23
	s_cbranch_execz .LBB83_324
	s_branch .LBB83_325
.LBB83_323:
                                        ; implicit-def: $vgpr24
.LBB83_324:
	ds_read_b32 v24, v106
.LBB83_325:
	v_cmp_ne_u32_e32 vcc, 4, v0
	s_and_saveexec_b64 s[12:13], vcc
	s_cbranch_execz .LBB83_329
; %bb.326:
	v_mov_b32_e32 v22, 0x54
	v_lshl_add_u32 v25, v0, 2, v22
	v_mov_b32_e32 v23, v1
	s_mov_b64 s[14:15], 0
	v_mov_b32_e32 v22, v0
.LBB83_327:                             ; =>This Inner Loop Header: Depth=1
	v_add_co_u32_e32 v22, vcc, 1, v22
	v_addc_co_u32_e32 v23, vcc, 0, v23, vcc
	v_cmp_eq_u32_e32 vcc, 1, v22
	v_cndmask_b32_e32 v27, v2, v3, vcc
	v_cmp_lt_u32_e32 vcc, 3, v22
	v_cmp_eq_u32_e64 s[8:9], 2, v22
	v_cndmask_b32_e64 v27, v27, v4, s[8:9]
	s_or_b64 s[14:15], vcc, s[14:15]
	v_cmp_eq_u32_e32 vcc, 3, v22
	v_cndmask_b32_e32 v27, v27, v5, vcc
	v_cmp_eq_u32_e32 vcc, 4, v22
	v_cndmask_b32_e32 v27, v27, v6, vcc
	;; [unrolled: 2-line block ×12, first 2 shown]
	v_cmp_eq_u32_e32 vcc, 15, v22
	ds_read_b32 v26, v25
	v_cndmask_b32_e32 v27, v27, v17, vcc
	v_cmp_eq_u32_e32 vcc, 16, v22
	v_cndmask_b32_e32 v27, v27, v18, vcc
	v_cmp_eq_u32_e32 vcc, 17, v22
	;; [unrolled: 2-line block ×4, first 2 shown]
	v_cndmask_b32_e32 v27, v27, v21, vcc
	v_add_u32_e32 v25, 4, v25
	s_waitcnt lgkmcnt(0)
	v_fmac_f32_e32 v24, v27, v26
	s_andn2_b64 exec, exec, s[14:15]
	s_cbranch_execnz .LBB83_327
; %bb.328:
	s_or_b64 exec, exec, s[14:15]
.LBB83_329:
	s_or_b64 exec, exec, s[12:13]
	v_mov_b32_e32 v7, 0
	ds_read_b32 v7, v7 offset:20
	s_waitcnt lgkmcnt(0)
	v_mul_f32_e32 v7, v24, v7
.LBB83_330:
	s_or_b64 exec, exec, s[10:11]
	v_cmp_gt_u32_e32 vcc, 6, v0
	ds_write_b32 v106, v8
	s_waitcnt lgkmcnt(0)
	; wave barrier
	s_and_saveexec_b64 s[10:11], vcc
	s_cbranch_execz .LBB83_340
; %bb.331:
	s_and_b64 vcc, exec, s[0:1]
	s_cbranch_vccnz .LBB83_333
; %bb.332:
	v_cmp_eq_u32_e32 vcc, 1, v0
	v_cndmask_b32_e32 v22, v2, v3, vcc
	v_cmp_eq_u32_e32 vcc, 2, v0
	v_cndmask_b32_e32 v22, v22, v4, vcc
	;; [unrolled: 2-line block ×15, first 2 shown]
	v_cmp_eq_u32_e32 vcc, 16, v0
	ds_read_b32 v23, v106
	v_cndmask_b32_e32 v22, v22, v18, vcc
	v_cmp_eq_u32_e32 vcc, 17, v0
	v_cndmask_b32_e32 v22, v22, v19, vcc
	v_cmp_eq_u32_e32 vcc, 18, v0
	;; [unrolled: 2-line block ×3, first 2 shown]
	v_cndmask_b32_e32 v22, v22, v21, vcc
	s_waitcnt lgkmcnt(0)
	v_mul_f32_e32 v24, v22, v23
	s_cbranch_execz .LBB83_334
	s_branch .LBB83_335
.LBB83_333:
                                        ; implicit-def: $vgpr24
.LBB83_334:
	ds_read_b32 v24, v106
.LBB83_335:
	v_cmp_ne_u32_e32 vcc, 5, v0
	s_and_saveexec_b64 s[12:13], vcc
	s_cbranch_execz .LBB83_339
; %bb.336:
	v_mov_b32_e32 v22, 0x54
	v_lshl_add_u32 v25, v0, 2, v22
	v_mov_b32_e32 v23, v1
	s_mov_b64 s[14:15], 0
	v_mov_b32_e32 v22, v0
.LBB83_337:                             ; =>This Inner Loop Header: Depth=1
	v_add_co_u32_e32 v22, vcc, 1, v22
	v_addc_co_u32_e32 v23, vcc, 0, v23, vcc
	v_cmp_eq_u32_e32 vcc, 1, v22
	v_cndmask_b32_e32 v27, v2, v3, vcc
	v_cmp_lt_u32_e32 vcc, 4, v22
	v_cmp_eq_u32_e64 s[8:9], 2, v22
	v_cndmask_b32_e64 v27, v27, v4, s[8:9]
	s_or_b64 s[14:15], vcc, s[14:15]
	v_cmp_eq_u32_e32 vcc, 3, v22
	v_cndmask_b32_e32 v27, v27, v5, vcc
	v_cmp_eq_u32_e32 vcc, 4, v22
	v_cndmask_b32_e32 v27, v27, v6, vcc
	;; [unrolled: 2-line block ×12, first 2 shown]
	v_cmp_eq_u32_e32 vcc, 15, v22
	ds_read_b32 v26, v25
	v_cndmask_b32_e32 v27, v27, v17, vcc
	v_cmp_eq_u32_e32 vcc, 16, v22
	v_cndmask_b32_e32 v27, v27, v18, vcc
	v_cmp_eq_u32_e32 vcc, 17, v22
	;; [unrolled: 2-line block ×4, first 2 shown]
	v_cndmask_b32_e32 v27, v27, v21, vcc
	v_add_u32_e32 v25, 4, v25
	s_waitcnt lgkmcnt(0)
	v_fmac_f32_e32 v24, v27, v26
	s_andn2_b64 exec, exec, s[14:15]
	s_cbranch_execnz .LBB83_337
; %bb.338:
	s_or_b64 exec, exec, s[14:15]
.LBB83_339:
	s_or_b64 exec, exec, s[12:13]
	v_mov_b32_e32 v8, 0
	ds_read_b32 v8, v8 offset:24
	s_waitcnt lgkmcnt(0)
	v_mul_f32_e32 v8, v24, v8
.LBB83_340:
	s_or_b64 exec, exec, s[10:11]
	v_cmp_gt_u32_e64 s[8:9], 7, v0
	ds_write_b32 v106, v9
	s_waitcnt lgkmcnt(0)
	; wave barrier
	s_and_saveexec_b64 s[12:13], s[8:9]
	s_cbranch_execz .LBB83_350
; %bb.341:
	s_and_b64 vcc, exec, s[0:1]
	s_cbranch_vccnz .LBB83_343
; %bb.342:
	v_cmp_eq_u32_e32 vcc, 1, v0
	v_cndmask_b32_e32 v22, v2, v3, vcc
	v_cmp_eq_u32_e32 vcc, 2, v0
	v_cndmask_b32_e32 v22, v22, v4, vcc
	;; [unrolled: 2-line block ×15, first 2 shown]
	v_cmp_eq_u32_e32 vcc, 16, v0
	ds_read_b32 v23, v106
	v_cndmask_b32_e32 v22, v22, v18, vcc
	v_cmp_eq_u32_e32 vcc, 17, v0
	v_cndmask_b32_e32 v22, v22, v19, vcc
	v_cmp_eq_u32_e32 vcc, 18, v0
	;; [unrolled: 2-line block ×3, first 2 shown]
	v_cndmask_b32_e32 v22, v22, v21, vcc
	s_waitcnt lgkmcnt(0)
	v_mul_f32_e32 v24, v22, v23
	s_cbranch_execz .LBB83_344
	s_branch .LBB83_345
.LBB83_343:
                                        ; implicit-def: $vgpr24
.LBB83_344:
	ds_read_b32 v24, v106
.LBB83_345:
	v_cmp_ne_u32_e32 vcc, 6, v0
	s_and_saveexec_b64 s[14:15], vcc
	s_cbranch_execz .LBB83_349
; %bb.346:
	v_mov_b32_e32 v22, 0x54
	v_lshl_add_u32 v25, v0, 2, v22
	v_mov_b32_e32 v23, v1
	s_mov_b64 s[16:17], 0
	v_mov_b32_e32 v22, v0
.LBB83_347:                             ; =>This Inner Loop Header: Depth=1
	v_add_co_u32_e32 v22, vcc, 1, v22
	v_addc_co_u32_e32 v23, vcc, 0, v23, vcc
	v_cmp_eq_u32_e32 vcc, 1, v22
	v_cndmask_b32_e32 v27, v2, v3, vcc
	v_cmp_lt_u32_e32 vcc, 5, v22
	v_cmp_eq_u32_e64 s[10:11], 2, v22
	v_cndmask_b32_e64 v27, v27, v4, s[10:11]
	s_or_b64 s[16:17], vcc, s[16:17]
	v_cmp_eq_u32_e32 vcc, 3, v22
	v_cndmask_b32_e32 v27, v27, v5, vcc
	v_cmp_eq_u32_e32 vcc, 4, v22
	v_cndmask_b32_e32 v27, v27, v6, vcc
	;; [unrolled: 2-line block ×12, first 2 shown]
	v_cmp_eq_u32_e32 vcc, 15, v22
	ds_read_b32 v26, v25
	v_cndmask_b32_e32 v27, v27, v17, vcc
	v_cmp_eq_u32_e32 vcc, 16, v22
	v_cndmask_b32_e32 v27, v27, v18, vcc
	v_cmp_eq_u32_e32 vcc, 17, v22
	;; [unrolled: 2-line block ×4, first 2 shown]
	v_cndmask_b32_e32 v27, v27, v21, vcc
	v_add_u32_e32 v25, 4, v25
	s_waitcnt lgkmcnt(0)
	v_fmac_f32_e32 v24, v27, v26
	s_andn2_b64 exec, exec, s[16:17]
	s_cbranch_execnz .LBB83_347
; %bb.348:
	s_or_b64 exec, exec, s[16:17]
.LBB83_349:
	s_or_b64 exec, exec, s[14:15]
	v_mov_b32_e32 v9, 0
	ds_read_b32 v9, v9 offset:28
	s_waitcnt lgkmcnt(0)
	v_mul_f32_e32 v9, v24, v9
.LBB83_350:
	s_or_b64 exec, exec, s[12:13]
	v_cmp_gt_u32_e32 vcc, 8, v0
	ds_write_b32 v106, v10
	s_waitcnt lgkmcnt(0)
	; wave barrier
	s_and_saveexec_b64 s[12:13], vcc
	s_cbranch_execz .LBB83_360
; %bb.351:
	s_and_b64 vcc, exec, s[0:1]
	s_cbranch_vccnz .LBB83_353
; %bb.352:
	v_cmp_eq_u32_e32 vcc, 1, v0
	v_cndmask_b32_e32 v22, v2, v3, vcc
	v_cmp_eq_u32_e32 vcc, 2, v0
	v_cndmask_b32_e32 v22, v22, v4, vcc
	;; [unrolled: 2-line block ×15, first 2 shown]
	v_cmp_eq_u32_e32 vcc, 16, v0
	ds_read_b32 v23, v106
	v_cndmask_b32_e32 v22, v22, v18, vcc
	v_cmp_eq_u32_e32 vcc, 17, v0
	v_cndmask_b32_e32 v22, v22, v19, vcc
	v_cmp_eq_u32_e32 vcc, 18, v0
	;; [unrolled: 2-line block ×3, first 2 shown]
	v_cndmask_b32_e32 v22, v22, v21, vcc
	s_waitcnt lgkmcnt(0)
	v_mul_f32_e32 v24, v22, v23
	s_cbranch_execz .LBB83_354
	s_branch .LBB83_355
.LBB83_353:
                                        ; implicit-def: $vgpr24
.LBB83_354:
	ds_read_b32 v24, v106
.LBB83_355:
	v_cmp_ne_u32_e32 vcc, 7, v0
	s_and_saveexec_b64 s[14:15], vcc
	s_cbranch_execz .LBB83_359
; %bb.356:
	v_mov_b32_e32 v22, 0x54
	v_lshl_add_u32 v25, v0, 2, v22
	v_mov_b32_e32 v23, v1
	s_mov_b64 s[16:17], 0
	v_mov_b32_e32 v22, v0
.LBB83_357:                             ; =>This Inner Loop Header: Depth=1
	v_add_co_u32_e32 v22, vcc, 1, v22
	v_addc_co_u32_e32 v23, vcc, 0, v23, vcc
	v_cmp_eq_u32_e32 vcc, 1, v22
	v_cndmask_b32_e32 v27, v2, v3, vcc
	v_cmp_lt_u32_e32 vcc, 6, v22
	v_cmp_eq_u32_e64 s[10:11], 2, v22
	v_cndmask_b32_e64 v27, v27, v4, s[10:11]
	s_or_b64 s[16:17], vcc, s[16:17]
	v_cmp_eq_u32_e32 vcc, 3, v22
	v_cndmask_b32_e32 v27, v27, v5, vcc
	v_cmp_eq_u32_e32 vcc, 4, v22
	v_cndmask_b32_e32 v27, v27, v6, vcc
	v_cmp_eq_u32_e32 vcc, 5, v22
	v_cndmask_b32_e32 v27, v27, v7, vcc
	v_cmp_eq_u32_e32 vcc, 6, v22
	v_cndmask_b32_e32 v27, v27, v8, vcc
	v_cmp_eq_u32_e32 vcc, 7, v22
	v_cndmask_b32_e32 v27, v27, v9, vcc
	v_cmp_eq_u32_e32 vcc, 8, v22
	v_cndmask_b32_e32 v27, v27, v10, vcc
	v_cmp_eq_u32_e32 vcc, 9, v22
	v_cndmask_b32_e32 v27, v27, v11, vcc
	v_cmp_eq_u32_e32 vcc, 10, v22
	v_cndmask_b32_e32 v27, v27, v12, vcc
	v_cmp_eq_u32_e32 vcc, 11, v22
	v_cndmask_b32_e32 v27, v27, v13, vcc
	v_cmp_eq_u32_e32 vcc, 12, v22
	v_cndmask_b32_e32 v27, v27, v14, vcc
	v_cmp_eq_u32_e32 vcc, 13, v22
	v_cndmask_b32_e32 v27, v27, v15, vcc
	v_cmp_eq_u32_e32 vcc, 14, v22
	v_cndmask_b32_e32 v27, v27, v16, vcc
	v_cmp_eq_u32_e32 vcc, 15, v22
	ds_read_b32 v26, v25
	v_cndmask_b32_e32 v27, v27, v17, vcc
	v_cmp_eq_u32_e32 vcc, 16, v22
	v_cndmask_b32_e32 v27, v27, v18, vcc
	v_cmp_eq_u32_e32 vcc, 17, v22
	;; [unrolled: 2-line block ×4, first 2 shown]
	v_cndmask_b32_e32 v27, v27, v21, vcc
	v_add_u32_e32 v25, 4, v25
	s_waitcnt lgkmcnt(0)
	v_fmac_f32_e32 v24, v27, v26
	s_andn2_b64 exec, exec, s[16:17]
	s_cbranch_execnz .LBB83_357
; %bb.358:
	s_or_b64 exec, exec, s[16:17]
.LBB83_359:
	s_or_b64 exec, exec, s[14:15]
	v_mov_b32_e32 v10, 0
	ds_read_b32 v10, v10 offset:32
	s_waitcnt lgkmcnt(0)
	v_mul_f32_e32 v10, v24, v10
.LBB83_360:
	s_or_b64 exec, exec, s[12:13]
	v_cmp_gt_u32_e32 vcc, 9, v0
	ds_write_b32 v106, v11
	s_waitcnt lgkmcnt(0)
	; wave barrier
	s_and_saveexec_b64 s[10:11], vcc
	s_cbranch_execz .LBB83_382
; %bb.361:
	s_and_b64 vcc, exec, s[0:1]
	s_cbranch_vccnz .LBB83_363
; %bb.362:
	v_cmp_eq_u32_e32 vcc, 1, v0
	v_cndmask_b32_e32 v22, v2, v3, vcc
	v_cmp_eq_u32_e32 vcc, 2, v0
	v_cndmask_b32_e32 v22, v22, v4, vcc
	;; [unrolled: 2-line block ×15, first 2 shown]
	v_cmp_eq_u32_e32 vcc, 16, v0
	ds_read_b32 v23, v106
	v_cndmask_b32_e32 v22, v22, v18, vcc
	v_cmp_eq_u32_e32 vcc, 17, v0
	v_cndmask_b32_e32 v22, v22, v19, vcc
	v_cmp_eq_u32_e32 vcc, 18, v0
	;; [unrolled: 2-line block ×3, first 2 shown]
	v_cndmask_b32_e32 v22, v22, v21, vcc
	s_waitcnt lgkmcnt(0)
	v_mul_f32_e32 v22, v22, v23
	s_cbranch_execz .LBB83_364
	s_branch .LBB83_365
.LBB83_363:
                                        ; implicit-def: $vgpr22
.LBB83_364:
	ds_read_b32 v22, v106
.LBB83_365:
	v_cmp_ne_u32_e32 vcc, 8, v0
	s_and_saveexec_b64 s[12:13], vcc
	s_cbranch_execz .LBB83_381
; %bb.366:
	v_cmp_eq_u32_e32 vcc, 1, v34
	v_cndmask_b32_e32 v23, v2, v3, vcc
	v_cmp_eq_u32_e32 vcc, 2, v34
	v_cndmask_b32_e32 v23, v23, v4, vcc
	;; [unrolled: 2-line block ×15, first 2 shown]
	v_cmp_eq_u32_e32 vcc, 16, v34
	ds_read_b32 v24, v106 offset:4
	v_cndmask_b32_e32 v23, v23, v18, vcc
	v_cmp_eq_u32_e32 vcc, 17, v34
	v_cndmask_b32_e32 v23, v23, v19, vcc
	v_cmp_eq_u32_e32 vcc, 18, v34
	;; [unrolled: 2-line block ×3, first 2 shown]
	v_cndmask_b32_e32 v23, v23, v21, vcc
	s_waitcnt lgkmcnt(0)
	v_fmac_f32_e32 v22, v23, v24
	s_and_saveexec_b64 s[14:15], s[8:9]
	s_cbranch_execz .LBB83_380
; %bb.367:
	v_add_u32_e32 v23, 2, v0
	v_cmp_eq_u32_e32 vcc, 1, v23
	v_cndmask_b32_e32 v24, v2, v3, vcc
	v_cmp_eq_u32_e32 vcc, 2, v23
	v_cndmask_b32_e32 v24, v24, v4, vcc
	;; [unrolled: 2-line block ×15, first 2 shown]
	v_cmp_eq_u32_e32 vcc, 16, v23
	ds_read_b32 v25, v106 offset:8
	v_cndmask_b32_e32 v24, v24, v18, vcc
	v_cmp_eq_u32_e32 vcc, 17, v23
	v_cndmask_b32_e32 v24, v24, v19, vcc
	v_cmp_eq_u32_e32 vcc, 18, v23
	;; [unrolled: 2-line block ×3, first 2 shown]
	v_cndmask_b32_e32 v23, v24, v21, vcc
	s_waitcnt lgkmcnt(0)
	v_fmac_f32_e32 v22, v23, v25
	v_cmp_ne_u32_e32 vcc, 6, v0
	s_and_saveexec_b64 s[8:9], vcc
	s_cbranch_execz .LBB83_379
; %bb.368:
	v_add_u32_e32 v23, 3, v0
	v_cmp_eq_u32_e32 vcc, 1, v23
	v_cndmask_b32_e32 v24, v2, v3, vcc
	v_cmp_eq_u32_e32 vcc, 2, v23
	v_cndmask_b32_e32 v24, v24, v4, vcc
	;; [unrolled: 2-line block ×15, first 2 shown]
	v_cmp_eq_u32_e32 vcc, 16, v23
	ds_read_b32 v25, v106 offset:12
	v_cndmask_b32_e32 v24, v24, v18, vcc
	v_cmp_eq_u32_e32 vcc, 17, v23
	v_cndmask_b32_e32 v24, v24, v19, vcc
	v_cmp_eq_u32_e32 vcc, 18, v23
	;; [unrolled: 2-line block ×3, first 2 shown]
	v_cndmask_b32_e32 v23, v24, v21, vcc
	s_waitcnt lgkmcnt(0)
	v_fmac_f32_e32 v22, v23, v25
	s_and_saveexec_b64 s[16:17], s[6:7]
	s_cbranch_execz .LBB83_378
; %bb.369:
	v_add_u32_e32 v23, 4, v0
	v_cmp_eq_u32_e32 vcc, 1, v23
	v_cndmask_b32_e32 v24, v2, v3, vcc
	v_cmp_eq_u32_e32 vcc, 2, v23
	v_cndmask_b32_e32 v24, v24, v4, vcc
	;; [unrolled: 2-line block ×15, first 2 shown]
	v_cmp_eq_u32_e32 vcc, 16, v23
	ds_read_b32 v25, v106 offset:16
	v_cndmask_b32_e32 v24, v24, v18, vcc
	v_cmp_eq_u32_e32 vcc, 17, v23
	v_cndmask_b32_e32 v24, v24, v19, vcc
	v_cmp_eq_u32_e32 vcc, 18, v23
	;; [unrolled: 2-line block ×3, first 2 shown]
	v_cndmask_b32_e32 v23, v24, v21, vcc
	s_waitcnt lgkmcnt(0)
	v_fmac_f32_e32 v22, v23, v25
	v_cmp_ne_u32_e32 vcc, 4, v0
	s_and_saveexec_b64 s[6:7], vcc
	s_cbranch_execz .LBB83_377
; %bb.370:
	v_add_u32_e32 v23, 5, v0
	v_cmp_eq_u32_e32 vcc, 1, v23
	v_cndmask_b32_e32 v24, v2, v3, vcc
	v_cmp_eq_u32_e32 vcc, 2, v23
	v_cndmask_b32_e32 v24, v24, v4, vcc
	;; [unrolled: 2-line block ×15, first 2 shown]
	v_cmp_eq_u32_e32 vcc, 16, v23
	ds_read_b32 v25, v106 offset:20
	v_cndmask_b32_e32 v24, v24, v18, vcc
	v_cmp_eq_u32_e32 vcc, 17, v23
	v_cndmask_b32_e32 v24, v24, v19, vcc
	v_cmp_eq_u32_e32 vcc, 18, v23
	;; [unrolled: 2-line block ×3, first 2 shown]
	v_cndmask_b32_e32 v23, v24, v21, vcc
	s_waitcnt lgkmcnt(0)
	v_fmac_f32_e32 v22, v23, v25
	s_and_saveexec_b64 s[18:19], s[4:5]
	s_cbranch_execz .LBB83_376
; %bb.371:
	v_add_u32_e32 v23, 6, v0
	v_cmp_eq_u32_e32 vcc, 1, v23
	v_cndmask_b32_e32 v24, v2, v3, vcc
	v_cmp_eq_u32_e32 vcc, 2, v23
	v_cndmask_b32_e32 v24, v24, v4, vcc
	;; [unrolled: 2-line block ×15, first 2 shown]
	v_cmp_eq_u32_e32 vcc, 16, v23
	ds_read_b32 v25, v106 offset:24
	v_cndmask_b32_e32 v24, v24, v18, vcc
	v_cmp_eq_u32_e32 vcc, 17, v23
	v_cndmask_b32_e32 v24, v24, v19, vcc
	v_cmp_eq_u32_e32 vcc, 18, v23
	;; [unrolled: 2-line block ×3, first 2 shown]
	v_cndmask_b32_e32 v23, v24, v21, vcc
	s_waitcnt lgkmcnt(0)
	v_fmac_f32_e32 v22, v23, v25
	v_cmp_ne_u32_e32 vcc, 2, v0
	s_and_saveexec_b64 s[4:5], vcc
	s_cbranch_execz .LBB83_375
; %bb.372:
	v_add_u32_e32 v23, 7, v0
	v_cmp_eq_u32_e32 vcc, 1, v23
	v_cndmask_b32_e32 v24, v2, v3, vcc
	v_cmp_eq_u32_e32 vcc, 2, v23
	v_cndmask_b32_e32 v24, v24, v4, vcc
	;; [unrolled: 2-line block ×15, first 2 shown]
	v_cmp_eq_u32_e32 vcc, 16, v23
	ds_read_b32 v24, v106 offset:28
	v_cndmask_b32_e32 v11, v11, v18, vcc
	v_cmp_eq_u32_e32 vcc, 17, v23
	v_cndmask_b32_e32 v11, v11, v19, vcc
	v_cmp_eq_u32_e32 vcc, 18, v23
	v_cndmask_b32_e32 v11, v11, v20, vcc
	v_cmp_eq_u32_e32 vcc, 19, v23
	v_cndmask_b32_e32 v11, v11, v21, vcc
	s_waitcnt lgkmcnt(0)
	v_fmac_f32_e32 v22, v11, v24
	s_and_saveexec_b64 s[20:21], s[2:3]
	s_cbranch_execz .LBB83_374
; %bb.373:
	ds_read_b32 v11, v106 offset:32
	s_waitcnt lgkmcnt(0)
	v_fmac_f32_e32 v22, v10, v11
.LBB83_374:
	s_or_b64 exec, exec, s[20:21]
.LBB83_375:
	s_or_b64 exec, exec, s[4:5]
.LBB83_376:
	s_or_b64 exec, exec, s[18:19]
.LBB83_377:
	s_or_b64 exec, exec, s[6:7]
.LBB83_378:
	s_or_b64 exec, exec, s[16:17]
.LBB83_379:
	s_or_b64 exec, exec, s[8:9]
.LBB83_380:
	s_or_b64 exec, exec, s[14:15]
.LBB83_381:
	s_or_b64 exec, exec, s[12:13]
	v_mov_b32_e32 v11, 0
	ds_read_b32 v11, v11 offset:36
	s_waitcnt lgkmcnt(0)
	v_mul_f32_e32 v11, v22, v11
.LBB83_382:
	s_or_b64 exec, exec, s[10:11]
	v_cmp_gt_u32_e32 vcc, 10, v0
	ds_write_b32 v106, v12
	s_waitcnt lgkmcnt(0)
	; wave barrier
	s_and_saveexec_b64 s[4:5], vcc
	s_cbranch_execz .LBB83_392
; %bb.383:
	s_and_b64 vcc, exec, s[0:1]
	s_cbranch_vccnz .LBB83_385
; %bb.384:
	v_cmp_eq_u32_e32 vcc, 1, v0
	v_cndmask_b32_e32 v22, v2, v3, vcc
	v_cmp_eq_u32_e32 vcc, 2, v0
	v_cndmask_b32_e32 v22, v22, v4, vcc
	;; [unrolled: 2-line block ×15, first 2 shown]
	v_cmp_eq_u32_e32 vcc, 16, v0
	ds_read_b32 v23, v106
	v_cndmask_b32_e32 v22, v22, v18, vcc
	v_cmp_eq_u32_e32 vcc, 17, v0
	v_cndmask_b32_e32 v22, v22, v19, vcc
	v_cmp_eq_u32_e32 vcc, 18, v0
	;; [unrolled: 2-line block ×3, first 2 shown]
	v_cndmask_b32_e32 v22, v22, v21, vcc
	s_waitcnt lgkmcnt(0)
	v_mul_f32_e32 v24, v22, v23
	s_cbranch_execz .LBB83_386
	s_branch .LBB83_387
.LBB83_385:
                                        ; implicit-def: $vgpr24
.LBB83_386:
	ds_read_b32 v24, v106
.LBB83_387:
	v_cmp_ne_u32_e32 vcc, 9, v0
	s_and_saveexec_b64 s[6:7], vcc
	s_cbranch_execz .LBB83_391
; %bb.388:
	v_mov_b32_e32 v22, 0x54
	v_lshl_add_u32 v25, v0, 2, v22
	v_mov_b32_e32 v23, v1
	s_mov_b64 s[8:9], 0
	v_mov_b32_e32 v22, v0
.LBB83_389:                             ; =>This Inner Loop Header: Depth=1
	v_add_co_u32_e32 v22, vcc, 1, v22
	v_addc_co_u32_e32 v23, vcc, 0, v23, vcc
	v_cmp_eq_u32_e32 vcc, 1, v22
	v_cndmask_b32_e32 v27, v2, v3, vcc
	v_cmp_lt_u32_e32 vcc, 8, v22
	v_cmp_eq_u32_e64 s[2:3], 2, v22
	v_cndmask_b32_e64 v27, v27, v4, s[2:3]
	s_or_b64 s[8:9], vcc, s[8:9]
	v_cmp_eq_u32_e32 vcc, 3, v22
	v_cndmask_b32_e32 v27, v27, v5, vcc
	v_cmp_eq_u32_e32 vcc, 4, v22
	v_cndmask_b32_e32 v27, v27, v6, vcc
	v_cmp_eq_u32_e32 vcc, 5, v22
	v_cndmask_b32_e32 v27, v27, v7, vcc
	v_cmp_eq_u32_e32 vcc, 6, v22
	v_cndmask_b32_e32 v27, v27, v8, vcc
	v_cmp_eq_u32_e32 vcc, 7, v22
	v_cndmask_b32_e32 v27, v27, v9, vcc
	v_cmp_eq_u32_e32 vcc, 8, v22
	v_cndmask_b32_e32 v27, v27, v10, vcc
	v_cmp_eq_u32_e32 vcc, 9, v22
	v_cndmask_b32_e32 v27, v27, v11, vcc
	v_cmp_eq_u32_e32 vcc, 10, v22
	v_cndmask_b32_e32 v27, v27, v12, vcc
	v_cmp_eq_u32_e32 vcc, 11, v22
	v_cndmask_b32_e32 v27, v27, v13, vcc
	v_cmp_eq_u32_e32 vcc, 12, v22
	v_cndmask_b32_e32 v27, v27, v14, vcc
	v_cmp_eq_u32_e32 vcc, 13, v22
	v_cndmask_b32_e32 v27, v27, v15, vcc
	v_cmp_eq_u32_e32 vcc, 14, v22
	v_cndmask_b32_e32 v27, v27, v16, vcc
	v_cmp_eq_u32_e32 vcc, 15, v22
	ds_read_b32 v26, v25
	v_cndmask_b32_e32 v27, v27, v17, vcc
	v_cmp_eq_u32_e32 vcc, 16, v22
	v_cndmask_b32_e32 v27, v27, v18, vcc
	v_cmp_eq_u32_e32 vcc, 17, v22
	;; [unrolled: 2-line block ×4, first 2 shown]
	v_cndmask_b32_e32 v27, v27, v21, vcc
	v_add_u32_e32 v25, 4, v25
	s_waitcnt lgkmcnt(0)
	v_fmac_f32_e32 v24, v27, v26
	s_andn2_b64 exec, exec, s[8:9]
	s_cbranch_execnz .LBB83_389
; %bb.390:
	s_or_b64 exec, exec, s[8:9]
.LBB83_391:
	s_or_b64 exec, exec, s[6:7]
	v_mov_b32_e32 v12, 0
	ds_read_b32 v12, v12 offset:40
	s_waitcnt lgkmcnt(0)
	v_mul_f32_e32 v12, v24, v12
.LBB83_392:
	s_or_b64 exec, exec, s[4:5]
	v_cmp_gt_u32_e32 vcc, 11, v0
	ds_write_b32 v106, v13
	s_waitcnt lgkmcnt(0)
	; wave barrier
	s_and_saveexec_b64 s[4:5], vcc
	s_cbranch_execz .LBB83_402
; %bb.393:
	s_and_b64 vcc, exec, s[0:1]
	s_cbranch_vccnz .LBB83_395
; %bb.394:
	v_cmp_eq_u32_e32 vcc, 1, v0
	v_cndmask_b32_e32 v22, v2, v3, vcc
	v_cmp_eq_u32_e32 vcc, 2, v0
	v_cndmask_b32_e32 v22, v22, v4, vcc
	;; [unrolled: 2-line block ×15, first 2 shown]
	v_cmp_eq_u32_e32 vcc, 16, v0
	ds_read_b32 v23, v106
	v_cndmask_b32_e32 v22, v22, v18, vcc
	v_cmp_eq_u32_e32 vcc, 17, v0
	v_cndmask_b32_e32 v22, v22, v19, vcc
	v_cmp_eq_u32_e32 vcc, 18, v0
	;; [unrolled: 2-line block ×3, first 2 shown]
	v_cndmask_b32_e32 v22, v22, v21, vcc
	s_waitcnt lgkmcnt(0)
	v_mul_f32_e32 v24, v22, v23
	s_cbranch_execz .LBB83_396
	s_branch .LBB83_397
.LBB83_395:
                                        ; implicit-def: $vgpr24
.LBB83_396:
	ds_read_b32 v24, v106
.LBB83_397:
	v_cmp_ne_u32_e32 vcc, 10, v0
	s_and_saveexec_b64 s[6:7], vcc
	s_cbranch_execz .LBB83_401
; %bb.398:
	v_mov_b32_e32 v22, 0x54
	v_lshl_add_u32 v25, v0, 2, v22
	v_mov_b32_e32 v23, v1
	s_mov_b64 s[8:9], 0
	v_mov_b32_e32 v22, v0
.LBB83_399:                             ; =>This Inner Loop Header: Depth=1
	v_add_co_u32_e32 v22, vcc, 1, v22
	v_addc_co_u32_e32 v23, vcc, 0, v23, vcc
	v_cmp_eq_u32_e32 vcc, 1, v22
	v_cndmask_b32_e32 v27, v2, v3, vcc
	v_cmp_lt_u32_e32 vcc, 9, v22
	v_cmp_eq_u32_e64 s[2:3], 2, v22
	v_cndmask_b32_e64 v27, v27, v4, s[2:3]
	s_or_b64 s[8:9], vcc, s[8:9]
	v_cmp_eq_u32_e32 vcc, 3, v22
	v_cndmask_b32_e32 v27, v27, v5, vcc
	v_cmp_eq_u32_e32 vcc, 4, v22
	v_cndmask_b32_e32 v27, v27, v6, vcc
	;; [unrolled: 2-line block ×12, first 2 shown]
	v_cmp_eq_u32_e32 vcc, 15, v22
	ds_read_b32 v26, v25
	v_cndmask_b32_e32 v27, v27, v17, vcc
	v_cmp_eq_u32_e32 vcc, 16, v22
	v_cndmask_b32_e32 v27, v27, v18, vcc
	v_cmp_eq_u32_e32 vcc, 17, v22
	v_cndmask_b32_e32 v27, v27, v19, vcc
	v_cmp_eq_u32_e32 vcc, 18, v22
	v_cndmask_b32_e32 v27, v27, v20, vcc
	v_cmp_eq_u32_e32 vcc, 19, v22
	v_cndmask_b32_e32 v27, v27, v21, vcc
	v_add_u32_e32 v25, 4, v25
	s_waitcnt lgkmcnt(0)
	v_fmac_f32_e32 v24, v27, v26
	s_andn2_b64 exec, exec, s[8:9]
	s_cbranch_execnz .LBB83_399
; %bb.400:
	s_or_b64 exec, exec, s[8:9]
.LBB83_401:
	s_or_b64 exec, exec, s[6:7]
	v_mov_b32_e32 v13, 0
	ds_read_b32 v13, v13 offset:44
	s_waitcnt lgkmcnt(0)
	v_mul_f32_e32 v13, v24, v13
.LBB83_402:
	s_or_b64 exec, exec, s[4:5]
	v_cmp_gt_u32_e32 vcc, 12, v0
	ds_write_b32 v106, v14
	s_waitcnt lgkmcnt(0)
	; wave barrier
	s_and_saveexec_b64 s[4:5], vcc
	s_cbranch_execz .LBB83_412
; %bb.403:
	s_and_b64 vcc, exec, s[0:1]
	s_cbranch_vccnz .LBB83_405
; %bb.404:
	v_cmp_eq_u32_e32 vcc, 1, v0
	v_cndmask_b32_e32 v22, v2, v3, vcc
	v_cmp_eq_u32_e32 vcc, 2, v0
	v_cndmask_b32_e32 v22, v22, v4, vcc
	;; [unrolled: 2-line block ×15, first 2 shown]
	v_cmp_eq_u32_e32 vcc, 16, v0
	ds_read_b32 v23, v106
	v_cndmask_b32_e32 v22, v22, v18, vcc
	v_cmp_eq_u32_e32 vcc, 17, v0
	v_cndmask_b32_e32 v22, v22, v19, vcc
	v_cmp_eq_u32_e32 vcc, 18, v0
	v_cndmask_b32_e32 v22, v22, v20, vcc
	v_cmp_eq_u32_e32 vcc, 19, v0
	v_cndmask_b32_e32 v22, v22, v21, vcc
	s_waitcnt lgkmcnt(0)
	v_mul_f32_e32 v24, v22, v23
	s_cbranch_execz .LBB83_406
	s_branch .LBB83_407
.LBB83_405:
                                        ; implicit-def: $vgpr24
.LBB83_406:
	ds_read_b32 v24, v106
.LBB83_407:
	v_cmp_ne_u32_e32 vcc, 11, v0
	s_and_saveexec_b64 s[6:7], vcc
	s_cbranch_execz .LBB83_411
; %bb.408:
	v_mov_b32_e32 v22, 0x54
	v_lshl_add_u32 v25, v0, 2, v22
	v_mov_b32_e32 v23, v1
	s_mov_b64 s[8:9], 0
	v_mov_b32_e32 v22, v0
.LBB83_409:                             ; =>This Inner Loop Header: Depth=1
	v_add_co_u32_e32 v22, vcc, 1, v22
	v_addc_co_u32_e32 v23, vcc, 0, v23, vcc
	v_cmp_eq_u32_e32 vcc, 1, v22
	v_cndmask_b32_e32 v27, v2, v3, vcc
	v_cmp_lt_u32_e32 vcc, 10, v22
	v_cmp_eq_u32_e64 s[2:3], 2, v22
	v_cndmask_b32_e64 v27, v27, v4, s[2:3]
	s_or_b64 s[8:9], vcc, s[8:9]
	v_cmp_eq_u32_e32 vcc, 3, v22
	v_cndmask_b32_e32 v27, v27, v5, vcc
	v_cmp_eq_u32_e32 vcc, 4, v22
	v_cndmask_b32_e32 v27, v27, v6, vcc
	;; [unrolled: 2-line block ×12, first 2 shown]
	v_cmp_eq_u32_e32 vcc, 15, v22
	ds_read_b32 v26, v25
	v_cndmask_b32_e32 v27, v27, v17, vcc
	v_cmp_eq_u32_e32 vcc, 16, v22
	v_cndmask_b32_e32 v27, v27, v18, vcc
	v_cmp_eq_u32_e32 vcc, 17, v22
	;; [unrolled: 2-line block ×4, first 2 shown]
	v_cndmask_b32_e32 v27, v27, v21, vcc
	v_add_u32_e32 v25, 4, v25
	s_waitcnt lgkmcnt(0)
	v_fmac_f32_e32 v24, v27, v26
	s_andn2_b64 exec, exec, s[8:9]
	s_cbranch_execnz .LBB83_409
; %bb.410:
	s_or_b64 exec, exec, s[8:9]
.LBB83_411:
	s_or_b64 exec, exec, s[6:7]
	v_mov_b32_e32 v14, 0
	ds_read_b32 v14, v14 offset:48
	s_waitcnt lgkmcnt(0)
	v_mul_f32_e32 v14, v24, v14
.LBB83_412:
	s_or_b64 exec, exec, s[4:5]
	v_cmp_gt_u32_e32 vcc, 13, v0
	ds_write_b32 v106, v15
	s_waitcnt lgkmcnt(0)
	; wave barrier
	s_and_saveexec_b64 s[4:5], vcc
	s_cbranch_execz .LBB83_422
; %bb.413:
	s_and_b64 vcc, exec, s[0:1]
	s_cbranch_vccnz .LBB83_415
; %bb.414:
	v_cmp_eq_u32_e32 vcc, 1, v0
	v_cndmask_b32_e32 v22, v2, v3, vcc
	v_cmp_eq_u32_e32 vcc, 2, v0
	v_cndmask_b32_e32 v22, v22, v4, vcc
	;; [unrolled: 2-line block ×15, first 2 shown]
	v_cmp_eq_u32_e32 vcc, 16, v0
	ds_read_b32 v23, v106
	v_cndmask_b32_e32 v22, v22, v18, vcc
	v_cmp_eq_u32_e32 vcc, 17, v0
	v_cndmask_b32_e32 v22, v22, v19, vcc
	v_cmp_eq_u32_e32 vcc, 18, v0
	;; [unrolled: 2-line block ×3, first 2 shown]
	v_cndmask_b32_e32 v22, v22, v21, vcc
	s_waitcnt lgkmcnt(0)
	v_mul_f32_e32 v24, v22, v23
	s_cbranch_execz .LBB83_416
	s_branch .LBB83_417
.LBB83_415:
                                        ; implicit-def: $vgpr24
.LBB83_416:
	ds_read_b32 v24, v106
.LBB83_417:
	v_cmp_ne_u32_e32 vcc, 12, v0
	s_and_saveexec_b64 s[6:7], vcc
	s_cbranch_execz .LBB83_421
; %bb.418:
	v_mov_b32_e32 v22, 0x54
	v_lshl_add_u32 v25, v0, 2, v22
	v_mov_b32_e32 v23, v1
	s_mov_b64 s[8:9], 0
	v_mov_b32_e32 v22, v0
.LBB83_419:                             ; =>This Inner Loop Header: Depth=1
	v_add_co_u32_e32 v22, vcc, 1, v22
	v_addc_co_u32_e32 v23, vcc, 0, v23, vcc
	v_cmp_eq_u32_e32 vcc, 1, v22
	v_cndmask_b32_e32 v27, v2, v3, vcc
	v_cmp_lt_u32_e32 vcc, 11, v22
	v_cmp_eq_u32_e64 s[2:3], 2, v22
	v_cndmask_b32_e64 v27, v27, v4, s[2:3]
	s_or_b64 s[8:9], vcc, s[8:9]
	v_cmp_eq_u32_e32 vcc, 3, v22
	v_cndmask_b32_e32 v27, v27, v5, vcc
	v_cmp_eq_u32_e32 vcc, 4, v22
	v_cndmask_b32_e32 v27, v27, v6, vcc
	;; [unrolled: 2-line block ×12, first 2 shown]
	v_cmp_eq_u32_e32 vcc, 15, v22
	ds_read_b32 v26, v25
	v_cndmask_b32_e32 v27, v27, v17, vcc
	v_cmp_eq_u32_e32 vcc, 16, v22
	v_cndmask_b32_e32 v27, v27, v18, vcc
	v_cmp_eq_u32_e32 vcc, 17, v22
	;; [unrolled: 2-line block ×4, first 2 shown]
	v_cndmask_b32_e32 v27, v27, v21, vcc
	v_add_u32_e32 v25, 4, v25
	s_waitcnt lgkmcnt(0)
	v_fmac_f32_e32 v24, v27, v26
	s_andn2_b64 exec, exec, s[8:9]
	s_cbranch_execnz .LBB83_419
; %bb.420:
	s_or_b64 exec, exec, s[8:9]
.LBB83_421:
	s_or_b64 exec, exec, s[6:7]
	v_mov_b32_e32 v15, 0
	ds_read_b32 v15, v15 offset:52
	s_waitcnt lgkmcnt(0)
	v_mul_f32_e32 v15, v24, v15
.LBB83_422:
	s_or_b64 exec, exec, s[4:5]
	v_cmp_gt_u32_e32 vcc, 14, v0
	ds_write_b32 v106, v16
	s_waitcnt lgkmcnt(0)
	; wave barrier
	s_and_saveexec_b64 s[4:5], vcc
	s_cbranch_execz .LBB83_432
; %bb.423:
	s_and_b64 vcc, exec, s[0:1]
	s_cbranch_vccnz .LBB83_425
; %bb.424:
	v_cmp_eq_u32_e32 vcc, 1, v0
	v_cndmask_b32_e32 v22, v2, v3, vcc
	v_cmp_eq_u32_e32 vcc, 2, v0
	v_cndmask_b32_e32 v22, v22, v4, vcc
	;; [unrolled: 2-line block ×15, first 2 shown]
	v_cmp_eq_u32_e32 vcc, 16, v0
	ds_read_b32 v23, v106
	v_cndmask_b32_e32 v22, v22, v18, vcc
	v_cmp_eq_u32_e32 vcc, 17, v0
	v_cndmask_b32_e32 v22, v22, v19, vcc
	v_cmp_eq_u32_e32 vcc, 18, v0
	;; [unrolled: 2-line block ×3, first 2 shown]
	v_cndmask_b32_e32 v22, v22, v21, vcc
	s_waitcnt lgkmcnt(0)
	v_mul_f32_e32 v24, v22, v23
	s_cbranch_execz .LBB83_426
	s_branch .LBB83_427
.LBB83_425:
                                        ; implicit-def: $vgpr24
.LBB83_426:
	ds_read_b32 v24, v106
.LBB83_427:
	v_cmp_ne_u32_e32 vcc, 13, v0
	s_and_saveexec_b64 s[6:7], vcc
	s_cbranch_execz .LBB83_431
; %bb.428:
	v_mov_b32_e32 v22, 0x54
	v_lshl_add_u32 v25, v0, 2, v22
	v_mov_b32_e32 v23, v1
	s_mov_b64 s[8:9], 0
	v_mov_b32_e32 v22, v0
.LBB83_429:                             ; =>This Inner Loop Header: Depth=1
	v_add_co_u32_e32 v22, vcc, 1, v22
	v_addc_co_u32_e32 v23, vcc, 0, v23, vcc
	v_cmp_eq_u32_e32 vcc, 1, v22
	v_cndmask_b32_e32 v27, v2, v3, vcc
	v_cmp_lt_u32_e32 vcc, 12, v22
	v_cmp_eq_u32_e64 s[2:3], 2, v22
	v_cndmask_b32_e64 v27, v27, v4, s[2:3]
	s_or_b64 s[8:9], vcc, s[8:9]
	v_cmp_eq_u32_e32 vcc, 3, v22
	v_cndmask_b32_e32 v27, v27, v5, vcc
	v_cmp_eq_u32_e32 vcc, 4, v22
	v_cndmask_b32_e32 v27, v27, v6, vcc
	;; [unrolled: 2-line block ×12, first 2 shown]
	v_cmp_eq_u32_e32 vcc, 15, v22
	ds_read_b32 v26, v25
	v_cndmask_b32_e32 v27, v27, v17, vcc
	v_cmp_eq_u32_e32 vcc, 16, v22
	v_cndmask_b32_e32 v27, v27, v18, vcc
	v_cmp_eq_u32_e32 vcc, 17, v22
	;; [unrolled: 2-line block ×4, first 2 shown]
	v_cndmask_b32_e32 v27, v27, v21, vcc
	v_add_u32_e32 v25, 4, v25
	s_waitcnt lgkmcnt(0)
	v_fmac_f32_e32 v24, v27, v26
	s_andn2_b64 exec, exec, s[8:9]
	s_cbranch_execnz .LBB83_429
; %bb.430:
	s_or_b64 exec, exec, s[8:9]
.LBB83_431:
	s_or_b64 exec, exec, s[6:7]
	v_mov_b32_e32 v16, 0
	ds_read_b32 v16, v16 offset:56
	s_waitcnt lgkmcnt(0)
	v_mul_f32_e32 v16, v24, v16
.LBB83_432:
	s_or_b64 exec, exec, s[4:5]
	v_cmp_gt_u32_e32 vcc, 15, v0
	ds_write_b32 v106, v17
	s_waitcnt lgkmcnt(0)
	; wave barrier
	s_and_saveexec_b64 s[4:5], vcc
	s_cbranch_execz .LBB83_442
; %bb.433:
	s_and_b64 vcc, exec, s[0:1]
	s_cbranch_vccnz .LBB83_435
; %bb.434:
	v_cmp_eq_u32_e32 vcc, 1, v0
	v_cndmask_b32_e32 v22, v2, v3, vcc
	v_cmp_eq_u32_e32 vcc, 2, v0
	v_cndmask_b32_e32 v22, v22, v4, vcc
	;; [unrolled: 2-line block ×15, first 2 shown]
	v_cmp_eq_u32_e32 vcc, 16, v0
	ds_read_b32 v23, v106
	v_cndmask_b32_e32 v22, v22, v18, vcc
	v_cmp_eq_u32_e32 vcc, 17, v0
	v_cndmask_b32_e32 v22, v22, v19, vcc
	v_cmp_eq_u32_e32 vcc, 18, v0
	v_cndmask_b32_e32 v22, v22, v20, vcc
	v_cmp_eq_u32_e32 vcc, 19, v0
	v_cndmask_b32_e32 v22, v22, v21, vcc
	s_waitcnt lgkmcnt(0)
	v_mul_f32_e32 v24, v22, v23
	s_cbranch_execz .LBB83_436
	s_branch .LBB83_437
.LBB83_435:
                                        ; implicit-def: $vgpr24
.LBB83_436:
	ds_read_b32 v24, v106
.LBB83_437:
	v_cmp_ne_u32_e32 vcc, 14, v0
	s_and_saveexec_b64 s[6:7], vcc
	s_cbranch_execz .LBB83_441
; %bb.438:
	v_mov_b32_e32 v22, 0x54
	v_lshl_add_u32 v25, v0, 2, v22
	v_mov_b32_e32 v23, v1
	s_mov_b64 s[8:9], 0
	v_mov_b32_e32 v22, v0
.LBB83_439:                             ; =>This Inner Loop Header: Depth=1
	v_add_co_u32_e32 v22, vcc, 1, v22
	v_addc_co_u32_e32 v23, vcc, 0, v23, vcc
	v_cmp_eq_u32_e32 vcc, 1, v22
	v_cndmask_b32_e32 v27, v2, v3, vcc
	v_cmp_lt_u32_e32 vcc, 13, v22
	v_cmp_eq_u32_e64 s[2:3], 2, v22
	v_cndmask_b32_e64 v27, v27, v4, s[2:3]
	s_or_b64 s[8:9], vcc, s[8:9]
	v_cmp_eq_u32_e32 vcc, 3, v22
	v_cndmask_b32_e32 v27, v27, v5, vcc
	v_cmp_eq_u32_e32 vcc, 4, v22
	v_cndmask_b32_e32 v27, v27, v6, vcc
	;; [unrolled: 2-line block ×12, first 2 shown]
	v_cmp_eq_u32_e32 vcc, 15, v22
	ds_read_b32 v26, v25
	v_cndmask_b32_e32 v27, v27, v17, vcc
	v_cmp_eq_u32_e32 vcc, 16, v22
	v_cndmask_b32_e32 v27, v27, v18, vcc
	v_cmp_eq_u32_e32 vcc, 17, v22
	;; [unrolled: 2-line block ×4, first 2 shown]
	v_cndmask_b32_e32 v27, v27, v21, vcc
	v_add_u32_e32 v25, 4, v25
	s_waitcnt lgkmcnt(0)
	v_fmac_f32_e32 v24, v27, v26
	s_andn2_b64 exec, exec, s[8:9]
	s_cbranch_execnz .LBB83_439
; %bb.440:
	s_or_b64 exec, exec, s[8:9]
.LBB83_441:
	s_or_b64 exec, exec, s[6:7]
	v_mov_b32_e32 v17, 0
	ds_read_b32 v17, v17 offset:60
	s_waitcnt lgkmcnt(0)
	v_mul_f32_e32 v17, v24, v17
.LBB83_442:
	s_or_b64 exec, exec, s[4:5]
	v_cmp_gt_u32_e32 vcc, 16, v0
	ds_write_b32 v106, v18
	s_waitcnt lgkmcnt(0)
	; wave barrier
	s_and_saveexec_b64 s[4:5], vcc
	s_cbranch_execz .LBB83_452
; %bb.443:
	s_and_b64 vcc, exec, s[0:1]
	s_cbranch_vccnz .LBB83_445
; %bb.444:
	v_cmp_eq_u32_e32 vcc, 1, v0
	v_cndmask_b32_e32 v22, v2, v3, vcc
	v_cmp_eq_u32_e32 vcc, 2, v0
	v_cndmask_b32_e32 v22, v22, v4, vcc
	;; [unrolled: 2-line block ×15, first 2 shown]
	v_cmp_eq_u32_e32 vcc, 16, v0
	ds_read_b32 v23, v106
	v_cndmask_b32_e32 v22, v22, v18, vcc
	v_cmp_eq_u32_e32 vcc, 17, v0
	v_cndmask_b32_e32 v22, v22, v19, vcc
	v_cmp_eq_u32_e32 vcc, 18, v0
	;; [unrolled: 2-line block ×3, first 2 shown]
	v_cndmask_b32_e32 v22, v22, v21, vcc
	s_waitcnt lgkmcnt(0)
	v_mul_f32_e32 v24, v22, v23
	s_cbranch_execz .LBB83_446
	s_branch .LBB83_447
.LBB83_445:
                                        ; implicit-def: $vgpr24
.LBB83_446:
	ds_read_b32 v24, v106
.LBB83_447:
	v_cmp_ne_u32_e32 vcc, 15, v0
	s_and_saveexec_b64 s[6:7], vcc
	s_cbranch_execz .LBB83_451
; %bb.448:
	v_mov_b32_e32 v22, 0x54
	v_lshl_add_u32 v25, v0, 2, v22
	v_mov_b32_e32 v23, v1
	s_mov_b64 s[8:9], 0
	v_mov_b32_e32 v22, v0
.LBB83_449:                             ; =>This Inner Loop Header: Depth=1
	v_add_co_u32_e32 v22, vcc, 1, v22
	v_addc_co_u32_e32 v23, vcc, 0, v23, vcc
	v_cmp_eq_u32_e32 vcc, 1, v22
	v_cndmask_b32_e32 v27, v2, v3, vcc
	v_cmp_lt_u32_e32 vcc, 14, v22
	v_cmp_eq_u32_e64 s[2:3], 2, v22
	v_cndmask_b32_e64 v27, v27, v4, s[2:3]
	s_or_b64 s[8:9], vcc, s[8:9]
	v_cmp_eq_u32_e32 vcc, 3, v22
	v_cndmask_b32_e32 v27, v27, v5, vcc
	v_cmp_eq_u32_e32 vcc, 4, v22
	v_cndmask_b32_e32 v27, v27, v6, vcc
	;; [unrolled: 2-line block ×12, first 2 shown]
	v_cmp_eq_u32_e32 vcc, 15, v22
	ds_read_b32 v26, v25
	v_cndmask_b32_e32 v27, v27, v17, vcc
	v_cmp_eq_u32_e32 vcc, 16, v22
	v_cndmask_b32_e32 v27, v27, v18, vcc
	v_cmp_eq_u32_e32 vcc, 17, v22
	;; [unrolled: 2-line block ×4, first 2 shown]
	v_cndmask_b32_e32 v27, v27, v21, vcc
	v_add_u32_e32 v25, 4, v25
	s_waitcnt lgkmcnt(0)
	v_fmac_f32_e32 v24, v27, v26
	s_andn2_b64 exec, exec, s[8:9]
	s_cbranch_execnz .LBB83_449
; %bb.450:
	s_or_b64 exec, exec, s[8:9]
.LBB83_451:
	s_or_b64 exec, exec, s[6:7]
	v_mov_b32_e32 v18, 0
	ds_read_b32 v18, v18 offset:64
	s_waitcnt lgkmcnt(0)
	v_mul_f32_e32 v18, v24, v18
.LBB83_452:
	s_or_b64 exec, exec, s[4:5]
	v_cmp_gt_u32_e32 vcc, 17, v0
	ds_write_b32 v106, v19
	s_waitcnt lgkmcnt(0)
	; wave barrier
	s_and_saveexec_b64 s[4:5], vcc
	s_cbranch_execz .LBB83_462
; %bb.453:
	s_and_b64 vcc, exec, s[0:1]
	s_cbranch_vccnz .LBB83_455
; %bb.454:
	v_cmp_eq_u32_e32 vcc, 1, v0
	v_cndmask_b32_e32 v22, v2, v3, vcc
	v_cmp_eq_u32_e32 vcc, 2, v0
	v_cndmask_b32_e32 v22, v22, v4, vcc
	;; [unrolled: 2-line block ×15, first 2 shown]
	v_cmp_eq_u32_e32 vcc, 16, v0
	ds_read_b32 v23, v106
	v_cndmask_b32_e32 v22, v22, v18, vcc
	v_cmp_eq_u32_e32 vcc, 17, v0
	v_cndmask_b32_e32 v22, v22, v19, vcc
	v_cmp_eq_u32_e32 vcc, 18, v0
	v_cndmask_b32_e32 v22, v22, v20, vcc
	v_cmp_eq_u32_e32 vcc, 19, v0
	v_cndmask_b32_e32 v22, v22, v21, vcc
	s_waitcnt lgkmcnt(0)
	v_mul_f32_e32 v24, v22, v23
	s_cbranch_execz .LBB83_456
	s_branch .LBB83_457
.LBB83_455:
                                        ; implicit-def: $vgpr24
.LBB83_456:
	ds_read_b32 v24, v106
.LBB83_457:
	v_cmp_ne_u32_e32 vcc, 16, v0
	s_and_saveexec_b64 s[6:7], vcc
	s_cbranch_execz .LBB83_461
; %bb.458:
	v_mov_b32_e32 v22, 0x54
	v_lshl_add_u32 v25, v0, 2, v22
	v_mov_b32_e32 v23, v1
	s_mov_b64 s[8:9], 0
	v_mov_b32_e32 v22, v0
.LBB83_459:                             ; =>This Inner Loop Header: Depth=1
	v_add_co_u32_e32 v22, vcc, 1, v22
	v_addc_co_u32_e32 v23, vcc, 0, v23, vcc
	v_cmp_eq_u32_e32 vcc, 1, v22
	v_cndmask_b32_e32 v27, v2, v3, vcc
	v_cmp_lt_u32_e32 vcc, 15, v22
	v_cmp_eq_u32_e64 s[2:3], 2, v22
	v_cndmask_b32_e64 v27, v27, v4, s[2:3]
	s_or_b64 s[8:9], vcc, s[8:9]
	v_cmp_eq_u32_e32 vcc, 3, v22
	v_cndmask_b32_e32 v27, v27, v5, vcc
	v_cmp_eq_u32_e32 vcc, 4, v22
	v_cndmask_b32_e32 v27, v27, v6, vcc
	;; [unrolled: 2-line block ×12, first 2 shown]
	v_cmp_eq_u32_e32 vcc, 15, v22
	ds_read_b32 v26, v25
	v_cndmask_b32_e32 v27, v27, v17, vcc
	v_cmp_eq_u32_e32 vcc, 16, v22
	v_cndmask_b32_e32 v27, v27, v18, vcc
	v_cmp_eq_u32_e32 vcc, 17, v22
	;; [unrolled: 2-line block ×4, first 2 shown]
	v_cndmask_b32_e32 v27, v27, v21, vcc
	v_add_u32_e32 v25, 4, v25
	s_waitcnt lgkmcnt(0)
	v_fmac_f32_e32 v24, v27, v26
	s_andn2_b64 exec, exec, s[8:9]
	s_cbranch_execnz .LBB83_459
; %bb.460:
	s_or_b64 exec, exec, s[8:9]
.LBB83_461:
	s_or_b64 exec, exec, s[6:7]
	v_mov_b32_e32 v19, 0
	ds_read_b32 v19, v19 offset:68
	s_waitcnt lgkmcnt(0)
	v_mul_f32_e32 v19, v24, v19
.LBB83_462:
	s_or_b64 exec, exec, s[4:5]
	v_cmp_gt_u32_e64 s[2:3], 18, v0
	ds_write_b32 v106, v20
	s_waitcnt lgkmcnt(0)
	; wave barrier
	s_and_saveexec_b64 s[6:7], s[2:3]
	s_cbranch_execz .LBB83_472
; %bb.463:
	s_and_b64 vcc, exec, s[0:1]
	s_cbranch_vccnz .LBB83_465
; %bb.464:
	v_cmp_eq_u32_e32 vcc, 1, v0
	v_cndmask_b32_e32 v22, v2, v3, vcc
	v_cmp_eq_u32_e32 vcc, 2, v0
	v_cndmask_b32_e32 v22, v22, v4, vcc
	;; [unrolled: 2-line block ×15, first 2 shown]
	v_cmp_eq_u32_e32 vcc, 16, v0
	ds_read_b32 v23, v106
	v_cndmask_b32_e32 v22, v22, v18, vcc
	v_cmp_eq_u32_e32 vcc, 17, v0
	v_cndmask_b32_e32 v22, v22, v19, vcc
	v_cmp_eq_u32_e32 vcc, 18, v0
	;; [unrolled: 2-line block ×3, first 2 shown]
	v_cndmask_b32_e32 v22, v22, v21, vcc
	s_waitcnt lgkmcnt(0)
	v_mul_f32_e32 v24, v22, v23
	s_cbranch_execz .LBB83_466
	s_branch .LBB83_467
.LBB83_465:
                                        ; implicit-def: $vgpr24
.LBB83_466:
	ds_read_b32 v24, v106
.LBB83_467:
	v_cmp_ne_u32_e32 vcc, 17, v0
	s_and_saveexec_b64 s[8:9], vcc
	s_cbranch_execz .LBB83_471
; %bb.468:
	v_mov_b32_e32 v22, 0x54
	v_lshl_add_u32 v25, v0, 2, v22
	v_mov_b32_e32 v23, v1
	s_mov_b64 s[10:11], 0
	v_mov_b32_e32 v22, v0
.LBB83_469:                             ; =>This Inner Loop Header: Depth=1
	v_add_co_u32_e32 v22, vcc, 1, v22
	v_addc_co_u32_e32 v23, vcc, 0, v23, vcc
	v_cmp_eq_u32_e32 vcc, 1, v22
	v_cndmask_b32_e32 v27, v2, v3, vcc
	v_cmp_lt_u32_e32 vcc, 16, v22
	v_cmp_eq_u32_e64 s[4:5], 2, v22
	v_cndmask_b32_e64 v27, v27, v4, s[4:5]
	s_or_b64 s[10:11], vcc, s[10:11]
	v_cmp_eq_u32_e32 vcc, 3, v22
	v_cndmask_b32_e32 v27, v27, v5, vcc
	v_cmp_eq_u32_e32 vcc, 4, v22
	v_cndmask_b32_e32 v27, v27, v6, vcc
	;; [unrolled: 2-line block ×12, first 2 shown]
	v_cmp_eq_u32_e32 vcc, 15, v22
	ds_read_b32 v26, v25
	v_cndmask_b32_e32 v27, v27, v17, vcc
	v_cmp_eq_u32_e32 vcc, 16, v22
	v_cndmask_b32_e32 v27, v27, v18, vcc
	v_cmp_eq_u32_e32 vcc, 17, v22
	v_cndmask_b32_e32 v27, v27, v19, vcc
	v_cmp_eq_u32_e32 vcc, 18, v22
	v_cndmask_b32_e32 v27, v27, v20, vcc
	v_cmp_eq_u32_e32 vcc, 19, v22
	v_cndmask_b32_e32 v27, v27, v21, vcc
	v_add_u32_e32 v25, 4, v25
	s_waitcnt lgkmcnt(0)
	v_fmac_f32_e32 v24, v27, v26
	s_andn2_b64 exec, exec, s[10:11]
	s_cbranch_execnz .LBB83_469
; %bb.470:
	s_or_b64 exec, exec, s[10:11]
.LBB83_471:
	s_or_b64 exec, exec, s[8:9]
	v_mov_b32_e32 v20, 0
	ds_read_b32 v20, v20 offset:72
	s_waitcnt lgkmcnt(0)
	v_mul_f32_e32 v20, v24, v20
.LBB83_472:
	s_or_b64 exec, exec, s[6:7]
	v_cmp_ne_u32_e32 vcc, 19, v0
	ds_write_b32 v106, v21
	s_waitcnt lgkmcnt(0)
	; wave barrier
	s_and_saveexec_b64 s[4:5], vcc
	s_cbranch_execz .LBB83_482
; %bb.473:
	s_and_b64 vcc, exec, s[0:1]
	s_cbranch_vccnz .LBB83_475
; %bb.474:
	v_cmp_eq_u32_e32 vcc, 1, v0
	v_cndmask_b32_e32 v22, v2, v3, vcc
	v_cmp_eq_u32_e32 vcc, 2, v0
	v_cndmask_b32_e32 v22, v22, v4, vcc
	;; [unrolled: 2-line block ×15, first 2 shown]
	v_cmp_eq_u32_e32 vcc, 16, v0
	ds_read_b32 v23, v106
	v_cndmask_b32_e32 v22, v22, v18, vcc
	v_cmp_eq_u32_e32 vcc, 17, v0
	v_cndmask_b32_e32 v22, v22, v19, vcc
	v_cmp_eq_u32_e32 vcc, 18, v0
	;; [unrolled: 2-line block ×3, first 2 shown]
	v_cndmask_b32_e32 v22, v22, v21, vcc
	s_waitcnt lgkmcnt(0)
	v_mul_f32_e32 v22, v22, v23
	s_cbranch_execz .LBB83_476
	s_branch .LBB83_477
.LBB83_475:
                                        ; implicit-def: $vgpr22
.LBB83_476:
	ds_read_b32 v22, v106
.LBB83_477:
	s_and_saveexec_b64 s[6:7], s[2:3]
	s_cbranch_execz .LBB83_481
; %bb.478:
	v_mov_b32_e32 v23, 0x54
	v_lshl_add_u32 v23, v0, 2, v23
	s_mov_b64 s[2:3], 0
.LBB83_479:                             ; =>This Inner Loop Header: Depth=1
	v_add_co_u32_e32 v0, vcc, 1, v0
	v_addc_co_u32_e32 v1, vcc, 0, v1, vcc
	v_cmp_eq_u32_e32 vcc, 1, v0
	v_cndmask_b32_e32 v25, v2, v3, vcc
	v_cmp_lt_u32_e32 vcc, 17, v0
	v_cmp_eq_u32_e64 s[0:1], 2, v0
	v_cndmask_b32_e64 v25, v25, v4, s[0:1]
	s_or_b64 s[2:3], vcc, s[2:3]
	v_cmp_eq_u32_e32 vcc, 3, v0
	v_cndmask_b32_e32 v25, v25, v5, vcc
	v_cmp_eq_u32_e32 vcc, 4, v0
	v_cndmask_b32_e32 v25, v25, v6, vcc
	;; [unrolled: 2-line block ×12, first 2 shown]
	v_cmp_eq_u32_e32 vcc, 15, v0
	ds_read_b32 v24, v23
	v_cndmask_b32_e32 v25, v25, v17, vcc
	v_cmp_eq_u32_e32 vcc, 16, v0
	v_cndmask_b32_e32 v25, v25, v18, vcc
	v_cmp_eq_u32_e32 vcc, 17, v0
	;; [unrolled: 2-line block ×4, first 2 shown]
	v_cndmask_b32_e32 v25, v25, v21, vcc
	v_add_u32_e32 v23, 4, v23
	s_waitcnt lgkmcnt(0)
	v_fmac_f32_e32 v22, v25, v24
	s_andn2_b64 exec, exec, s[2:3]
	s_cbranch_execnz .LBB83_479
; %bb.480:
	s_or_b64 exec, exec, s[2:3]
.LBB83_481:
	s_or_b64 exec, exec, s[6:7]
	v_mov_b32_e32 v0, 0
	ds_read_b32 v0, v0 offset:76
	s_waitcnt lgkmcnt(0)
	v_mul_f32_e32 v21, v22, v0
.LBB83_482:
	s_or_b64 exec, exec, s[4:5]
	v_mov_b32_e32 v65, v33
	v_mov_b32_e32 v64, v32
	v_mov_b32_e32 v63, v31
	v_mov_b32_e32 v62, v30
	v_mov_b32_e32 v61, v29
	v_mov_b32_e32 v60, v28
	v_mov_b32_e32 v59, v27
	v_mov_b32_e32 v58, v26
	v_mov_b32_e32 v57, v25
	v_mov_b32_e32 v56, v24
	v_mov_b32_e32 v55, v23
	v_mov_b32_e32 v54, v22
	v_mov_b32_e32 v53, v21
	v_mov_b32_e32 v52, v20
	v_mov_b32_e32 v51, v19
	v_mov_b32_e32 v50, v18
	v_mov_b32_e32 v49, v17
	v_mov_b32_e32 v48, v16
	v_mov_b32_e32 v47, v15
	v_mov_b32_e32 v46, v14
	v_mov_b32_e32 v45, v13
	v_mov_b32_e32 v44, v12
	v_mov_b32_e32 v43, v11
	v_mov_b32_e32 v42, v10
	v_mov_b32_e32 v41, v9
	v_mov_b32_e32 v40, v8
	v_mov_b32_e32 v39, v7
	v_mov_b32_e32 v38, v6
	v_mov_b32_e32 v37, v5
	v_mov_b32_e32 v36, v4
	v_mov_b32_e32 v35, v3
	v_mov_b32_e32 v34, v2
.LBB83_483:
	flat_store_dword v[102:103], v34
	flat_store_dword v[104:105], v35
	;; [unrolled: 1-line block ×20, first 2 shown]
.LBB83_484:
	s_endpgm
	.section	.rodata,"a",@progbits
	.p2align	6, 0x0
	.amdhsa_kernel _ZN9rocsolver6v33100L18trti2_kernel_smallILi20EfPKPfEEv13rocblas_fill_17rocblas_diagonal_T1_iil
		.amdhsa_group_segment_fixed_size 160
		.amdhsa_private_segment_fixed_size 0
		.amdhsa_kernarg_size 32
		.amdhsa_user_sgpr_count 6
		.amdhsa_user_sgpr_private_segment_buffer 1
		.amdhsa_user_sgpr_dispatch_ptr 0
		.amdhsa_user_sgpr_queue_ptr 0
		.amdhsa_user_sgpr_kernarg_segment_ptr 1
		.amdhsa_user_sgpr_dispatch_id 0
		.amdhsa_user_sgpr_flat_scratch_init 0
		.amdhsa_user_sgpr_private_segment_size 0
		.amdhsa_uses_dynamic_stack 0
		.amdhsa_system_sgpr_private_segment_wavefront_offset 0
		.amdhsa_system_sgpr_workgroup_id_x 1
		.amdhsa_system_sgpr_workgroup_id_y 0
		.amdhsa_system_sgpr_workgroup_id_z 0
		.amdhsa_system_sgpr_workgroup_info 0
		.amdhsa_system_vgpr_workitem_id 0
		.amdhsa_next_free_vgpr 124
		.amdhsa_next_free_sgpr 48
		.amdhsa_reserve_vcc 1
		.amdhsa_reserve_flat_scratch 0
		.amdhsa_float_round_mode_32 0
		.amdhsa_float_round_mode_16_64 0
		.amdhsa_float_denorm_mode_32 3
		.amdhsa_float_denorm_mode_16_64 3
		.amdhsa_dx10_clamp 1
		.amdhsa_ieee_mode 1
		.amdhsa_fp16_overflow 0
		.amdhsa_exception_fp_ieee_invalid_op 0
		.amdhsa_exception_fp_denorm_src 0
		.amdhsa_exception_fp_ieee_div_zero 0
		.amdhsa_exception_fp_ieee_overflow 0
		.amdhsa_exception_fp_ieee_underflow 0
		.amdhsa_exception_fp_ieee_inexact 0
		.amdhsa_exception_int_div_zero 0
	.end_amdhsa_kernel
	.section	.text._ZN9rocsolver6v33100L18trti2_kernel_smallILi20EfPKPfEEv13rocblas_fill_17rocblas_diagonal_T1_iil,"axG",@progbits,_ZN9rocsolver6v33100L18trti2_kernel_smallILi20EfPKPfEEv13rocblas_fill_17rocblas_diagonal_T1_iil,comdat
.Lfunc_end83:
	.size	_ZN9rocsolver6v33100L18trti2_kernel_smallILi20EfPKPfEEv13rocblas_fill_17rocblas_diagonal_T1_iil, .Lfunc_end83-_ZN9rocsolver6v33100L18trti2_kernel_smallILi20EfPKPfEEv13rocblas_fill_17rocblas_diagonal_T1_iil
                                        ; -- End function
	.set _ZN9rocsolver6v33100L18trti2_kernel_smallILi20EfPKPfEEv13rocblas_fill_17rocblas_diagonal_T1_iil.num_vgpr, 124
	.set _ZN9rocsolver6v33100L18trti2_kernel_smallILi20EfPKPfEEv13rocblas_fill_17rocblas_diagonal_T1_iil.num_agpr, 0
	.set _ZN9rocsolver6v33100L18trti2_kernel_smallILi20EfPKPfEEv13rocblas_fill_17rocblas_diagonal_T1_iil.numbered_sgpr, 48
	.set _ZN9rocsolver6v33100L18trti2_kernel_smallILi20EfPKPfEEv13rocblas_fill_17rocblas_diagonal_T1_iil.num_named_barrier, 0
	.set _ZN9rocsolver6v33100L18trti2_kernel_smallILi20EfPKPfEEv13rocblas_fill_17rocblas_diagonal_T1_iil.private_seg_size, 0
	.set _ZN9rocsolver6v33100L18trti2_kernel_smallILi20EfPKPfEEv13rocblas_fill_17rocblas_diagonal_T1_iil.uses_vcc, 1
	.set _ZN9rocsolver6v33100L18trti2_kernel_smallILi20EfPKPfEEv13rocblas_fill_17rocblas_diagonal_T1_iil.uses_flat_scratch, 0
	.set _ZN9rocsolver6v33100L18trti2_kernel_smallILi20EfPKPfEEv13rocblas_fill_17rocblas_diagonal_T1_iil.has_dyn_sized_stack, 0
	.set _ZN9rocsolver6v33100L18trti2_kernel_smallILi20EfPKPfEEv13rocblas_fill_17rocblas_diagonal_T1_iil.has_recursion, 0
	.set _ZN9rocsolver6v33100L18trti2_kernel_smallILi20EfPKPfEEv13rocblas_fill_17rocblas_diagonal_T1_iil.has_indirect_call, 0
	.section	.AMDGPU.csdata,"",@progbits
; Kernel info:
; codeLenInByte = 26012
; TotalNumSgprs: 52
; NumVgprs: 124
; ScratchSize: 0
; MemoryBound: 0
; FloatMode: 240
; IeeeMode: 1
; LDSByteSize: 160 bytes/workgroup (compile time only)
; SGPRBlocks: 6
; VGPRBlocks: 30
; NumSGPRsForWavesPerEU: 52
; NumVGPRsForWavesPerEU: 124
; Occupancy: 2
; WaveLimiterHint : 1
; COMPUTE_PGM_RSRC2:SCRATCH_EN: 0
; COMPUTE_PGM_RSRC2:USER_SGPR: 6
; COMPUTE_PGM_RSRC2:TRAP_HANDLER: 0
; COMPUTE_PGM_RSRC2:TGID_X_EN: 1
; COMPUTE_PGM_RSRC2:TGID_Y_EN: 0
; COMPUTE_PGM_RSRC2:TGID_Z_EN: 0
; COMPUTE_PGM_RSRC2:TIDIG_COMP_CNT: 0
	.section	.text._ZN9rocsolver6v33100L18trti2_kernel_smallILi21EfPKPfEEv13rocblas_fill_17rocblas_diagonal_T1_iil,"axG",@progbits,_ZN9rocsolver6v33100L18trti2_kernel_smallILi21EfPKPfEEv13rocblas_fill_17rocblas_diagonal_T1_iil,comdat
	.globl	_ZN9rocsolver6v33100L18trti2_kernel_smallILi21EfPKPfEEv13rocblas_fill_17rocblas_diagonal_T1_iil ; -- Begin function _ZN9rocsolver6v33100L18trti2_kernel_smallILi21EfPKPfEEv13rocblas_fill_17rocblas_diagonal_T1_iil
	.p2align	8
	.type	_ZN9rocsolver6v33100L18trti2_kernel_smallILi21EfPKPfEEv13rocblas_fill_17rocblas_diagonal_T1_iil,@function
_ZN9rocsolver6v33100L18trti2_kernel_smallILi21EfPKPfEEv13rocblas_fill_17rocblas_diagonal_T1_iil: ; @_ZN9rocsolver6v33100L18trti2_kernel_smallILi21EfPKPfEEv13rocblas_fill_17rocblas_diagonal_T1_iil
; %bb.0:
	v_cmp_gt_u32_e32 vcc, 21, v0
	s_and_saveexec_b64 s[0:1], vcc
	s_cbranch_execz .LBB84_510
; %bb.1:
	s_load_dwordx2 s[0:1], s[4:5], 0x10
	s_load_dwordx4 s[44:47], s[4:5], 0x0
	s_ashr_i32 s7, s6, 31
	s_lshl_b64 s[2:3], s[6:7], 3
	v_lshlrev_b32_e32 v34, 2, v0
	s_waitcnt lgkmcnt(0)
	s_ashr_i32 s5, s0, 31
	s_add_u32 s2, s46, s2
	s_addc_u32 s3, s47, s3
	s_load_dwordx2 s[2:3], s[2:3], 0x0
	s_mov_b32 s4, s0
	s_lshl_b64 s[4:5], s[4:5], 2
	v_mov_b32_e32 v35, -1.0
	s_waitcnt lgkmcnt(0)
	s_add_u32 s0, s2, s4
	s_addc_u32 s2, s3, s5
	s_add_i32 s3, s1, s1
	v_add_u32_e32 v1, s3, v0
	v_ashrrev_i32_e32 v2, 31, v1
	v_lshlrev_b64 v[2:3], 2, v[1:2]
	v_add_u32_e32 v1, s1, v1
	v_mov_b32_e32 v4, s2
	v_add_co_u32_e32 v66, vcc, s0, v2
	v_ashrrev_i32_e32 v2, 31, v1
	v_addc_co_u32_e32 v67, vcc, v4, v3, vcc
	v_lshlrev_b64 v[2:3], 2, v[1:2]
	v_add_u32_e32 v1, s1, v1
	v_add_co_u32_e32 v68, vcc, s0, v2
	v_ashrrev_i32_e32 v2, 31, v1
	v_addc_co_u32_e32 v69, vcc, v4, v3, vcc
	v_lshlrev_b64 v[2:3], 2, v[1:2]
	v_add_u32_e32 v1, s1, v1
	;; [unrolled: 5-line block ×17, first 2 shown]
	v_add_co_u32_e32 v100, vcc, s0, v2
	v_ashrrev_i32_e32 v2, 31, v1
	v_lshlrev_b64 v[1:2], 2, v[1:2]
	v_addc_co_u32_e32 v101, vcc, v4, v3, vcc
	v_mov_b32_e32 v3, s2
	v_add_co_u32_e32 v102, vcc, s0, v1
	v_addc_co_u32_e32 v103, vcc, v3, v2, vcc
	v_mov_b32_e32 v1, s2
	v_add_co_u32_e32 v104, vcc, s0, v34
	s_ashr_i32 s3, s1, 31
	s_mov_b32 s2, s1
	v_addc_co_u32_e32 v105, vcc, 0, v1, vcc
	s_lshl_b64 s[0:1], s[2:3], 2
	v_mov_b32_e32 v1, s1
	v_add_co_u32_e32 v106, vcc, s0, v104
	v_addc_co_u32_e32 v107, vcc, v105, v1, vcc
	flat_load_dword v2, v[104:105]
	flat_load_dword v3, v[106:107]
	;; [unrolled: 1-line block ×21, first 2 shown]
	s_cmpk_lg_i32 s45, 0x84
	v_mov_b32_e32 v1, 0
	s_cselect_b64 s[46:47], -1, 0
	s_cmpk_eq_i32 s45, 0x84
	v_cmp_eq_u32_e64 s[0:1], 0, v0
	s_cbranch_scc1 .LBB84_3
; %bb.2:
	v_cmp_eq_u32_e64 s[2:3], 1, v0
	s_waitcnt vmcnt(0) lgkmcnt(0)
	v_cndmask_b32_e64 v23, v2, v3, s[2:3]
	v_cmp_eq_u32_e64 s[4:5], 2, v0
	v_cndmask_b32_e64 v23, v23, v4, s[4:5]
	v_cmp_eq_u32_e64 s[6:7], 3, v0
	;; [unrolled: 2-line block ×19, first 2 shown]
	v_cndmask_b32_e64 v23, v23, v22, s[42:43]
	v_div_scale_f32 v24, s[48:49], v23, v23, 1.0
	v_div_scale_f32 v25, vcc, 1.0, v23, 1.0
	v_rcp_f32_e32 v26, v24
	v_fma_f32 v27, -v24, v26, 1.0
	v_fmac_f32_e32 v26, v27, v26
	v_mul_f32_e32 v27, v25, v26
	v_fma_f32 v28, -v24, v27, v25
	v_fmac_f32_e32 v27, v28, v26
	v_fma_f32 v24, -v24, v27, v25
	v_div_fmas_f32 v24, v24, v26, v27
	v_div_fixup_f32 v23, v24, v23, 1.0
	v_cndmask_b32_e64 v22, v22, v23, s[42:43]
	v_cndmask_b32_e64 v21, v21, v23, s[40:41]
	;; [unrolled: 1-line block ×21, first 2 shown]
	v_xor_b32_e32 v35, 0x80000000, v23
.LBB84_3:
	s_cmpk_eq_i32 s44, 0x79
	v_add_u32_e32 v108, 0x60, v34
	ds_write_b32 v34, v35
	s_cbranch_scc1 .LBB84_7
; %bb.4:
	s_waitcnt vmcnt(0) lgkmcnt(0)
	v_mov_b32_e32 v65, v33
	v_mov_b32_e32 v64, v32
	;; [unrolled: 1-line block ×32, first 2 shown]
	v_cmp_eq_u32_e64 s[2:3], 20, v0
	ds_write_b32 v108, v21
	s_waitcnt lgkmcnt(0)
	; wave barrier
	s_and_saveexec_b64 s[0:1], s[2:3]
	s_cbranch_execz .LBB84_11
; %bb.5:
	s_and_b64 vcc, exec, s[46:47]
	s_cbranch_vccz .LBB84_8
; %bb.6:
	v_cmp_eq_u32_e32 vcc, 1, v0
	v_cndmask_b32_e32 v34, v2, v3, vcc
	v_cmp_eq_u32_e32 vcc, 2, v0
	v_cndmask_b32_e32 v34, v34, v4, vcc
	;; [unrolled: 2-line block ×16, first 2 shown]
	v_cmp_eq_u32_e32 vcc, 17, v0
	ds_read_b32 v35, v108
	v_cndmask_b32_e32 v34, v34, v19, vcc
	v_cmp_eq_u32_e32 vcc, 18, v0
	v_cndmask_b32_e32 v34, v34, v20, vcc
	v_cmp_eq_u32_e32 vcc, 19, v0
	;; [unrolled: 2-line block ×3, first 2 shown]
	v_cndmask_b32_e32 v34, v34, v22, vcc
	s_waitcnt lgkmcnt(0)
	v_mul_f32_e32 v38, v34, v35
	s_cbranch_execz .LBB84_9
	s_branch .LBB84_10
.LBB84_7:
                                        ; implicit-def: $vgpr34_vgpr35_vgpr36_vgpr37_vgpr38_vgpr39_vgpr40_vgpr41_vgpr42_vgpr43_vgpr44_vgpr45_vgpr46_vgpr47_vgpr48_vgpr49_vgpr50_vgpr51_vgpr52_vgpr53_vgpr54_vgpr55_vgpr56_vgpr57_vgpr58_vgpr59_vgpr60_vgpr61_vgpr62_vgpr63_vgpr64_vgpr65
	s_cbranch_execnz .LBB84_306
	s_branch .LBB84_509
.LBB84_8:
                                        ; implicit-def: $vgpr38
.LBB84_9:
	ds_read_b32 v38, v108
.LBB84_10:
	v_mov_b32_e32 v34, 0
	ds_read_b32 v39, v34 offset:76
	v_mov_b32_e32 v34, v2
	v_mov_b32_e32 v35, v3
	v_mov_b32_e32 v36, v4
	v_mov_b32_e32 v37, v5
	s_waitcnt lgkmcnt(0)
	v_mul_f32_e32 v53, v38, v39
	v_mov_b32_e32 v38, v6
	v_mov_b32_e32 v39, v7
	;; [unrolled: 1-line block ×16, first 2 shown]
.LBB84_11:
	s_or_b64 exec, exec, s[0:1]
	v_cmp_lt_u32_e64 s[0:1], 18, v0
	ds_write_b32 v108, v52
	s_waitcnt lgkmcnt(0)
	; wave barrier
	s_and_saveexec_b64 s[4:5], s[0:1]
	s_cbranch_execz .LBB84_17
; %bb.12:
	s_andn2_b64 vcc, exec, s[46:47]
	s_cbranch_vccnz .LBB84_14
; %bb.13:
	v_cmp_eq_u32_e32 vcc, 1, v0
	v_cndmask_b32_e32 v55, v34, v35, vcc
	v_cmp_eq_u32_e32 vcc, 2, v0
	v_cndmask_b32_e32 v55, v55, v36, vcc
	;; [unrolled: 2-line block ×18, first 2 shown]
	ds_read_b32 v55, v108
	v_cmp_eq_u32_e32 vcc, 19, v0
	v_cndmask_b32_e32 v52, v52, v53, vcc
	v_cmp_eq_u32_e32 vcc, 20, v0
	v_cndmask_b32_e32 v52, v52, v54, vcc
	s_waitcnt lgkmcnt(0)
	v_mul_f32_e32 v52, v52, v55
	s_cbranch_execz .LBB84_15
	s_branch .LBB84_16
.LBB84_14:
                                        ; implicit-def: $vgpr52
.LBB84_15:
	ds_read_b32 v52, v108
.LBB84_16:
	v_mov_b32_e32 v55, 0
	ds_read2_b32 v[55:56], v55 offset0:18 offset1:43
	s_waitcnt lgkmcnt(0)
	v_fma_f32 v56, v53, v56, v52
	v_cndmask_b32_e64 v52, v52, v56, s[2:3]
	v_mul_f32_e32 v52, v52, v55
.LBB84_17:
	s_or_b64 exec, exec, s[4:5]
	v_cmp_lt_u32_e64 s[2:3], 17, v0
	ds_write_b32 v108, v51
	s_waitcnt lgkmcnt(0)
	; wave barrier
	s_and_saveexec_b64 s[4:5], s[2:3]
	s_cbranch_execz .LBB84_33
; %bb.18:
	s_andn2_b64 vcc, exec, s[46:47]
	s_cbranch_vccnz .LBB84_20
; %bb.19:
	v_cmp_eq_u32_e32 vcc, 1, v0
	v_cndmask_b32_e32 v109, v34, v35, vcc
	v_cmp_eq_u32_e32 vcc, 2, v0
	v_cndmask_b32_e32 v109, v109, v36, vcc
	;; [unrolled: 2-line block ×16, first 2 shown]
	v_cmp_eq_u32_e32 vcc, 17, v0
	ds_read_b32 v110, v108
	v_cndmask_b32_e32 v109, v109, v51, vcc
	v_cmp_eq_u32_e32 vcc, 18, v0
	v_cndmask_b32_e32 v109, v109, v52, vcc
	v_cmp_eq_u32_e32 vcc, 19, v0
	;; [unrolled: 2-line block ×3, first 2 shown]
	v_cndmask_b32_e32 v109, v109, v54, vcc
	s_waitcnt lgkmcnt(0)
	v_mul_f32_e32 v109, v109, v110
	s_cbranch_execz .LBB84_21
	s_branch .LBB84_22
.LBB84_20:
                                        ; implicit-def: $vgpr109
.LBB84_21:
	ds_read_b32 v109, v108
.LBB84_22:
	s_and_saveexec_b64 s[6:7], s[0:1]
	s_cbranch_execz .LBB84_32
; %bb.23:
	v_subrev_u32_e32 v112, 19, v0
	v_mov_b32_e32 v110, 18
	v_subrev_u32_e32 v111, 18, v0
	v_cmp_lt_u32_e32 vcc, 6, v112
	s_and_saveexec_b64 s[0:1], vcc
	s_cbranch_execz .LBB84_27
; %bb.24:
	v_and_b32_e32 v110, -8, v111
	v_sub_u32_e32 v112, 0, v110
	s_mov_b64 s[8:9], 25
	s_movk_i32 s12, 0xa8
	s_mov_b64 s[10:11], 0
.LBB84_25:                              ; =>This Inner Loop Header: Depth=1
	s_add_i32 s13, s8, -7
	v_mov_b32_e32 v110, s12
	s_add_i32 s14, s8, -6
	s_set_gpr_idx_on s13, gpr_idx(SRC0)
	v_mov_b32_e32 v121, v34
	s_set_gpr_idx_off
	ds_read2_b64 v[113:116], v110 offset1:1
	s_add_i32 s15, s8, -5
	s_set_gpr_idx_on s14, gpr_idx(SRC0)
	v_mov_b32_e32 v122, v34
	s_set_gpr_idx_off
	s_add_i32 s16, s8, -4
	s_set_gpr_idx_on s15, gpr_idx(SRC0)
	v_mov_b32_e32 v123, v34
	s_set_gpr_idx_off
	;; [unrolled: 4-line block ×4, first 2 shown]
	ds_read2_b64 v[117:120], v110 offset0:2 offset1:3
	s_add_i32 s19, s8, -1
	s_waitcnt lgkmcnt(1)
	v_fmac_f32_e32 v109, v121, v113
	s_set_gpr_idx_on s18, gpr_idx(SRC0)
	v_mov_b32_e32 v113, v34
	s_set_gpr_idx_off
	v_fmac_f32_e32 v109, v122, v114
	s_set_gpr_idx_on s19, gpr_idx(SRC0)
	v_mov_b32_e32 v114, v34
	s_set_gpr_idx_off
	;; [unrolled: 4-line block ×3, first 2 shown]
	v_fmac_f32_e32 v109, v124, v116
	s_add_u32 s8, s8, 8
	s_waitcnt lgkmcnt(0)
	v_fmac_f32_e32 v109, v125, v117
	v_add_u32_e32 v110, s8, v112
	v_fmac_f32_e32 v109, v113, v118
	s_addc_u32 s9, s9, 0
	s_add_i32 s12, s12, 32
	s_add_i32 s13, s8, -7
	v_cmp_eq_u32_e32 vcc, 25, v110
	v_fmac_f32_e32 v109, v114, v119
	v_mov_b32_e32 v110, s13
	s_or_b64 s[10:11], vcc, s[10:11]
	v_fmac_f32_e32 v109, v115, v120
	s_andn2_b64 exec, exec, s[10:11]
	s_cbranch_execnz .LBB84_25
; %bb.26:
	s_or_b64 exec, exec, s[10:11]
.LBB84_27:
	s_or_b64 exec, exec, s[0:1]
	v_and_b32_e32 v55, 7, v111
	v_cmp_ne_u32_e32 vcc, 0, v55
	s_and_saveexec_b64 s[8:9], vcc
	s_cbranch_execz .LBB84_31
; %bb.28:
	v_mov_b32_e32 v56, 0x60
	v_lshl_add_u32 v56, v110, 2, v56
	v_mov_b32_e32 v57, 0
	s_mov_b64 s[10:11], 0
.LBB84_29:                              ; =>This Inner Loop Header: Depth=1
	v_cmp_eq_u32_e32 vcc, 1, v110
	v_cndmask_b32_e32 v58, v34, v35, vcc
	v_add_u32_e32 v55, -1, v55
	v_cmp_eq_u32_e32 vcc, 2, v110
	v_cndmask_b32_e32 v58, v58, v36, vcc
	v_cmp_eq_u32_e32 vcc, 0, v55
	v_cmp_eq_u32_e64 s[0:1], 3, v110
	v_cndmask_b32_e64 v58, v58, v37, s[0:1]
	s_or_b64 s[10:11], vcc, s[10:11]
	v_cmp_eq_u32_e32 vcc, 4, v110
	v_cndmask_b32_e32 v58, v58, v38, vcc
	v_cmp_eq_u32_e32 vcc, 5, v110
	v_cndmask_b32_e32 v58, v58, v39, vcc
	;; [unrolled: 2-line block ×12, first 2 shown]
	v_cmp_eq_u32_e32 vcc, 16, v110
	ds_read_b32 v59, v56
	v_cndmask_b32_e32 v58, v58, v50, vcc
	v_cmp_eq_u32_e32 vcc, 17, v110
	v_cndmask_b32_e32 v58, v58, v51, vcc
	v_cmp_eq_u32_e32 vcc, 18, v110
	;; [unrolled: 2-line block ×4, first 2 shown]
	v_add_co_u32_e64 v110, s[0:1], 1, v110
	v_cndmask_b32_e32 v58, v58, v54, vcc
	v_add_u32_e32 v56, 4, v56
	v_addc_co_u32_e64 v57, s[0:1], 0, v57, s[0:1]
	s_waitcnt lgkmcnt(0)
	v_fmac_f32_e32 v109, v58, v59
	s_andn2_b64 exec, exec, s[10:11]
	s_cbranch_execnz .LBB84_29
; %bb.30:
	s_or_b64 exec, exec, s[10:11]
.LBB84_31:
	s_or_b64 exec, exec, s[8:9]
.LBB84_32:
	s_or_b64 exec, exec, s[6:7]
	v_mov_b32_e32 v51, 0
	ds_read_b32 v51, v51 offset:68
	s_waitcnt lgkmcnt(0)
	v_mul_f32_e32 v51, v109, v51
.LBB84_33:
	s_or_b64 exec, exec, s[4:5]
	v_cmp_lt_u32_e64 s[0:1], 16, v0
	ds_write_b32 v108, v50
	s_waitcnt lgkmcnt(0)
	; wave barrier
	s_and_saveexec_b64 s[4:5], s[0:1]
	s_cbranch_execz .LBB84_49
; %bb.34:
	s_andn2_b64 vcc, exec, s[46:47]
	s_cbranch_vccnz .LBB84_36
; %bb.35:
	v_cmp_eq_u32_e32 vcc, 1, v0
	v_cndmask_b32_e32 v109, v34, v35, vcc
	v_cmp_eq_u32_e32 vcc, 2, v0
	v_cndmask_b32_e32 v109, v109, v36, vcc
	;; [unrolled: 2-line block ×16, first 2 shown]
	v_cmp_eq_u32_e32 vcc, 17, v0
	ds_read_b32 v110, v108
	v_cndmask_b32_e32 v109, v109, v51, vcc
	v_cmp_eq_u32_e32 vcc, 18, v0
	v_cndmask_b32_e32 v109, v109, v52, vcc
	v_cmp_eq_u32_e32 vcc, 19, v0
	;; [unrolled: 2-line block ×3, first 2 shown]
	v_cndmask_b32_e32 v109, v109, v54, vcc
	s_waitcnt lgkmcnt(0)
	v_mul_f32_e32 v109, v109, v110
	s_cbranch_execz .LBB84_37
	s_branch .LBB84_38
.LBB84_36:
                                        ; implicit-def: $vgpr109
.LBB84_37:
	ds_read_b32 v109, v108
.LBB84_38:
	s_and_saveexec_b64 s[6:7], s[2:3]
	s_cbranch_execz .LBB84_48
; %bb.39:
	v_subrev_u32_e32 v112, 18, v0
	v_mov_b32_e32 v110, 17
	v_subrev_u32_e32 v111, 17, v0
	v_cmp_lt_u32_e32 vcc, 6, v112
	s_and_saveexec_b64 s[2:3], vcc
	s_cbranch_execz .LBB84_43
; %bb.40:
	v_and_b32_e32 v110, -8, v111
	v_sub_u32_e32 v112, 0, v110
	s_mov_b64 s[8:9], 24
	s_movk_i32 s12, 0xa4
	s_mov_b64 s[10:11], 0
.LBB84_41:                              ; =>This Inner Loop Header: Depth=1
	s_add_i32 s13, s8, -7
	v_mov_b32_e32 v110, s12
	s_add_i32 s14, s8, -6
	s_set_gpr_idx_on s13, gpr_idx(SRC0)
	v_mov_b32_e32 v119, v34
	s_set_gpr_idx_off
	ds_read2_b32 v[113:114], v110 offset1:1
	s_add_i32 s15, s8, -5
	s_set_gpr_idx_on s14, gpr_idx(SRC0)
	v_mov_b32_e32 v120, v34
	s_set_gpr_idx_off
	s_add_i32 s16, s8, -4
	s_set_gpr_idx_on s15, gpr_idx(SRC0)
	v_mov_b32_e32 v121, v34
	s_set_gpr_idx_off
	ds_read2_b32 v[115:116], v110 offset0:2 offset1:3
	s_add_i32 s17, s8, -3
	s_set_gpr_idx_on s16, gpr_idx(SRC0)
	v_mov_b32_e32 v122, v34
	s_set_gpr_idx_off
	s_add_i32 s18, s8, -2
	s_set_gpr_idx_on s17, gpr_idx(SRC0)
	v_mov_b32_e32 v123, v34
	s_set_gpr_idx_off
	ds_read2_b32 v[117:118], v110 offset0:4 offset1:5
	s_add_i32 s19, s8, -1
	s_waitcnt lgkmcnt(2)
	v_fmac_f32_e32 v109, v119, v113
	s_set_gpr_idx_on s18, gpr_idx(SRC0)
	v_mov_b32_e32 v119, v34
	s_set_gpr_idx_off
	v_fmac_f32_e32 v109, v120, v114
	s_set_gpr_idx_on s19, gpr_idx(SRC0)
	v_mov_b32_e32 v120, v34
	s_set_gpr_idx_off
	ds_read2_b32 v[113:114], v110 offset0:6 offset1:7
	s_waitcnt lgkmcnt(2)
	v_fmac_f32_e32 v109, v121, v115
	s_set_gpr_idx_on s8, gpr_idx(SRC0)
	v_mov_b32_e32 v115, v34
	s_set_gpr_idx_off
	v_fmac_f32_e32 v109, v122, v116
	s_add_u32 s8, s8, 8
	s_waitcnt lgkmcnt(1)
	v_fmac_f32_e32 v109, v123, v117
	v_add_u32_e32 v110, s8, v112
	v_fmac_f32_e32 v109, v119, v118
	s_addc_u32 s9, s9, 0
	s_add_i32 s12, s12, 32
	s_add_i32 s13, s8, -7
	v_cmp_eq_u32_e32 vcc, 24, v110
	s_waitcnt lgkmcnt(0)
	v_fmac_f32_e32 v109, v120, v113
	v_mov_b32_e32 v110, s13
	s_or_b64 s[10:11], vcc, s[10:11]
	v_fmac_f32_e32 v109, v115, v114
	s_andn2_b64 exec, exec, s[10:11]
	s_cbranch_execnz .LBB84_41
; %bb.42:
	s_or_b64 exec, exec, s[10:11]
.LBB84_43:
	s_or_b64 exec, exec, s[2:3]
	v_and_b32_e32 v55, 7, v111
	v_cmp_ne_u32_e32 vcc, 0, v55
	s_and_saveexec_b64 s[8:9], vcc
	s_cbranch_execz .LBB84_47
; %bb.44:
	v_mov_b32_e32 v56, 0x60
	v_lshl_add_u32 v56, v110, 2, v56
	v_mov_b32_e32 v57, 0
	s_mov_b64 s[10:11], 0
.LBB84_45:                              ; =>This Inner Loop Header: Depth=1
	v_cmp_eq_u32_e32 vcc, 1, v110
	v_cndmask_b32_e32 v58, v34, v35, vcc
	v_add_u32_e32 v55, -1, v55
	v_cmp_eq_u32_e32 vcc, 2, v110
	v_cndmask_b32_e32 v58, v58, v36, vcc
	v_cmp_eq_u32_e32 vcc, 0, v55
	v_cmp_eq_u32_e64 s[2:3], 3, v110
	v_cndmask_b32_e64 v58, v58, v37, s[2:3]
	s_or_b64 s[10:11], vcc, s[10:11]
	v_cmp_eq_u32_e32 vcc, 4, v110
	v_cndmask_b32_e32 v58, v58, v38, vcc
	v_cmp_eq_u32_e32 vcc, 5, v110
	v_cndmask_b32_e32 v58, v58, v39, vcc
	;; [unrolled: 2-line block ×12, first 2 shown]
	v_cmp_eq_u32_e32 vcc, 16, v110
	ds_read_b32 v59, v56
	v_cndmask_b32_e32 v58, v58, v50, vcc
	v_cmp_eq_u32_e32 vcc, 17, v110
	v_cndmask_b32_e32 v58, v58, v51, vcc
	v_cmp_eq_u32_e32 vcc, 18, v110
	v_cndmask_b32_e32 v58, v58, v52, vcc
	v_cmp_eq_u32_e32 vcc, 19, v110
	v_cndmask_b32_e32 v58, v58, v53, vcc
	v_cmp_eq_u32_e32 vcc, 20, v110
	v_add_co_u32_e64 v110, s[2:3], 1, v110
	v_cndmask_b32_e32 v58, v58, v54, vcc
	v_add_u32_e32 v56, 4, v56
	v_addc_co_u32_e64 v57, s[2:3], 0, v57, s[2:3]
	s_waitcnt lgkmcnt(0)
	v_fmac_f32_e32 v109, v58, v59
	s_andn2_b64 exec, exec, s[10:11]
	s_cbranch_execnz .LBB84_45
; %bb.46:
	s_or_b64 exec, exec, s[10:11]
.LBB84_47:
	s_or_b64 exec, exec, s[8:9]
.LBB84_48:
	s_or_b64 exec, exec, s[6:7]
	v_mov_b32_e32 v50, 0
	ds_read_b32 v50, v50 offset:64
	s_waitcnt lgkmcnt(0)
	v_mul_f32_e32 v50, v109, v50
.LBB84_49:
	s_or_b64 exec, exec, s[4:5]
	v_cmp_lt_u32_e64 s[2:3], 15, v0
	ds_write_b32 v108, v49
	s_waitcnt lgkmcnt(0)
	; wave barrier
	s_and_saveexec_b64 s[4:5], s[2:3]
	s_cbranch_execz .LBB84_65
; %bb.50:
	s_andn2_b64 vcc, exec, s[46:47]
	s_cbranch_vccnz .LBB84_52
; %bb.51:
	v_cmp_eq_u32_e32 vcc, 1, v0
	v_cndmask_b32_e32 v109, v34, v35, vcc
	v_cmp_eq_u32_e32 vcc, 2, v0
	v_cndmask_b32_e32 v109, v109, v36, vcc
	;; [unrolled: 2-line block ×16, first 2 shown]
	v_cmp_eq_u32_e32 vcc, 17, v0
	ds_read_b32 v110, v108
	v_cndmask_b32_e32 v109, v109, v51, vcc
	v_cmp_eq_u32_e32 vcc, 18, v0
	v_cndmask_b32_e32 v109, v109, v52, vcc
	v_cmp_eq_u32_e32 vcc, 19, v0
	;; [unrolled: 2-line block ×3, first 2 shown]
	v_cndmask_b32_e32 v109, v109, v54, vcc
	s_waitcnt lgkmcnt(0)
	v_mul_f32_e32 v109, v109, v110
	s_cbranch_execz .LBB84_53
	s_branch .LBB84_54
.LBB84_52:
                                        ; implicit-def: $vgpr109
.LBB84_53:
	ds_read_b32 v109, v108
.LBB84_54:
	s_and_saveexec_b64 s[6:7], s[0:1]
	s_cbranch_execz .LBB84_64
; %bb.55:
	v_subrev_u32_e32 v110, 17, v0
	v_cmp_lt_u32_e32 vcc, 6, v110
	v_mov_b32_e32 v110, 16
	s_and_saveexec_b64 s[0:1], vcc
	s_cbranch_execz .LBB84_59
; %bb.56:
	v_and_b32_e32 v110, 24, v0
	v_sub_u32_e32 v111, 0, v110
	s_mov_b64 s[8:9], 23
	s_movk_i32 s12, 0xa0
	s_mov_b64 s[10:11], 0
.LBB84_57:                              ; =>This Inner Loop Header: Depth=1
	s_add_i32 s13, s8, -7
	v_mov_b32_e32 v110, s12
	s_add_i32 s14, s8, -6
	s_set_gpr_idx_on s13, gpr_idx(SRC0)
	v_mov_b32_e32 v120, v34
	s_set_gpr_idx_off
	s_add_i32 s15, s8, -5
	ds_read_b128 v[112:115], v110
	ds_read_b128 v[116:119], v110 offset:16
	s_set_gpr_idx_on s14, gpr_idx(SRC0)
	v_mov_b32_e32 v110, v34
	s_set_gpr_idx_off
	s_add_i32 s16, s8, -4
	s_set_gpr_idx_on s15, gpr_idx(SRC0)
	v_mov_b32_e32 v121, v34
	s_set_gpr_idx_off
	s_add_i32 s17, s8, -3
	;; [unrolled: 4-line block ×4, first 2 shown]
	s_waitcnt lgkmcnt(1)
	v_fmac_f32_e32 v109, v120, v112
	s_set_gpr_idx_on s18, gpr_idx(SRC0)
	v_mov_b32_e32 v112, v34
	s_set_gpr_idx_off
	v_fmac_f32_e32 v109, v110, v113
	s_set_gpr_idx_on s19, gpr_idx(SRC0)
	v_mov_b32_e32 v113, v34
	s_set_gpr_idx_off
	;; [unrolled: 4-line block ×3, first 2 shown]
	v_fmac_f32_e32 v109, v122, v115
	s_add_u32 s8, s8, 8
	s_waitcnt lgkmcnt(0)
	v_fmac_f32_e32 v109, v123, v116
	v_add_u32_e32 v110, s8, v111
	v_fmac_f32_e32 v109, v112, v117
	s_addc_u32 s9, s9, 0
	s_add_i32 s12, s12, 32
	s_add_i32 s13, s8, -7
	v_cmp_eq_u32_e32 vcc, 7, v110
	v_fmac_f32_e32 v109, v113, v118
	v_mov_b32_e32 v110, s13
	s_or_b64 s[10:11], vcc, s[10:11]
	v_fmac_f32_e32 v109, v114, v119
	s_andn2_b64 exec, exec, s[10:11]
	s_cbranch_execnz .LBB84_57
; %bb.58:
	s_or_b64 exec, exec, s[10:11]
.LBB84_59:
	s_or_b64 exec, exec, s[0:1]
	v_and_b32_e32 v55, 7, v0
	v_cmp_ne_u32_e32 vcc, 0, v55
	s_and_saveexec_b64 s[8:9], vcc
	s_cbranch_execz .LBB84_63
; %bb.60:
	v_mov_b32_e32 v56, 0x60
	v_lshl_add_u32 v56, v110, 2, v56
	v_mov_b32_e32 v57, 0
	s_mov_b64 s[10:11], 0
.LBB84_61:                              ; =>This Inner Loop Header: Depth=1
	v_cmp_eq_u32_e32 vcc, 1, v110
	v_cndmask_b32_e32 v58, v34, v35, vcc
	v_add_u32_e32 v55, -1, v55
	v_cmp_eq_u32_e32 vcc, 2, v110
	v_cndmask_b32_e32 v58, v58, v36, vcc
	v_cmp_eq_u32_e32 vcc, 0, v55
	v_cmp_eq_u32_e64 s[0:1], 3, v110
	v_cndmask_b32_e64 v58, v58, v37, s[0:1]
	s_or_b64 s[10:11], vcc, s[10:11]
	v_cmp_eq_u32_e32 vcc, 4, v110
	v_cndmask_b32_e32 v58, v58, v38, vcc
	v_cmp_eq_u32_e32 vcc, 5, v110
	v_cndmask_b32_e32 v58, v58, v39, vcc
	;; [unrolled: 2-line block ×12, first 2 shown]
	v_cmp_eq_u32_e32 vcc, 16, v110
	ds_read_b32 v59, v56
	v_cndmask_b32_e32 v58, v58, v50, vcc
	v_cmp_eq_u32_e32 vcc, 17, v110
	v_cndmask_b32_e32 v58, v58, v51, vcc
	v_cmp_eq_u32_e32 vcc, 18, v110
	;; [unrolled: 2-line block ×4, first 2 shown]
	v_add_co_u32_e64 v110, s[0:1], 1, v110
	v_cndmask_b32_e32 v58, v58, v54, vcc
	v_add_u32_e32 v56, 4, v56
	v_addc_co_u32_e64 v57, s[0:1], 0, v57, s[0:1]
	s_waitcnt lgkmcnt(0)
	v_fmac_f32_e32 v109, v58, v59
	s_andn2_b64 exec, exec, s[10:11]
	s_cbranch_execnz .LBB84_61
; %bb.62:
	s_or_b64 exec, exec, s[10:11]
.LBB84_63:
	s_or_b64 exec, exec, s[8:9]
.LBB84_64:
	s_or_b64 exec, exec, s[6:7]
	v_mov_b32_e32 v49, 0
	ds_read_b32 v49, v49 offset:60
	s_waitcnt lgkmcnt(0)
	v_mul_f32_e32 v49, v109, v49
.LBB84_65:
	s_or_b64 exec, exec, s[4:5]
	v_cmp_lt_u32_e64 s[0:1], 14, v0
	ds_write_b32 v108, v48
	s_waitcnt lgkmcnt(0)
	; wave barrier
	s_and_saveexec_b64 s[4:5], s[0:1]
	s_cbranch_execz .LBB84_81
; %bb.66:
	s_andn2_b64 vcc, exec, s[46:47]
	s_cbranch_vccnz .LBB84_68
; %bb.67:
	v_cmp_eq_u32_e32 vcc, 1, v0
	v_cndmask_b32_e32 v109, v34, v35, vcc
	v_cmp_eq_u32_e32 vcc, 2, v0
	v_cndmask_b32_e32 v109, v109, v36, vcc
	;; [unrolled: 2-line block ×16, first 2 shown]
	v_cmp_eq_u32_e32 vcc, 17, v0
	ds_read_b32 v110, v108
	v_cndmask_b32_e32 v109, v109, v51, vcc
	v_cmp_eq_u32_e32 vcc, 18, v0
	v_cndmask_b32_e32 v109, v109, v52, vcc
	v_cmp_eq_u32_e32 vcc, 19, v0
	;; [unrolled: 2-line block ×3, first 2 shown]
	v_cndmask_b32_e32 v109, v109, v54, vcc
	s_waitcnt lgkmcnt(0)
	v_mul_f32_e32 v109, v109, v110
	s_cbranch_execz .LBB84_69
	s_branch .LBB84_70
.LBB84_68:
                                        ; implicit-def: $vgpr109
.LBB84_69:
	ds_read_b32 v109, v108
.LBB84_70:
	s_and_saveexec_b64 s[6:7], s[2:3]
	s_cbranch_execz .LBB84_80
; %bb.71:
	v_add_u32_e32 v110, -16, v0
	v_add_u32_e32 v111, -15, v0
	v_cmp_lt_u32_e32 vcc, 6, v110
	v_mov_b32_e32 v110, 15
	s_and_saveexec_b64 s[2:3], vcc
	s_cbranch_execz .LBB84_75
; %bb.72:
	v_and_b32_e32 v110, -8, v111
	v_sub_u32_e32 v112, 0, v110
	s_mov_b64 s[8:9], 22
	s_movk_i32 s12, 0x9c
	s_mov_b64 s[10:11], 0
.LBB84_73:                              ; =>This Inner Loop Header: Depth=1
	s_add_i32 s13, s8, -7
	v_mov_b32_e32 v110, s12
	s_add_i32 s14, s8, -6
	s_set_gpr_idx_on s13, gpr_idx(SRC0)
	v_mov_b32_e32 v119, v34
	s_set_gpr_idx_off
	ds_read2_b32 v[113:114], v110 offset1:1
	s_add_i32 s15, s8, -5
	s_set_gpr_idx_on s14, gpr_idx(SRC0)
	v_mov_b32_e32 v120, v34
	s_set_gpr_idx_off
	s_add_i32 s16, s8, -4
	s_set_gpr_idx_on s15, gpr_idx(SRC0)
	v_mov_b32_e32 v121, v34
	s_set_gpr_idx_off
	ds_read2_b32 v[115:116], v110 offset0:2 offset1:3
	s_add_i32 s17, s8, -3
	s_set_gpr_idx_on s16, gpr_idx(SRC0)
	v_mov_b32_e32 v122, v34
	s_set_gpr_idx_off
	s_add_i32 s18, s8, -2
	s_set_gpr_idx_on s17, gpr_idx(SRC0)
	v_mov_b32_e32 v123, v34
	s_set_gpr_idx_off
	ds_read2_b32 v[117:118], v110 offset0:4 offset1:5
	s_add_i32 s19, s8, -1
	s_waitcnt lgkmcnt(2)
	v_fmac_f32_e32 v109, v119, v113
	s_set_gpr_idx_on s18, gpr_idx(SRC0)
	v_mov_b32_e32 v119, v34
	s_set_gpr_idx_off
	v_fmac_f32_e32 v109, v120, v114
	s_set_gpr_idx_on s19, gpr_idx(SRC0)
	v_mov_b32_e32 v120, v34
	s_set_gpr_idx_off
	ds_read2_b32 v[113:114], v110 offset0:6 offset1:7
	s_waitcnt lgkmcnt(2)
	v_fmac_f32_e32 v109, v121, v115
	s_set_gpr_idx_on s8, gpr_idx(SRC0)
	v_mov_b32_e32 v115, v34
	s_set_gpr_idx_off
	v_fmac_f32_e32 v109, v122, v116
	s_add_u32 s8, s8, 8
	s_waitcnt lgkmcnt(1)
	v_fmac_f32_e32 v109, v123, v117
	v_add_u32_e32 v110, s8, v112
	v_fmac_f32_e32 v109, v119, v118
	s_addc_u32 s9, s9, 0
	s_add_i32 s12, s12, 32
	s_add_i32 s13, s8, -7
	v_cmp_eq_u32_e32 vcc, 22, v110
	s_waitcnt lgkmcnt(0)
	v_fmac_f32_e32 v109, v120, v113
	v_mov_b32_e32 v110, s13
	s_or_b64 s[10:11], vcc, s[10:11]
	v_fmac_f32_e32 v109, v115, v114
	s_andn2_b64 exec, exec, s[10:11]
	s_cbranch_execnz .LBB84_73
; %bb.74:
	s_or_b64 exec, exec, s[10:11]
.LBB84_75:
	s_or_b64 exec, exec, s[2:3]
	v_and_b32_e32 v55, 7, v111
	v_cmp_ne_u32_e32 vcc, 0, v55
	s_and_saveexec_b64 s[8:9], vcc
	s_cbranch_execz .LBB84_79
; %bb.76:
	v_mov_b32_e32 v56, 0x60
	v_lshl_add_u32 v56, v110, 2, v56
	v_mov_b32_e32 v57, 0
	s_mov_b64 s[10:11], 0
.LBB84_77:                              ; =>This Inner Loop Header: Depth=1
	v_cmp_eq_u32_e32 vcc, 1, v110
	v_cndmask_b32_e32 v58, v34, v35, vcc
	v_add_u32_e32 v55, -1, v55
	v_cmp_eq_u32_e32 vcc, 2, v110
	v_cndmask_b32_e32 v58, v58, v36, vcc
	v_cmp_eq_u32_e32 vcc, 0, v55
	v_cmp_eq_u32_e64 s[2:3], 3, v110
	v_cndmask_b32_e64 v58, v58, v37, s[2:3]
	s_or_b64 s[10:11], vcc, s[10:11]
	v_cmp_eq_u32_e32 vcc, 4, v110
	v_cndmask_b32_e32 v58, v58, v38, vcc
	v_cmp_eq_u32_e32 vcc, 5, v110
	v_cndmask_b32_e32 v58, v58, v39, vcc
	v_cmp_eq_u32_e32 vcc, 6, v110
	v_cndmask_b32_e32 v58, v58, v40, vcc
	v_cmp_eq_u32_e32 vcc, 7, v110
	v_cndmask_b32_e32 v58, v58, v41, vcc
	v_cmp_eq_u32_e32 vcc, 8, v110
	v_cndmask_b32_e32 v58, v58, v42, vcc
	v_cmp_eq_u32_e32 vcc, 9, v110
	v_cndmask_b32_e32 v58, v58, v43, vcc
	v_cmp_eq_u32_e32 vcc, 10, v110
	v_cndmask_b32_e32 v58, v58, v44, vcc
	v_cmp_eq_u32_e32 vcc, 11, v110
	v_cndmask_b32_e32 v58, v58, v45, vcc
	v_cmp_eq_u32_e32 vcc, 12, v110
	v_cndmask_b32_e32 v58, v58, v46, vcc
	v_cmp_eq_u32_e32 vcc, 13, v110
	v_cndmask_b32_e32 v58, v58, v47, vcc
	v_cmp_eq_u32_e32 vcc, 14, v110
	v_cndmask_b32_e32 v58, v58, v48, vcc
	v_cmp_eq_u32_e32 vcc, 15, v110
	v_cndmask_b32_e32 v58, v58, v49, vcc
	v_cmp_eq_u32_e32 vcc, 16, v110
	ds_read_b32 v59, v56
	v_cndmask_b32_e32 v58, v58, v50, vcc
	v_cmp_eq_u32_e32 vcc, 17, v110
	v_cndmask_b32_e32 v58, v58, v51, vcc
	v_cmp_eq_u32_e32 vcc, 18, v110
	;; [unrolled: 2-line block ×4, first 2 shown]
	v_add_co_u32_e64 v110, s[2:3], 1, v110
	v_cndmask_b32_e32 v58, v58, v54, vcc
	v_add_u32_e32 v56, 4, v56
	v_addc_co_u32_e64 v57, s[2:3], 0, v57, s[2:3]
	s_waitcnt lgkmcnt(0)
	v_fmac_f32_e32 v109, v58, v59
	s_andn2_b64 exec, exec, s[10:11]
	s_cbranch_execnz .LBB84_77
; %bb.78:
	s_or_b64 exec, exec, s[10:11]
.LBB84_79:
	s_or_b64 exec, exec, s[8:9]
.LBB84_80:
	s_or_b64 exec, exec, s[6:7]
	v_mov_b32_e32 v48, 0
	ds_read_b32 v48, v48 offset:56
	s_waitcnt lgkmcnt(0)
	v_mul_f32_e32 v48, v109, v48
.LBB84_81:
	s_or_b64 exec, exec, s[4:5]
	v_cmp_lt_u32_e64 s[2:3], 13, v0
	ds_write_b32 v108, v47
	s_waitcnt lgkmcnt(0)
	; wave barrier
	s_and_saveexec_b64 s[4:5], s[2:3]
	s_cbranch_execz .LBB84_97
; %bb.82:
	s_andn2_b64 vcc, exec, s[46:47]
	s_cbranch_vccnz .LBB84_84
; %bb.83:
	v_cmp_eq_u32_e32 vcc, 1, v0
	v_cndmask_b32_e32 v109, v34, v35, vcc
	v_cmp_eq_u32_e32 vcc, 2, v0
	v_cndmask_b32_e32 v109, v109, v36, vcc
	;; [unrolled: 2-line block ×16, first 2 shown]
	v_cmp_eq_u32_e32 vcc, 17, v0
	ds_read_b32 v110, v108
	v_cndmask_b32_e32 v109, v109, v51, vcc
	v_cmp_eq_u32_e32 vcc, 18, v0
	v_cndmask_b32_e32 v109, v109, v52, vcc
	v_cmp_eq_u32_e32 vcc, 19, v0
	;; [unrolled: 2-line block ×3, first 2 shown]
	v_cndmask_b32_e32 v109, v109, v54, vcc
	s_waitcnt lgkmcnt(0)
	v_mul_f32_e32 v109, v109, v110
	s_cbranch_execz .LBB84_85
	s_branch .LBB84_86
.LBB84_84:
                                        ; implicit-def: $vgpr109
.LBB84_85:
	ds_read_b32 v109, v108
.LBB84_86:
	s_and_saveexec_b64 s[6:7], s[0:1]
	s_cbranch_execz .LBB84_96
; %bb.87:
	v_add_u32_e32 v110, -15, v0
	v_add_u32_e32 v111, -14, v0
	v_cmp_lt_u32_e32 vcc, 6, v110
	v_mov_b32_e32 v110, 14
	s_and_saveexec_b64 s[0:1], vcc
	s_cbranch_execz .LBB84_91
; %bb.88:
	v_and_b32_e32 v110, -8, v111
	v_sub_u32_e32 v112, 0, v110
	s_mov_b64 s[8:9], 21
	s_movk_i32 s12, 0x98
	s_mov_b64 s[10:11], 0
.LBB84_89:                              ; =>This Inner Loop Header: Depth=1
	s_add_i32 s13, s8, -7
	v_mov_b32_e32 v110, s12
	s_add_i32 s14, s8, -6
	s_set_gpr_idx_on s13, gpr_idx(SRC0)
	v_mov_b32_e32 v121, v34
	s_set_gpr_idx_off
	ds_read2_b64 v[113:116], v110 offset1:1
	s_add_i32 s15, s8, -5
	s_set_gpr_idx_on s14, gpr_idx(SRC0)
	v_mov_b32_e32 v122, v34
	s_set_gpr_idx_off
	s_add_i32 s16, s8, -4
	s_set_gpr_idx_on s15, gpr_idx(SRC0)
	v_mov_b32_e32 v123, v34
	s_set_gpr_idx_off
	;; [unrolled: 4-line block ×4, first 2 shown]
	ds_read2_b64 v[117:120], v110 offset0:2 offset1:3
	s_add_i32 s19, s8, -1
	s_waitcnt lgkmcnt(1)
	v_fmac_f32_e32 v109, v121, v113
	s_set_gpr_idx_on s18, gpr_idx(SRC0)
	v_mov_b32_e32 v113, v34
	s_set_gpr_idx_off
	v_fmac_f32_e32 v109, v122, v114
	s_set_gpr_idx_on s19, gpr_idx(SRC0)
	v_mov_b32_e32 v114, v34
	s_set_gpr_idx_off
	;; [unrolled: 4-line block ×3, first 2 shown]
	v_fmac_f32_e32 v109, v124, v116
	s_add_u32 s8, s8, 8
	s_waitcnt lgkmcnt(0)
	v_fmac_f32_e32 v109, v125, v117
	v_add_u32_e32 v110, s8, v112
	v_fmac_f32_e32 v109, v113, v118
	s_addc_u32 s9, s9, 0
	s_add_i32 s12, s12, 32
	s_add_i32 s13, s8, -7
	v_cmp_eq_u32_e32 vcc, 21, v110
	v_fmac_f32_e32 v109, v114, v119
	v_mov_b32_e32 v110, s13
	s_or_b64 s[10:11], vcc, s[10:11]
	v_fmac_f32_e32 v109, v115, v120
	s_andn2_b64 exec, exec, s[10:11]
	s_cbranch_execnz .LBB84_89
; %bb.90:
	s_or_b64 exec, exec, s[10:11]
.LBB84_91:
	s_or_b64 exec, exec, s[0:1]
	v_and_b32_e32 v55, 7, v111
	v_cmp_ne_u32_e32 vcc, 0, v55
	s_and_saveexec_b64 s[8:9], vcc
	s_cbranch_execz .LBB84_95
; %bb.92:
	v_mov_b32_e32 v56, 0x60
	v_lshl_add_u32 v56, v110, 2, v56
	v_mov_b32_e32 v57, 0
	s_mov_b64 s[10:11], 0
.LBB84_93:                              ; =>This Inner Loop Header: Depth=1
	v_cmp_eq_u32_e32 vcc, 1, v110
	v_cndmask_b32_e32 v58, v34, v35, vcc
	v_add_u32_e32 v55, -1, v55
	v_cmp_eq_u32_e32 vcc, 2, v110
	v_cndmask_b32_e32 v58, v58, v36, vcc
	v_cmp_eq_u32_e32 vcc, 0, v55
	v_cmp_eq_u32_e64 s[0:1], 3, v110
	v_cndmask_b32_e64 v58, v58, v37, s[0:1]
	s_or_b64 s[10:11], vcc, s[10:11]
	v_cmp_eq_u32_e32 vcc, 4, v110
	v_cndmask_b32_e32 v58, v58, v38, vcc
	v_cmp_eq_u32_e32 vcc, 5, v110
	v_cndmask_b32_e32 v58, v58, v39, vcc
	;; [unrolled: 2-line block ×12, first 2 shown]
	v_cmp_eq_u32_e32 vcc, 16, v110
	ds_read_b32 v59, v56
	v_cndmask_b32_e32 v58, v58, v50, vcc
	v_cmp_eq_u32_e32 vcc, 17, v110
	v_cndmask_b32_e32 v58, v58, v51, vcc
	v_cmp_eq_u32_e32 vcc, 18, v110
	;; [unrolled: 2-line block ×4, first 2 shown]
	v_add_co_u32_e64 v110, s[0:1], 1, v110
	v_cndmask_b32_e32 v58, v58, v54, vcc
	v_add_u32_e32 v56, 4, v56
	v_addc_co_u32_e64 v57, s[0:1], 0, v57, s[0:1]
	s_waitcnt lgkmcnt(0)
	v_fmac_f32_e32 v109, v58, v59
	s_andn2_b64 exec, exec, s[10:11]
	s_cbranch_execnz .LBB84_93
; %bb.94:
	s_or_b64 exec, exec, s[10:11]
.LBB84_95:
	s_or_b64 exec, exec, s[8:9]
.LBB84_96:
	s_or_b64 exec, exec, s[6:7]
	v_mov_b32_e32 v47, 0
	ds_read_b32 v47, v47 offset:52
	s_waitcnt lgkmcnt(0)
	v_mul_f32_e32 v47, v109, v47
.LBB84_97:
	s_or_b64 exec, exec, s[4:5]
	v_cmp_lt_u32_e64 s[0:1], 12, v0
	ds_write_b32 v108, v46
	s_waitcnt lgkmcnt(0)
	; wave barrier
	s_and_saveexec_b64 s[4:5], s[0:1]
	s_cbranch_execz .LBB84_113
; %bb.98:
	s_andn2_b64 vcc, exec, s[46:47]
	s_cbranch_vccnz .LBB84_100
; %bb.99:
	v_cmp_eq_u32_e32 vcc, 1, v0
	v_cndmask_b32_e32 v109, v34, v35, vcc
	v_cmp_eq_u32_e32 vcc, 2, v0
	v_cndmask_b32_e32 v109, v109, v36, vcc
	;; [unrolled: 2-line block ×16, first 2 shown]
	v_cmp_eq_u32_e32 vcc, 17, v0
	ds_read_b32 v110, v108
	v_cndmask_b32_e32 v109, v109, v51, vcc
	v_cmp_eq_u32_e32 vcc, 18, v0
	v_cndmask_b32_e32 v109, v109, v52, vcc
	v_cmp_eq_u32_e32 vcc, 19, v0
	;; [unrolled: 2-line block ×3, first 2 shown]
	v_cndmask_b32_e32 v109, v109, v54, vcc
	s_waitcnt lgkmcnt(0)
	v_mul_f32_e32 v109, v109, v110
	s_cbranch_execz .LBB84_101
	s_branch .LBB84_102
.LBB84_100:
                                        ; implicit-def: $vgpr109
.LBB84_101:
	ds_read_b32 v109, v108
.LBB84_102:
	s_and_saveexec_b64 s[6:7], s[2:3]
	s_cbranch_execz .LBB84_112
; %bb.103:
	v_add_u32_e32 v110, -14, v0
	v_add_u32_e32 v111, -13, v0
	v_cmp_lt_u32_e32 vcc, 6, v110
	v_mov_b32_e32 v110, 13
	s_and_saveexec_b64 s[2:3], vcc
	s_cbranch_execz .LBB84_107
; %bb.104:
	v_and_b32_e32 v110, -8, v111
	v_sub_u32_e32 v112, 0, v110
	s_mov_b64 s[8:9], 20
	s_movk_i32 s12, 0x94
	s_mov_b64 s[10:11], 0
.LBB84_105:                             ; =>This Inner Loop Header: Depth=1
	s_add_i32 s13, s8, -7
	v_mov_b32_e32 v110, s12
	s_add_i32 s14, s8, -6
	s_set_gpr_idx_on s13, gpr_idx(SRC0)
	v_mov_b32_e32 v119, v34
	s_set_gpr_idx_off
	ds_read2_b32 v[113:114], v110 offset1:1
	s_add_i32 s15, s8, -5
	s_set_gpr_idx_on s14, gpr_idx(SRC0)
	v_mov_b32_e32 v120, v34
	s_set_gpr_idx_off
	s_add_i32 s16, s8, -4
	s_set_gpr_idx_on s15, gpr_idx(SRC0)
	v_mov_b32_e32 v121, v34
	s_set_gpr_idx_off
	ds_read2_b32 v[115:116], v110 offset0:2 offset1:3
	s_add_i32 s17, s8, -3
	s_set_gpr_idx_on s16, gpr_idx(SRC0)
	v_mov_b32_e32 v122, v34
	s_set_gpr_idx_off
	s_add_i32 s18, s8, -2
	s_set_gpr_idx_on s17, gpr_idx(SRC0)
	v_mov_b32_e32 v123, v34
	s_set_gpr_idx_off
	ds_read2_b32 v[117:118], v110 offset0:4 offset1:5
	s_add_i32 s19, s8, -1
	s_waitcnt lgkmcnt(2)
	v_fmac_f32_e32 v109, v119, v113
	s_set_gpr_idx_on s18, gpr_idx(SRC0)
	v_mov_b32_e32 v119, v34
	s_set_gpr_idx_off
	v_fmac_f32_e32 v109, v120, v114
	s_set_gpr_idx_on s19, gpr_idx(SRC0)
	v_mov_b32_e32 v120, v34
	s_set_gpr_idx_off
	ds_read2_b32 v[113:114], v110 offset0:6 offset1:7
	s_waitcnt lgkmcnt(2)
	v_fmac_f32_e32 v109, v121, v115
	s_set_gpr_idx_on s8, gpr_idx(SRC0)
	v_mov_b32_e32 v115, v34
	s_set_gpr_idx_off
	v_fmac_f32_e32 v109, v122, v116
	s_add_u32 s8, s8, 8
	s_waitcnt lgkmcnt(1)
	v_fmac_f32_e32 v109, v123, v117
	v_add_u32_e32 v110, s8, v112
	v_fmac_f32_e32 v109, v119, v118
	s_addc_u32 s9, s9, 0
	s_add_i32 s12, s12, 32
	s_add_i32 s13, s8, -7
	v_cmp_eq_u32_e32 vcc, 20, v110
	s_waitcnt lgkmcnt(0)
	v_fmac_f32_e32 v109, v120, v113
	v_mov_b32_e32 v110, s13
	s_or_b64 s[10:11], vcc, s[10:11]
	v_fmac_f32_e32 v109, v115, v114
	s_andn2_b64 exec, exec, s[10:11]
	s_cbranch_execnz .LBB84_105
; %bb.106:
	s_or_b64 exec, exec, s[10:11]
.LBB84_107:
	s_or_b64 exec, exec, s[2:3]
	v_and_b32_e32 v55, 7, v111
	v_cmp_ne_u32_e32 vcc, 0, v55
	s_and_saveexec_b64 s[8:9], vcc
	s_cbranch_execz .LBB84_111
; %bb.108:
	v_mov_b32_e32 v56, 0x60
	v_lshl_add_u32 v56, v110, 2, v56
	v_mov_b32_e32 v57, 0
	s_mov_b64 s[10:11], 0
.LBB84_109:                             ; =>This Inner Loop Header: Depth=1
	v_cmp_eq_u32_e32 vcc, 1, v110
	v_cndmask_b32_e32 v58, v34, v35, vcc
	v_add_u32_e32 v55, -1, v55
	v_cmp_eq_u32_e32 vcc, 2, v110
	v_cndmask_b32_e32 v58, v58, v36, vcc
	v_cmp_eq_u32_e32 vcc, 0, v55
	v_cmp_eq_u32_e64 s[2:3], 3, v110
	v_cndmask_b32_e64 v58, v58, v37, s[2:3]
	s_or_b64 s[10:11], vcc, s[10:11]
	v_cmp_eq_u32_e32 vcc, 4, v110
	v_cndmask_b32_e32 v58, v58, v38, vcc
	v_cmp_eq_u32_e32 vcc, 5, v110
	v_cndmask_b32_e32 v58, v58, v39, vcc
	;; [unrolled: 2-line block ×12, first 2 shown]
	v_cmp_eq_u32_e32 vcc, 16, v110
	ds_read_b32 v59, v56
	v_cndmask_b32_e32 v58, v58, v50, vcc
	v_cmp_eq_u32_e32 vcc, 17, v110
	v_cndmask_b32_e32 v58, v58, v51, vcc
	v_cmp_eq_u32_e32 vcc, 18, v110
	;; [unrolled: 2-line block ×4, first 2 shown]
	v_add_co_u32_e64 v110, s[2:3], 1, v110
	v_cndmask_b32_e32 v58, v58, v54, vcc
	v_add_u32_e32 v56, 4, v56
	v_addc_co_u32_e64 v57, s[2:3], 0, v57, s[2:3]
	s_waitcnt lgkmcnt(0)
	v_fmac_f32_e32 v109, v58, v59
	s_andn2_b64 exec, exec, s[10:11]
	s_cbranch_execnz .LBB84_109
; %bb.110:
	s_or_b64 exec, exec, s[10:11]
.LBB84_111:
	s_or_b64 exec, exec, s[8:9]
.LBB84_112:
	s_or_b64 exec, exec, s[6:7]
	v_mov_b32_e32 v46, 0
	ds_read_b32 v46, v46 offset:48
	s_waitcnt lgkmcnt(0)
	v_mul_f32_e32 v46, v109, v46
.LBB84_113:
	s_or_b64 exec, exec, s[4:5]
	v_cmp_lt_u32_e64 s[2:3], 11, v0
	ds_write_b32 v108, v45
	s_waitcnt lgkmcnt(0)
	; wave barrier
	s_and_saveexec_b64 s[4:5], s[2:3]
	s_cbranch_execz .LBB84_129
; %bb.114:
	s_andn2_b64 vcc, exec, s[46:47]
	s_cbranch_vccnz .LBB84_116
; %bb.115:
	v_cmp_eq_u32_e32 vcc, 1, v0
	v_cndmask_b32_e32 v109, v34, v35, vcc
	v_cmp_eq_u32_e32 vcc, 2, v0
	v_cndmask_b32_e32 v109, v109, v36, vcc
	;; [unrolled: 2-line block ×16, first 2 shown]
	v_cmp_eq_u32_e32 vcc, 17, v0
	ds_read_b32 v110, v108
	v_cndmask_b32_e32 v109, v109, v51, vcc
	v_cmp_eq_u32_e32 vcc, 18, v0
	v_cndmask_b32_e32 v109, v109, v52, vcc
	v_cmp_eq_u32_e32 vcc, 19, v0
	;; [unrolled: 2-line block ×3, first 2 shown]
	v_cndmask_b32_e32 v109, v109, v54, vcc
	s_waitcnt lgkmcnt(0)
	v_mul_f32_e32 v109, v109, v110
	s_cbranch_execz .LBB84_117
	s_branch .LBB84_118
.LBB84_116:
                                        ; implicit-def: $vgpr109
.LBB84_117:
	ds_read_b32 v109, v108
.LBB84_118:
	s_and_saveexec_b64 s[6:7], s[0:1]
	s_cbranch_execz .LBB84_128
; %bb.119:
	v_add_u32_e32 v110, -13, v0
	v_add_u32_e32 v111, -12, v0
	v_cmp_lt_u32_e32 vcc, 6, v110
	v_mov_b32_e32 v110, 12
	s_and_saveexec_b64 s[0:1], vcc
	s_cbranch_execz .LBB84_123
; %bb.120:
	v_and_b32_e32 v110, -8, v111
	v_sub_u32_e32 v112, 0, v110
	s_mov_b64 s[8:9], 19
	s_movk_i32 s12, 0x90
	s_mov_b64 s[10:11], 0
.LBB84_121:                             ; =>This Inner Loop Header: Depth=1
	s_add_i32 s13, s8, -7
	v_mov_b32_e32 v110, s12
	s_add_i32 s14, s8, -6
	s_set_gpr_idx_on s13, gpr_idx(SRC0)
	v_mov_b32_e32 v121, v34
	s_set_gpr_idx_off
	s_add_i32 s15, s8, -5
	ds_read_b128 v[113:116], v110
	ds_read_b128 v[117:120], v110 offset:16
	s_set_gpr_idx_on s14, gpr_idx(SRC0)
	v_mov_b32_e32 v110, v34
	s_set_gpr_idx_off
	s_add_i32 s16, s8, -4
	s_set_gpr_idx_on s15, gpr_idx(SRC0)
	v_mov_b32_e32 v122, v34
	s_set_gpr_idx_off
	s_add_i32 s17, s8, -3
	;; [unrolled: 4-line block ×4, first 2 shown]
	s_waitcnt lgkmcnt(1)
	v_fmac_f32_e32 v109, v121, v113
	s_set_gpr_idx_on s18, gpr_idx(SRC0)
	v_mov_b32_e32 v113, v34
	s_set_gpr_idx_off
	v_fmac_f32_e32 v109, v110, v114
	s_set_gpr_idx_on s19, gpr_idx(SRC0)
	v_mov_b32_e32 v114, v34
	s_set_gpr_idx_off
	v_fmac_f32_e32 v109, v122, v115
	s_set_gpr_idx_on s8, gpr_idx(SRC0)
	v_mov_b32_e32 v115, v34
	s_set_gpr_idx_off
	v_fmac_f32_e32 v109, v123, v116
	s_add_u32 s8, s8, 8
	s_waitcnt lgkmcnt(0)
	v_fmac_f32_e32 v109, v124, v117
	v_add_u32_e32 v110, s8, v112
	v_fmac_f32_e32 v109, v113, v118
	s_addc_u32 s9, s9, 0
	s_add_i32 s12, s12, 32
	s_add_i32 s13, s8, -7
	v_cmp_eq_u32_e32 vcc, 19, v110
	v_fmac_f32_e32 v109, v114, v119
	v_mov_b32_e32 v110, s13
	s_or_b64 s[10:11], vcc, s[10:11]
	v_fmac_f32_e32 v109, v115, v120
	s_andn2_b64 exec, exec, s[10:11]
	s_cbranch_execnz .LBB84_121
; %bb.122:
	s_or_b64 exec, exec, s[10:11]
.LBB84_123:
	s_or_b64 exec, exec, s[0:1]
	v_and_b32_e32 v55, 7, v111
	v_cmp_ne_u32_e32 vcc, 0, v55
	s_and_saveexec_b64 s[8:9], vcc
	s_cbranch_execz .LBB84_127
; %bb.124:
	v_mov_b32_e32 v56, 0x60
	v_lshl_add_u32 v56, v110, 2, v56
	v_mov_b32_e32 v57, 0
	s_mov_b64 s[10:11], 0
.LBB84_125:                             ; =>This Inner Loop Header: Depth=1
	v_cmp_eq_u32_e32 vcc, 1, v110
	v_cndmask_b32_e32 v58, v34, v35, vcc
	v_add_u32_e32 v55, -1, v55
	v_cmp_eq_u32_e32 vcc, 2, v110
	v_cndmask_b32_e32 v58, v58, v36, vcc
	v_cmp_eq_u32_e32 vcc, 0, v55
	v_cmp_eq_u32_e64 s[0:1], 3, v110
	v_cndmask_b32_e64 v58, v58, v37, s[0:1]
	s_or_b64 s[10:11], vcc, s[10:11]
	v_cmp_eq_u32_e32 vcc, 4, v110
	v_cndmask_b32_e32 v58, v58, v38, vcc
	v_cmp_eq_u32_e32 vcc, 5, v110
	v_cndmask_b32_e32 v58, v58, v39, vcc
	v_cmp_eq_u32_e32 vcc, 6, v110
	v_cndmask_b32_e32 v58, v58, v40, vcc
	v_cmp_eq_u32_e32 vcc, 7, v110
	v_cndmask_b32_e32 v58, v58, v41, vcc
	v_cmp_eq_u32_e32 vcc, 8, v110
	v_cndmask_b32_e32 v58, v58, v42, vcc
	v_cmp_eq_u32_e32 vcc, 9, v110
	v_cndmask_b32_e32 v58, v58, v43, vcc
	v_cmp_eq_u32_e32 vcc, 10, v110
	v_cndmask_b32_e32 v58, v58, v44, vcc
	v_cmp_eq_u32_e32 vcc, 11, v110
	v_cndmask_b32_e32 v58, v58, v45, vcc
	v_cmp_eq_u32_e32 vcc, 12, v110
	v_cndmask_b32_e32 v58, v58, v46, vcc
	v_cmp_eq_u32_e32 vcc, 13, v110
	v_cndmask_b32_e32 v58, v58, v47, vcc
	v_cmp_eq_u32_e32 vcc, 14, v110
	v_cndmask_b32_e32 v58, v58, v48, vcc
	v_cmp_eq_u32_e32 vcc, 15, v110
	v_cndmask_b32_e32 v58, v58, v49, vcc
	v_cmp_eq_u32_e32 vcc, 16, v110
	ds_read_b32 v59, v56
	v_cndmask_b32_e32 v58, v58, v50, vcc
	v_cmp_eq_u32_e32 vcc, 17, v110
	v_cndmask_b32_e32 v58, v58, v51, vcc
	v_cmp_eq_u32_e32 vcc, 18, v110
	;; [unrolled: 2-line block ×4, first 2 shown]
	v_add_co_u32_e64 v110, s[0:1], 1, v110
	v_cndmask_b32_e32 v58, v58, v54, vcc
	v_add_u32_e32 v56, 4, v56
	v_addc_co_u32_e64 v57, s[0:1], 0, v57, s[0:1]
	s_waitcnt lgkmcnt(0)
	v_fmac_f32_e32 v109, v58, v59
	s_andn2_b64 exec, exec, s[10:11]
	s_cbranch_execnz .LBB84_125
; %bb.126:
	s_or_b64 exec, exec, s[10:11]
.LBB84_127:
	s_or_b64 exec, exec, s[8:9]
.LBB84_128:
	s_or_b64 exec, exec, s[6:7]
	v_mov_b32_e32 v45, 0
	ds_read_b32 v45, v45 offset:44
	s_waitcnt lgkmcnt(0)
	v_mul_f32_e32 v45, v109, v45
.LBB84_129:
	s_or_b64 exec, exec, s[4:5]
	v_cmp_lt_u32_e64 s[0:1], 10, v0
	ds_write_b32 v108, v44
	s_waitcnt lgkmcnt(0)
	; wave barrier
	s_and_saveexec_b64 s[4:5], s[0:1]
	s_cbranch_execz .LBB84_145
; %bb.130:
	s_andn2_b64 vcc, exec, s[46:47]
	s_cbranch_vccnz .LBB84_132
; %bb.131:
	v_cmp_eq_u32_e32 vcc, 1, v0
	v_cndmask_b32_e32 v109, v34, v35, vcc
	v_cmp_eq_u32_e32 vcc, 2, v0
	v_cndmask_b32_e32 v109, v109, v36, vcc
	;; [unrolled: 2-line block ×16, first 2 shown]
	v_cmp_eq_u32_e32 vcc, 17, v0
	ds_read_b32 v110, v108
	v_cndmask_b32_e32 v109, v109, v51, vcc
	v_cmp_eq_u32_e32 vcc, 18, v0
	v_cndmask_b32_e32 v109, v109, v52, vcc
	v_cmp_eq_u32_e32 vcc, 19, v0
	;; [unrolled: 2-line block ×3, first 2 shown]
	v_cndmask_b32_e32 v109, v109, v54, vcc
	s_waitcnt lgkmcnt(0)
	v_mul_f32_e32 v109, v109, v110
	s_cbranch_execz .LBB84_133
	s_branch .LBB84_134
.LBB84_132:
                                        ; implicit-def: $vgpr109
.LBB84_133:
	ds_read_b32 v109, v108
.LBB84_134:
	s_and_saveexec_b64 s[6:7], s[2:3]
	s_cbranch_execz .LBB84_144
; %bb.135:
	v_add_u32_e32 v110, -12, v0
	v_add_u32_e32 v111, -11, v0
	v_cmp_lt_u32_e32 vcc, 6, v110
	v_mov_b32_e32 v110, 11
	s_and_saveexec_b64 s[2:3], vcc
	s_cbranch_execz .LBB84_139
; %bb.136:
	v_and_b32_e32 v110, -8, v111
	v_sub_u32_e32 v112, 0, v110
	s_mov_b64 s[8:9], 18
	s_movk_i32 s12, 0x8c
	s_mov_b64 s[10:11], 0
.LBB84_137:                             ; =>This Inner Loop Header: Depth=1
	s_add_i32 s13, s8, -7
	v_mov_b32_e32 v110, s12
	s_add_i32 s14, s8, -6
	s_set_gpr_idx_on s13, gpr_idx(SRC0)
	v_mov_b32_e32 v119, v34
	s_set_gpr_idx_off
	ds_read2_b32 v[113:114], v110 offset1:1
	s_add_i32 s15, s8, -5
	s_set_gpr_idx_on s14, gpr_idx(SRC0)
	v_mov_b32_e32 v120, v34
	s_set_gpr_idx_off
	s_add_i32 s16, s8, -4
	s_set_gpr_idx_on s15, gpr_idx(SRC0)
	v_mov_b32_e32 v121, v34
	s_set_gpr_idx_off
	ds_read2_b32 v[115:116], v110 offset0:2 offset1:3
	s_add_i32 s17, s8, -3
	s_set_gpr_idx_on s16, gpr_idx(SRC0)
	v_mov_b32_e32 v122, v34
	s_set_gpr_idx_off
	s_add_i32 s18, s8, -2
	s_set_gpr_idx_on s17, gpr_idx(SRC0)
	v_mov_b32_e32 v123, v34
	s_set_gpr_idx_off
	ds_read2_b32 v[117:118], v110 offset0:4 offset1:5
	s_add_i32 s19, s8, -1
	s_waitcnt lgkmcnt(2)
	v_fmac_f32_e32 v109, v119, v113
	s_set_gpr_idx_on s18, gpr_idx(SRC0)
	v_mov_b32_e32 v119, v34
	s_set_gpr_idx_off
	v_fmac_f32_e32 v109, v120, v114
	s_set_gpr_idx_on s19, gpr_idx(SRC0)
	v_mov_b32_e32 v120, v34
	s_set_gpr_idx_off
	ds_read2_b32 v[113:114], v110 offset0:6 offset1:7
	s_waitcnt lgkmcnt(2)
	v_fmac_f32_e32 v109, v121, v115
	s_set_gpr_idx_on s8, gpr_idx(SRC0)
	v_mov_b32_e32 v115, v34
	s_set_gpr_idx_off
	v_fmac_f32_e32 v109, v122, v116
	s_add_u32 s8, s8, 8
	s_waitcnt lgkmcnt(1)
	v_fmac_f32_e32 v109, v123, v117
	v_add_u32_e32 v110, s8, v112
	v_fmac_f32_e32 v109, v119, v118
	s_addc_u32 s9, s9, 0
	s_add_i32 s12, s12, 32
	s_add_i32 s13, s8, -7
	v_cmp_eq_u32_e32 vcc, 18, v110
	s_waitcnt lgkmcnt(0)
	v_fmac_f32_e32 v109, v120, v113
	v_mov_b32_e32 v110, s13
	s_or_b64 s[10:11], vcc, s[10:11]
	v_fmac_f32_e32 v109, v115, v114
	s_andn2_b64 exec, exec, s[10:11]
	s_cbranch_execnz .LBB84_137
; %bb.138:
	s_or_b64 exec, exec, s[10:11]
.LBB84_139:
	s_or_b64 exec, exec, s[2:3]
	v_and_b32_e32 v55, 7, v111
	v_cmp_ne_u32_e32 vcc, 0, v55
	s_and_saveexec_b64 s[8:9], vcc
	s_cbranch_execz .LBB84_143
; %bb.140:
	v_mov_b32_e32 v56, 0x60
	v_lshl_add_u32 v56, v110, 2, v56
	v_mov_b32_e32 v57, 0
	s_mov_b64 s[10:11], 0
.LBB84_141:                             ; =>This Inner Loop Header: Depth=1
	v_cmp_eq_u32_e32 vcc, 1, v110
	v_cndmask_b32_e32 v58, v34, v35, vcc
	v_add_u32_e32 v55, -1, v55
	v_cmp_eq_u32_e32 vcc, 2, v110
	v_cndmask_b32_e32 v58, v58, v36, vcc
	v_cmp_eq_u32_e32 vcc, 0, v55
	v_cmp_eq_u32_e64 s[2:3], 3, v110
	v_cndmask_b32_e64 v58, v58, v37, s[2:3]
	s_or_b64 s[10:11], vcc, s[10:11]
	v_cmp_eq_u32_e32 vcc, 4, v110
	v_cndmask_b32_e32 v58, v58, v38, vcc
	v_cmp_eq_u32_e32 vcc, 5, v110
	v_cndmask_b32_e32 v58, v58, v39, vcc
	;; [unrolled: 2-line block ×12, first 2 shown]
	v_cmp_eq_u32_e32 vcc, 16, v110
	ds_read_b32 v59, v56
	v_cndmask_b32_e32 v58, v58, v50, vcc
	v_cmp_eq_u32_e32 vcc, 17, v110
	v_cndmask_b32_e32 v58, v58, v51, vcc
	v_cmp_eq_u32_e32 vcc, 18, v110
	;; [unrolled: 2-line block ×4, first 2 shown]
	v_add_co_u32_e64 v110, s[2:3], 1, v110
	v_cndmask_b32_e32 v58, v58, v54, vcc
	v_add_u32_e32 v56, 4, v56
	v_addc_co_u32_e64 v57, s[2:3], 0, v57, s[2:3]
	s_waitcnt lgkmcnt(0)
	v_fmac_f32_e32 v109, v58, v59
	s_andn2_b64 exec, exec, s[10:11]
	s_cbranch_execnz .LBB84_141
; %bb.142:
	s_or_b64 exec, exec, s[10:11]
.LBB84_143:
	s_or_b64 exec, exec, s[8:9]
.LBB84_144:
	s_or_b64 exec, exec, s[6:7]
	v_mov_b32_e32 v44, 0
	ds_read_b32 v44, v44 offset:40
	s_waitcnt lgkmcnt(0)
	v_mul_f32_e32 v44, v109, v44
.LBB84_145:
	s_or_b64 exec, exec, s[4:5]
	v_cmp_lt_u32_e64 s[2:3], 9, v0
	ds_write_b32 v108, v43
	s_waitcnt lgkmcnt(0)
	; wave barrier
	s_and_saveexec_b64 s[4:5], s[2:3]
	s_cbranch_execz .LBB84_161
; %bb.146:
	s_andn2_b64 vcc, exec, s[46:47]
	s_cbranch_vccnz .LBB84_148
; %bb.147:
	v_cmp_eq_u32_e32 vcc, 1, v0
	v_cndmask_b32_e32 v109, v34, v35, vcc
	v_cmp_eq_u32_e32 vcc, 2, v0
	v_cndmask_b32_e32 v109, v109, v36, vcc
	;; [unrolled: 2-line block ×16, first 2 shown]
	v_cmp_eq_u32_e32 vcc, 17, v0
	ds_read_b32 v110, v108
	v_cndmask_b32_e32 v109, v109, v51, vcc
	v_cmp_eq_u32_e32 vcc, 18, v0
	v_cndmask_b32_e32 v109, v109, v52, vcc
	v_cmp_eq_u32_e32 vcc, 19, v0
	;; [unrolled: 2-line block ×3, first 2 shown]
	v_cndmask_b32_e32 v109, v109, v54, vcc
	s_waitcnt lgkmcnt(0)
	v_mul_f32_e32 v109, v109, v110
	s_cbranch_execz .LBB84_149
	s_branch .LBB84_150
.LBB84_148:
                                        ; implicit-def: $vgpr109
.LBB84_149:
	ds_read_b32 v109, v108
.LBB84_150:
	s_and_saveexec_b64 s[6:7], s[0:1]
	s_cbranch_execz .LBB84_160
; %bb.151:
	v_add_u32_e32 v110, -11, v0
	v_add_u32_e32 v111, -10, v0
	v_cmp_lt_u32_e32 vcc, 6, v110
	v_mov_b32_e32 v110, 10
	s_and_saveexec_b64 s[0:1], vcc
	s_cbranch_execz .LBB84_155
; %bb.152:
	v_and_b32_e32 v110, -8, v111
	v_sub_u32_e32 v112, 0, v110
	s_mov_b64 s[8:9], 17
	s_movk_i32 s12, 0x88
	s_mov_b64 s[10:11], 0
.LBB84_153:                             ; =>This Inner Loop Header: Depth=1
	s_add_i32 s13, s8, -7
	v_mov_b32_e32 v110, s12
	s_add_i32 s14, s8, -6
	s_set_gpr_idx_on s13, gpr_idx(SRC0)
	v_mov_b32_e32 v121, v34
	s_set_gpr_idx_off
	ds_read2_b64 v[113:116], v110 offset1:1
	s_add_i32 s15, s8, -5
	s_set_gpr_idx_on s14, gpr_idx(SRC0)
	v_mov_b32_e32 v122, v34
	s_set_gpr_idx_off
	s_add_i32 s16, s8, -4
	s_set_gpr_idx_on s15, gpr_idx(SRC0)
	v_mov_b32_e32 v123, v34
	s_set_gpr_idx_off
	;; [unrolled: 4-line block ×4, first 2 shown]
	ds_read2_b64 v[117:120], v110 offset0:2 offset1:3
	s_add_i32 s19, s8, -1
	s_waitcnt lgkmcnt(1)
	v_fmac_f32_e32 v109, v121, v113
	s_set_gpr_idx_on s18, gpr_idx(SRC0)
	v_mov_b32_e32 v113, v34
	s_set_gpr_idx_off
	v_fmac_f32_e32 v109, v122, v114
	s_set_gpr_idx_on s19, gpr_idx(SRC0)
	v_mov_b32_e32 v114, v34
	s_set_gpr_idx_off
	;; [unrolled: 4-line block ×3, first 2 shown]
	v_fmac_f32_e32 v109, v124, v116
	s_add_u32 s8, s8, 8
	s_waitcnt lgkmcnt(0)
	v_fmac_f32_e32 v109, v125, v117
	v_add_u32_e32 v110, s8, v112
	v_fmac_f32_e32 v109, v113, v118
	s_addc_u32 s9, s9, 0
	s_add_i32 s12, s12, 32
	s_add_i32 s13, s8, -7
	v_cmp_eq_u32_e32 vcc, 17, v110
	v_fmac_f32_e32 v109, v114, v119
	v_mov_b32_e32 v110, s13
	s_or_b64 s[10:11], vcc, s[10:11]
	v_fmac_f32_e32 v109, v115, v120
	s_andn2_b64 exec, exec, s[10:11]
	s_cbranch_execnz .LBB84_153
; %bb.154:
	s_or_b64 exec, exec, s[10:11]
.LBB84_155:
	s_or_b64 exec, exec, s[0:1]
	v_and_b32_e32 v55, 7, v111
	v_cmp_ne_u32_e32 vcc, 0, v55
	s_and_saveexec_b64 s[8:9], vcc
	s_cbranch_execz .LBB84_159
; %bb.156:
	v_mov_b32_e32 v56, 0x60
	v_lshl_add_u32 v56, v110, 2, v56
	v_mov_b32_e32 v57, 0
	s_mov_b64 s[10:11], 0
.LBB84_157:                             ; =>This Inner Loop Header: Depth=1
	v_cmp_eq_u32_e32 vcc, 1, v110
	v_cndmask_b32_e32 v58, v34, v35, vcc
	v_add_u32_e32 v55, -1, v55
	v_cmp_eq_u32_e32 vcc, 2, v110
	v_cndmask_b32_e32 v58, v58, v36, vcc
	v_cmp_eq_u32_e32 vcc, 0, v55
	v_cmp_eq_u32_e64 s[0:1], 3, v110
	v_cndmask_b32_e64 v58, v58, v37, s[0:1]
	s_or_b64 s[10:11], vcc, s[10:11]
	v_cmp_eq_u32_e32 vcc, 4, v110
	v_cndmask_b32_e32 v58, v58, v38, vcc
	v_cmp_eq_u32_e32 vcc, 5, v110
	v_cndmask_b32_e32 v58, v58, v39, vcc
	;; [unrolled: 2-line block ×12, first 2 shown]
	v_cmp_eq_u32_e32 vcc, 16, v110
	ds_read_b32 v59, v56
	v_cndmask_b32_e32 v58, v58, v50, vcc
	v_cmp_eq_u32_e32 vcc, 17, v110
	v_cndmask_b32_e32 v58, v58, v51, vcc
	v_cmp_eq_u32_e32 vcc, 18, v110
	;; [unrolled: 2-line block ×4, first 2 shown]
	v_add_co_u32_e64 v110, s[0:1], 1, v110
	v_cndmask_b32_e32 v58, v58, v54, vcc
	v_add_u32_e32 v56, 4, v56
	v_addc_co_u32_e64 v57, s[0:1], 0, v57, s[0:1]
	s_waitcnt lgkmcnt(0)
	v_fmac_f32_e32 v109, v58, v59
	s_andn2_b64 exec, exec, s[10:11]
	s_cbranch_execnz .LBB84_157
; %bb.158:
	s_or_b64 exec, exec, s[10:11]
.LBB84_159:
	s_or_b64 exec, exec, s[8:9]
.LBB84_160:
	s_or_b64 exec, exec, s[6:7]
	v_mov_b32_e32 v43, 0
	ds_read_b32 v43, v43 offset:36
	s_waitcnt lgkmcnt(0)
	v_mul_f32_e32 v43, v109, v43
.LBB84_161:
	s_or_b64 exec, exec, s[4:5]
	v_cmp_lt_u32_e64 s[0:1], 8, v0
	ds_write_b32 v108, v42
	s_waitcnt lgkmcnt(0)
	; wave barrier
	s_and_saveexec_b64 s[4:5], s[0:1]
	s_cbranch_execz .LBB84_177
; %bb.162:
	s_andn2_b64 vcc, exec, s[46:47]
	s_cbranch_vccnz .LBB84_164
; %bb.163:
	v_cmp_eq_u32_e32 vcc, 1, v0
	v_cndmask_b32_e32 v109, v34, v35, vcc
	v_cmp_eq_u32_e32 vcc, 2, v0
	v_cndmask_b32_e32 v109, v109, v36, vcc
	;; [unrolled: 2-line block ×16, first 2 shown]
	v_cmp_eq_u32_e32 vcc, 17, v0
	ds_read_b32 v110, v108
	v_cndmask_b32_e32 v109, v109, v51, vcc
	v_cmp_eq_u32_e32 vcc, 18, v0
	v_cndmask_b32_e32 v109, v109, v52, vcc
	v_cmp_eq_u32_e32 vcc, 19, v0
	;; [unrolled: 2-line block ×3, first 2 shown]
	v_cndmask_b32_e32 v109, v109, v54, vcc
	s_waitcnt lgkmcnt(0)
	v_mul_f32_e32 v109, v109, v110
	s_cbranch_execz .LBB84_165
	s_branch .LBB84_166
.LBB84_164:
                                        ; implicit-def: $vgpr109
.LBB84_165:
	ds_read_b32 v109, v108
.LBB84_166:
	s_and_saveexec_b64 s[6:7], s[2:3]
	s_cbranch_execz .LBB84_176
; %bb.167:
	v_add_u32_e32 v110, -10, v0
	v_add_u32_e32 v111, -9, v0
	v_cmp_lt_u32_e32 vcc, 6, v110
	v_mov_b32_e32 v110, 9
	s_and_saveexec_b64 s[2:3], vcc
	s_cbranch_execz .LBB84_171
; %bb.168:
	v_and_b32_e32 v110, -8, v111
	v_sub_u32_e32 v112, 0, v110
	s_mov_b64 s[8:9], 16
	s_movk_i32 s12, 0x84
	s_mov_b64 s[10:11], 0
.LBB84_169:                             ; =>This Inner Loop Header: Depth=1
	s_add_i32 s13, s8, -7
	v_mov_b32_e32 v110, s12
	s_add_i32 s14, s8, -6
	s_set_gpr_idx_on s13, gpr_idx(SRC0)
	v_mov_b32_e32 v119, v34
	s_set_gpr_idx_off
	ds_read2_b32 v[113:114], v110 offset1:1
	s_add_i32 s15, s8, -5
	s_set_gpr_idx_on s14, gpr_idx(SRC0)
	v_mov_b32_e32 v120, v34
	s_set_gpr_idx_off
	s_add_i32 s16, s8, -4
	s_set_gpr_idx_on s15, gpr_idx(SRC0)
	v_mov_b32_e32 v121, v34
	s_set_gpr_idx_off
	ds_read2_b32 v[115:116], v110 offset0:2 offset1:3
	s_add_i32 s17, s8, -3
	s_set_gpr_idx_on s16, gpr_idx(SRC0)
	v_mov_b32_e32 v122, v34
	s_set_gpr_idx_off
	s_add_i32 s18, s8, -2
	s_set_gpr_idx_on s17, gpr_idx(SRC0)
	v_mov_b32_e32 v123, v34
	s_set_gpr_idx_off
	ds_read2_b32 v[117:118], v110 offset0:4 offset1:5
	s_add_i32 s19, s8, -1
	s_waitcnt lgkmcnt(2)
	v_fmac_f32_e32 v109, v119, v113
	s_set_gpr_idx_on s18, gpr_idx(SRC0)
	v_mov_b32_e32 v119, v34
	s_set_gpr_idx_off
	v_fmac_f32_e32 v109, v120, v114
	s_set_gpr_idx_on s19, gpr_idx(SRC0)
	v_mov_b32_e32 v120, v34
	s_set_gpr_idx_off
	ds_read2_b32 v[113:114], v110 offset0:6 offset1:7
	s_waitcnt lgkmcnt(2)
	v_fmac_f32_e32 v109, v121, v115
	s_set_gpr_idx_on s8, gpr_idx(SRC0)
	v_mov_b32_e32 v115, v34
	s_set_gpr_idx_off
	v_fmac_f32_e32 v109, v122, v116
	s_add_u32 s8, s8, 8
	s_waitcnt lgkmcnt(1)
	v_fmac_f32_e32 v109, v123, v117
	v_add_u32_e32 v110, s8, v112
	v_fmac_f32_e32 v109, v119, v118
	s_addc_u32 s9, s9, 0
	s_add_i32 s12, s12, 32
	s_add_i32 s13, s8, -7
	v_cmp_eq_u32_e32 vcc, 16, v110
	s_waitcnt lgkmcnt(0)
	v_fmac_f32_e32 v109, v120, v113
	v_mov_b32_e32 v110, s13
	s_or_b64 s[10:11], vcc, s[10:11]
	v_fmac_f32_e32 v109, v115, v114
	s_andn2_b64 exec, exec, s[10:11]
	s_cbranch_execnz .LBB84_169
; %bb.170:
	s_or_b64 exec, exec, s[10:11]
.LBB84_171:
	s_or_b64 exec, exec, s[2:3]
	v_and_b32_e32 v55, 7, v111
	v_cmp_ne_u32_e32 vcc, 0, v55
	s_and_saveexec_b64 s[8:9], vcc
	s_cbranch_execz .LBB84_175
; %bb.172:
	v_mov_b32_e32 v56, 0x60
	v_lshl_add_u32 v56, v110, 2, v56
	v_mov_b32_e32 v57, 0
	s_mov_b64 s[10:11], 0
.LBB84_173:                             ; =>This Inner Loop Header: Depth=1
	v_cmp_eq_u32_e32 vcc, 1, v110
	v_cndmask_b32_e32 v58, v34, v35, vcc
	v_add_u32_e32 v55, -1, v55
	v_cmp_eq_u32_e32 vcc, 2, v110
	v_cndmask_b32_e32 v58, v58, v36, vcc
	v_cmp_eq_u32_e32 vcc, 0, v55
	v_cmp_eq_u32_e64 s[2:3], 3, v110
	v_cndmask_b32_e64 v58, v58, v37, s[2:3]
	s_or_b64 s[10:11], vcc, s[10:11]
	v_cmp_eq_u32_e32 vcc, 4, v110
	v_cndmask_b32_e32 v58, v58, v38, vcc
	v_cmp_eq_u32_e32 vcc, 5, v110
	v_cndmask_b32_e32 v58, v58, v39, vcc
	;; [unrolled: 2-line block ×12, first 2 shown]
	v_cmp_eq_u32_e32 vcc, 16, v110
	ds_read_b32 v59, v56
	v_cndmask_b32_e32 v58, v58, v50, vcc
	v_cmp_eq_u32_e32 vcc, 17, v110
	v_cndmask_b32_e32 v58, v58, v51, vcc
	v_cmp_eq_u32_e32 vcc, 18, v110
	;; [unrolled: 2-line block ×4, first 2 shown]
	v_add_co_u32_e64 v110, s[2:3], 1, v110
	v_cndmask_b32_e32 v58, v58, v54, vcc
	v_add_u32_e32 v56, 4, v56
	v_addc_co_u32_e64 v57, s[2:3], 0, v57, s[2:3]
	s_waitcnt lgkmcnt(0)
	v_fmac_f32_e32 v109, v58, v59
	s_andn2_b64 exec, exec, s[10:11]
	s_cbranch_execnz .LBB84_173
; %bb.174:
	s_or_b64 exec, exec, s[10:11]
.LBB84_175:
	s_or_b64 exec, exec, s[8:9]
.LBB84_176:
	s_or_b64 exec, exec, s[6:7]
	v_mov_b32_e32 v42, 0
	ds_read_b32 v42, v42 offset:32
	s_waitcnt lgkmcnt(0)
	v_mul_f32_e32 v42, v109, v42
.LBB84_177:
	s_or_b64 exec, exec, s[4:5]
	v_cmp_lt_u32_e64 s[2:3], 7, v0
	ds_write_b32 v108, v41
	s_waitcnt lgkmcnt(0)
	; wave barrier
	s_and_saveexec_b64 s[4:5], s[2:3]
	s_cbranch_execz .LBB84_193
; %bb.178:
	s_andn2_b64 vcc, exec, s[46:47]
	s_cbranch_vccnz .LBB84_180
; %bb.179:
	v_cmp_eq_u32_e32 vcc, 1, v0
	v_cndmask_b32_e32 v109, v34, v35, vcc
	v_cmp_eq_u32_e32 vcc, 2, v0
	v_cndmask_b32_e32 v109, v109, v36, vcc
	v_cmp_eq_u32_e32 vcc, 3, v0
	v_cndmask_b32_e32 v109, v109, v37, vcc
	v_cmp_eq_u32_e32 vcc, 4, v0
	v_cndmask_b32_e32 v109, v109, v38, vcc
	v_cmp_eq_u32_e32 vcc, 5, v0
	v_cndmask_b32_e32 v109, v109, v39, vcc
	v_cmp_eq_u32_e32 vcc, 6, v0
	v_cndmask_b32_e32 v109, v109, v40, vcc
	v_cmp_eq_u32_e32 vcc, 7, v0
	v_cndmask_b32_e32 v109, v109, v41, vcc
	v_cmp_eq_u32_e32 vcc, 8, v0
	v_cndmask_b32_e32 v109, v109, v42, vcc
	v_cmp_eq_u32_e32 vcc, 9, v0
	v_cndmask_b32_e32 v109, v109, v43, vcc
	v_cmp_eq_u32_e32 vcc, 10, v0
	v_cndmask_b32_e32 v109, v109, v44, vcc
	v_cmp_eq_u32_e32 vcc, 11, v0
	v_cndmask_b32_e32 v109, v109, v45, vcc
	v_cmp_eq_u32_e32 vcc, 12, v0
	v_cndmask_b32_e32 v109, v109, v46, vcc
	v_cmp_eq_u32_e32 vcc, 13, v0
	v_cndmask_b32_e32 v109, v109, v47, vcc
	v_cmp_eq_u32_e32 vcc, 14, v0
	v_cndmask_b32_e32 v109, v109, v48, vcc
	v_cmp_eq_u32_e32 vcc, 15, v0
	v_cndmask_b32_e32 v109, v109, v49, vcc
	v_cmp_eq_u32_e32 vcc, 16, v0
	v_cndmask_b32_e32 v109, v109, v50, vcc
	v_cmp_eq_u32_e32 vcc, 17, v0
	ds_read_b32 v110, v108
	v_cndmask_b32_e32 v109, v109, v51, vcc
	v_cmp_eq_u32_e32 vcc, 18, v0
	v_cndmask_b32_e32 v109, v109, v52, vcc
	v_cmp_eq_u32_e32 vcc, 19, v0
	;; [unrolled: 2-line block ×3, first 2 shown]
	v_cndmask_b32_e32 v109, v109, v54, vcc
	s_waitcnt lgkmcnt(0)
	v_mul_f32_e32 v109, v109, v110
	s_cbranch_execz .LBB84_181
	s_branch .LBB84_182
.LBB84_180:
                                        ; implicit-def: $vgpr109
.LBB84_181:
	ds_read_b32 v109, v108
.LBB84_182:
	s_and_saveexec_b64 s[6:7], s[0:1]
	s_cbranch_execz .LBB84_192
; %bb.183:
	v_add_u32_e32 v110, -9, v0
	v_cmp_lt_u32_e32 vcc, 6, v110
	v_mov_b32_e32 v110, 8
	s_and_saveexec_b64 s[0:1], vcc
	s_cbranch_execz .LBB84_187
; %bb.184:
	v_and_b32_e32 v110, 24, v0
	v_sub_u32_e32 v111, 0, v110
	s_mov_b64 s[8:9], 15
	s_movk_i32 s12, 0x80
	s_mov_b64 s[10:11], 0
.LBB84_185:                             ; =>This Inner Loop Header: Depth=1
	s_add_i32 s13, s8, -7
	v_mov_b32_e32 v110, s12
	s_add_i32 s14, s8, -6
	s_set_gpr_idx_on s13, gpr_idx(SRC0)
	v_mov_b32_e32 v120, v34
	s_set_gpr_idx_off
	s_add_i32 s15, s8, -5
	ds_read_b128 v[112:115], v110
	ds_read_b128 v[116:119], v110 offset:16
	s_set_gpr_idx_on s14, gpr_idx(SRC0)
	v_mov_b32_e32 v110, v34
	s_set_gpr_idx_off
	s_add_i32 s16, s8, -4
	s_set_gpr_idx_on s15, gpr_idx(SRC0)
	v_mov_b32_e32 v121, v34
	s_set_gpr_idx_off
	s_add_i32 s17, s8, -3
	;; [unrolled: 4-line block ×4, first 2 shown]
	s_waitcnt lgkmcnt(1)
	v_fmac_f32_e32 v109, v120, v112
	s_set_gpr_idx_on s18, gpr_idx(SRC0)
	v_mov_b32_e32 v112, v34
	s_set_gpr_idx_off
	v_fmac_f32_e32 v109, v110, v113
	s_set_gpr_idx_on s19, gpr_idx(SRC0)
	v_mov_b32_e32 v113, v34
	s_set_gpr_idx_off
	;; [unrolled: 4-line block ×3, first 2 shown]
	v_fmac_f32_e32 v109, v122, v115
	s_add_u32 s8, s8, 8
	s_waitcnt lgkmcnt(0)
	v_fmac_f32_e32 v109, v123, v116
	v_add_u32_e32 v110, s8, v111
	v_fmac_f32_e32 v109, v112, v117
	s_addc_u32 s9, s9, 0
	s_add_i32 s12, s12, 32
	s_add_i32 s13, s8, -7
	v_cmp_eq_u32_e32 vcc, 7, v110
	v_fmac_f32_e32 v109, v113, v118
	v_mov_b32_e32 v110, s13
	s_or_b64 s[10:11], vcc, s[10:11]
	v_fmac_f32_e32 v109, v114, v119
	s_andn2_b64 exec, exec, s[10:11]
	s_cbranch_execnz .LBB84_185
; %bb.186:
	s_or_b64 exec, exec, s[10:11]
.LBB84_187:
	s_or_b64 exec, exec, s[0:1]
	v_and_b32_e32 v55, 7, v0
	v_cmp_ne_u32_e32 vcc, 0, v55
	s_and_saveexec_b64 s[8:9], vcc
	s_cbranch_execz .LBB84_191
; %bb.188:
	v_mov_b32_e32 v56, 0x60
	v_lshl_add_u32 v56, v110, 2, v56
	v_mov_b32_e32 v57, 0
	s_mov_b64 s[10:11], 0
.LBB84_189:                             ; =>This Inner Loop Header: Depth=1
	v_cmp_eq_u32_e32 vcc, 1, v110
	v_cndmask_b32_e32 v58, v34, v35, vcc
	v_add_u32_e32 v55, -1, v55
	v_cmp_eq_u32_e32 vcc, 2, v110
	v_cndmask_b32_e32 v58, v58, v36, vcc
	v_cmp_eq_u32_e32 vcc, 0, v55
	v_cmp_eq_u32_e64 s[0:1], 3, v110
	v_cndmask_b32_e64 v58, v58, v37, s[0:1]
	s_or_b64 s[10:11], vcc, s[10:11]
	v_cmp_eq_u32_e32 vcc, 4, v110
	v_cndmask_b32_e32 v58, v58, v38, vcc
	v_cmp_eq_u32_e32 vcc, 5, v110
	v_cndmask_b32_e32 v58, v58, v39, vcc
	;; [unrolled: 2-line block ×12, first 2 shown]
	v_cmp_eq_u32_e32 vcc, 16, v110
	ds_read_b32 v59, v56
	v_cndmask_b32_e32 v58, v58, v50, vcc
	v_cmp_eq_u32_e32 vcc, 17, v110
	v_cndmask_b32_e32 v58, v58, v51, vcc
	v_cmp_eq_u32_e32 vcc, 18, v110
	v_cndmask_b32_e32 v58, v58, v52, vcc
	v_cmp_eq_u32_e32 vcc, 19, v110
	v_cndmask_b32_e32 v58, v58, v53, vcc
	v_cmp_eq_u32_e32 vcc, 20, v110
	v_add_co_u32_e64 v110, s[0:1], 1, v110
	v_cndmask_b32_e32 v58, v58, v54, vcc
	v_add_u32_e32 v56, 4, v56
	v_addc_co_u32_e64 v57, s[0:1], 0, v57, s[0:1]
	s_waitcnt lgkmcnt(0)
	v_fmac_f32_e32 v109, v58, v59
	s_andn2_b64 exec, exec, s[10:11]
	s_cbranch_execnz .LBB84_189
; %bb.190:
	s_or_b64 exec, exec, s[10:11]
.LBB84_191:
	s_or_b64 exec, exec, s[8:9]
.LBB84_192:
	s_or_b64 exec, exec, s[6:7]
	v_mov_b32_e32 v41, 0
	ds_read_b32 v41, v41 offset:28
	s_waitcnt lgkmcnt(0)
	v_mul_f32_e32 v41, v109, v41
.LBB84_193:
	s_or_b64 exec, exec, s[4:5]
	v_cmp_lt_u32_e64 s[0:1], 6, v0
	ds_write_b32 v108, v40
	s_waitcnt lgkmcnt(0)
	; wave barrier
	s_and_saveexec_b64 s[4:5], s[0:1]
	s_cbranch_execz .LBB84_209
; %bb.194:
	s_andn2_b64 vcc, exec, s[46:47]
	s_cbranch_vccnz .LBB84_196
; %bb.195:
	v_cmp_eq_u32_e32 vcc, 1, v0
	v_cndmask_b32_e32 v109, v34, v35, vcc
	v_cmp_eq_u32_e32 vcc, 2, v0
	v_cndmask_b32_e32 v109, v109, v36, vcc
	;; [unrolled: 2-line block ×16, first 2 shown]
	v_cmp_eq_u32_e32 vcc, 17, v0
	ds_read_b32 v110, v108
	v_cndmask_b32_e32 v109, v109, v51, vcc
	v_cmp_eq_u32_e32 vcc, 18, v0
	v_cndmask_b32_e32 v109, v109, v52, vcc
	v_cmp_eq_u32_e32 vcc, 19, v0
	;; [unrolled: 2-line block ×3, first 2 shown]
	v_cndmask_b32_e32 v109, v109, v54, vcc
	s_waitcnt lgkmcnt(0)
	v_mul_f32_e32 v109, v109, v110
	s_cbranch_execz .LBB84_197
	s_branch .LBB84_198
.LBB84_196:
                                        ; implicit-def: $vgpr109
.LBB84_197:
	ds_read_b32 v109, v108
.LBB84_198:
	s_and_saveexec_b64 s[6:7], s[2:3]
	s_cbranch_execz .LBB84_208
; %bb.199:
	v_add_u32_e32 v110, -8, v0
	v_add_u32_e32 v111, -7, v0
	v_cmp_lt_u32_e32 vcc, 6, v110
	v_mov_b32_e32 v110, 7
	s_and_saveexec_b64 s[2:3], vcc
	s_cbranch_execz .LBB84_203
; %bb.200:
	v_and_b32_e32 v110, -8, v111
	v_sub_u32_e32 v112, 0, v110
	s_mov_b64 s[8:9], 14
	s_movk_i32 s12, 0x7c
	s_mov_b64 s[10:11], 0
.LBB84_201:                             ; =>This Inner Loop Header: Depth=1
	s_add_i32 s13, s8, -7
	v_mov_b32_e32 v110, s12
	s_add_i32 s14, s8, -6
	s_set_gpr_idx_on s13, gpr_idx(SRC0)
	v_mov_b32_e32 v119, v34
	s_set_gpr_idx_off
	ds_read2_b32 v[113:114], v110 offset1:1
	s_add_i32 s15, s8, -5
	s_set_gpr_idx_on s14, gpr_idx(SRC0)
	v_mov_b32_e32 v120, v34
	s_set_gpr_idx_off
	s_add_i32 s16, s8, -4
	s_set_gpr_idx_on s15, gpr_idx(SRC0)
	v_mov_b32_e32 v121, v34
	s_set_gpr_idx_off
	ds_read2_b32 v[115:116], v110 offset0:2 offset1:3
	s_add_i32 s17, s8, -3
	s_set_gpr_idx_on s16, gpr_idx(SRC0)
	v_mov_b32_e32 v122, v34
	s_set_gpr_idx_off
	s_add_i32 s18, s8, -2
	s_set_gpr_idx_on s17, gpr_idx(SRC0)
	v_mov_b32_e32 v123, v34
	s_set_gpr_idx_off
	ds_read2_b32 v[117:118], v110 offset0:4 offset1:5
	s_add_i32 s19, s8, -1
	s_waitcnt lgkmcnt(2)
	v_fmac_f32_e32 v109, v119, v113
	s_set_gpr_idx_on s18, gpr_idx(SRC0)
	v_mov_b32_e32 v119, v34
	s_set_gpr_idx_off
	v_fmac_f32_e32 v109, v120, v114
	s_set_gpr_idx_on s19, gpr_idx(SRC0)
	v_mov_b32_e32 v120, v34
	s_set_gpr_idx_off
	ds_read2_b32 v[113:114], v110 offset0:6 offset1:7
	s_waitcnt lgkmcnt(2)
	v_fmac_f32_e32 v109, v121, v115
	s_set_gpr_idx_on s8, gpr_idx(SRC0)
	v_mov_b32_e32 v115, v34
	s_set_gpr_idx_off
	v_fmac_f32_e32 v109, v122, v116
	s_add_u32 s8, s8, 8
	s_waitcnt lgkmcnt(1)
	v_fmac_f32_e32 v109, v123, v117
	v_add_u32_e32 v110, s8, v112
	v_fmac_f32_e32 v109, v119, v118
	s_addc_u32 s9, s9, 0
	s_add_i32 s12, s12, 32
	s_add_i32 s13, s8, -7
	v_cmp_eq_u32_e32 vcc, 14, v110
	s_waitcnt lgkmcnt(0)
	v_fmac_f32_e32 v109, v120, v113
	v_mov_b32_e32 v110, s13
	s_or_b64 s[10:11], vcc, s[10:11]
	v_fmac_f32_e32 v109, v115, v114
	s_andn2_b64 exec, exec, s[10:11]
	s_cbranch_execnz .LBB84_201
; %bb.202:
	s_or_b64 exec, exec, s[10:11]
.LBB84_203:
	s_or_b64 exec, exec, s[2:3]
	v_and_b32_e32 v55, 7, v111
	v_cmp_ne_u32_e32 vcc, 0, v55
	s_and_saveexec_b64 s[8:9], vcc
	s_cbranch_execz .LBB84_207
; %bb.204:
	v_mov_b32_e32 v56, 0x60
	v_lshl_add_u32 v56, v110, 2, v56
	v_mov_b32_e32 v57, 0
	s_mov_b64 s[10:11], 0
.LBB84_205:                             ; =>This Inner Loop Header: Depth=1
	v_cmp_eq_u32_e32 vcc, 1, v110
	v_cndmask_b32_e32 v58, v34, v35, vcc
	v_add_u32_e32 v55, -1, v55
	v_cmp_eq_u32_e32 vcc, 2, v110
	v_cndmask_b32_e32 v58, v58, v36, vcc
	v_cmp_eq_u32_e32 vcc, 0, v55
	v_cmp_eq_u32_e64 s[2:3], 3, v110
	v_cndmask_b32_e64 v58, v58, v37, s[2:3]
	s_or_b64 s[10:11], vcc, s[10:11]
	v_cmp_eq_u32_e32 vcc, 4, v110
	v_cndmask_b32_e32 v58, v58, v38, vcc
	v_cmp_eq_u32_e32 vcc, 5, v110
	v_cndmask_b32_e32 v58, v58, v39, vcc
	v_cmp_eq_u32_e32 vcc, 6, v110
	v_cndmask_b32_e32 v58, v58, v40, vcc
	v_cmp_eq_u32_e32 vcc, 7, v110
	v_cndmask_b32_e32 v58, v58, v41, vcc
	v_cmp_eq_u32_e32 vcc, 8, v110
	v_cndmask_b32_e32 v58, v58, v42, vcc
	v_cmp_eq_u32_e32 vcc, 9, v110
	v_cndmask_b32_e32 v58, v58, v43, vcc
	v_cmp_eq_u32_e32 vcc, 10, v110
	v_cndmask_b32_e32 v58, v58, v44, vcc
	v_cmp_eq_u32_e32 vcc, 11, v110
	v_cndmask_b32_e32 v58, v58, v45, vcc
	v_cmp_eq_u32_e32 vcc, 12, v110
	v_cndmask_b32_e32 v58, v58, v46, vcc
	v_cmp_eq_u32_e32 vcc, 13, v110
	v_cndmask_b32_e32 v58, v58, v47, vcc
	v_cmp_eq_u32_e32 vcc, 14, v110
	v_cndmask_b32_e32 v58, v58, v48, vcc
	v_cmp_eq_u32_e32 vcc, 15, v110
	v_cndmask_b32_e32 v58, v58, v49, vcc
	v_cmp_eq_u32_e32 vcc, 16, v110
	ds_read_b32 v59, v56
	v_cndmask_b32_e32 v58, v58, v50, vcc
	v_cmp_eq_u32_e32 vcc, 17, v110
	v_cndmask_b32_e32 v58, v58, v51, vcc
	v_cmp_eq_u32_e32 vcc, 18, v110
	;; [unrolled: 2-line block ×4, first 2 shown]
	v_add_co_u32_e64 v110, s[2:3], 1, v110
	v_cndmask_b32_e32 v58, v58, v54, vcc
	v_add_u32_e32 v56, 4, v56
	v_addc_co_u32_e64 v57, s[2:3], 0, v57, s[2:3]
	s_waitcnt lgkmcnt(0)
	v_fmac_f32_e32 v109, v58, v59
	s_andn2_b64 exec, exec, s[10:11]
	s_cbranch_execnz .LBB84_205
; %bb.206:
	s_or_b64 exec, exec, s[10:11]
.LBB84_207:
	s_or_b64 exec, exec, s[8:9]
.LBB84_208:
	s_or_b64 exec, exec, s[6:7]
	v_mov_b32_e32 v40, 0
	ds_read_b32 v40, v40 offset:24
	s_waitcnt lgkmcnt(0)
	v_mul_f32_e32 v40, v109, v40
.LBB84_209:
	s_or_b64 exec, exec, s[4:5]
	v_cmp_lt_u32_e64 s[2:3], 5, v0
	ds_write_b32 v108, v39
	s_waitcnt lgkmcnt(0)
	; wave barrier
	s_and_saveexec_b64 s[4:5], s[2:3]
	s_cbranch_execz .LBB84_225
; %bb.210:
	s_andn2_b64 vcc, exec, s[46:47]
	s_cbranch_vccnz .LBB84_212
; %bb.211:
	v_cmp_eq_u32_e32 vcc, 1, v0
	v_cndmask_b32_e32 v109, v34, v35, vcc
	v_cmp_eq_u32_e32 vcc, 2, v0
	v_cndmask_b32_e32 v109, v109, v36, vcc
	;; [unrolled: 2-line block ×16, first 2 shown]
	v_cmp_eq_u32_e32 vcc, 17, v0
	ds_read_b32 v110, v108
	v_cndmask_b32_e32 v109, v109, v51, vcc
	v_cmp_eq_u32_e32 vcc, 18, v0
	v_cndmask_b32_e32 v109, v109, v52, vcc
	v_cmp_eq_u32_e32 vcc, 19, v0
	;; [unrolled: 2-line block ×3, first 2 shown]
	v_cndmask_b32_e32 v109, v109, v54, vcc
	s_waitcnt lgkmcnt(0)
	v_mul_f32_e32 v109, v109, v110
	s_cbranch_execz .LBB84_213
	s_branch .LBB84_214
.LBB84_212:
                                        ; implicit-def: $vgpr109
.LBB84_213:
	ds_read_b32 v109, v108
.LBB84_214:
	s_and_saveexec_b64 s[6:7], s[0:1]
	s_cbranch_execz .LBB84_224
; %bb.215:
	v_add_u32_e32 v112, -7, v0
	v_add_u32_e32 v111, -6, v0
	v_mov_b32_e32 v110, 6
	v_cmp_lt_u32_e32 vcc, 6, v112
	s_and_saveexec_b64 s[0:1], vcc
	s_cbranch_execz .LBB84_219
; %bb.216:
	v_and_b32_e32 v110, -8, v111
	v_sub_u32_e32 v112, 0, v110
	s_mov_b64 s[8:9], 13
	s_movk_i32 s12, 0x78
	s_mov_b64 s[10:11], 0
.LBB84_217:                             ; =>This Inner Loop Header: Depth=1
	s_add_i32 s13, s8, -7
	v_mov_b32_e32 v110, s12
	s_add_i32 s14, s8, -6
	s_set_gpr_idx_on s13, gpr_idx(SRC0)
	v_mov_b32_e32 v121, v34
	s_set_gpr_idx_off
	ds_read2_b64 v[113:116], v110 offset1:1
	s_add_i32 s15, s8, -5
	s_set_gpr_idx_on s14, gpr_idx(SRC0)
	v_mov_b32_e32 v122, v34
	s_set_gpr_idx_off
	s_add_i32 s16, s8, -4
	s_set_gpr_idx_on s15, gpr_idx(SRC0)
	v_mov_b32_e32 v123, v34
	s_set_gpr_idx_off
	;; [unrolled: 4-line block ×4, first 2 shown]
	ds_read2_b64 v[117:120], v110 offset0:2 offset1:3
	s_add_i32 s19, s8, -1
	s_waitcnt lgkmcnt(1)
	v_fmac_f32_e32 v109, v121, v113
	s_set_gpr_idx_on s18, gpr_idx(SRC0)
	v_mov_b32_e32 v113, v34
	s_set_gpr_idx_off
	v_fmac_f32_e32 v109, v122, v114
	s_set_gpr_idx_on s19, gpr_idx(SRC0)
	v_mov_b32_e32 v114, v34
	s_set_gpr_idx_off
	;; [unrolled: 4-line block ×3, first 2 shown]
	v_fmac_f32_e32 v109, v124, v116
	s_add_u32 s8, s8, 8
	s_waitcnt lgkmcnt(0)
	v_fmac_f32_e32 v109, v125, v117
	v_add_u32_e32 v110, s8, v112
	v_fmac_f32_e32 v109, v113, v118
	s_addc_u32 s9, s9, 0
	s_add_i32 s12, s12, 32
	s_add_i32 s13, s8, -7
	v_cmp_eq_u32_e32 vcc, 13, v110
	v_fmac_f32_e32 v109, v114, v119
	v_mov_b32_e32 v110, s13
	s_or_b64 s[10:11], vcc, s[10:11]
	v_fmac_f32_e32 v109, v115, v120
	s_andn2_b64 exec, exec, s[10:11]
	s_cbranch_execnz .LBB84_217
; %bb.218:
	s_or_b64 exec, exec, s[10:11]
.LBB84_219:
	s_or_b64 exec, exec, s[0:1]
	v_and_b32_e32 v55, 7, v111
	v_cmp_ne_u32_e32 vcc, 0, v55
	s_and_saveexec_b64 s[8:9], vcc
	s_cbranch_execz .LBB84_223
; %bb.220:
	v_mov_b32_e32 v56, 0x60
	v_lshl_add_u32 v56, v110, 2, v56
	v_mov_b32_e32 v57, 0
	s_mov_b64 s[10:11], 0
.LBB84_221:                             ; =>This Inner Loop Header: Depth=1
	v_cmp_eq_u32_e32 vcc, 1, v110
	v_cndmask_b32_e32 v58, v34, v35, vcc
	v_add_u32_e32 v55, -1, v55
	v_cmp_eq_u32_e32 vcc, 2, v110
	v_cndmask_b32_e32 v58, v58, v36, vcc
	v_cmp_eq_u32_e32 vcc, 0, v55
	v_cmp_eq_u32_e64 s[0:1], 3, v110
	v_cndmask_b32_e64 v58, v58, v37, s[0:1]
	s_or_b64 s[10:11], vcc, s[10:11]
	v_cmp_eq_u32_e32 vcc, 4, v110
	v_cndmask_b32_e32 v58, v58, v38, vcc
	v_cmp_eq_u32_e32 vcc, 5, v110
	v_cndmask_b32_e32 v58, v58, v39, vcc
	v_cmp_eq_u32_e32 vcc, 6, v110
	v_cndmask_b32_e32 v58, v58, v40, vcc
	v_cmp_eq_u32_e32 vcc, 7, v110
	v_cndmask_b32_e32 v58, v58, v41, vcc
	v_cmp_eq_u32_e32 vcc, 8, v110
	v_cndmask_b32_e32 v58, v58, v42, vcc
	v_cmp_eq_u32_e32 vcc, 9, v110
	v_cndmask_b32_e32 v58, v58, v43, vcc
	v_cmp_eq_u32_e32 vcc, 10, v110
	v_cndmask_b32_e32 v58, v58, v44, vcc
	v_cmp_eq_u32_e32 vcc, 11, v110
	v_cndmask_b32_e32 v58, v58, v45, vcc
	v_cmp_eq_u32_e32 vcc, 12, v110
	v_cndmask_b32_e32 v58, v58, v46, vcc
	v_cmp_eq_u32_e32 vcc, 13, v110
	v_cndmask_b32_e32 v58, v58, v47, vcc
	v_cmp_eq_u32_e32 vcc, 14, v110
	v_cndmask_b32_e32 v58, v58, v48, vcc
	v_cmp_eq_u32_e32 vcc, 15, v110
	v_cndmask_b32_e32 v58, v58, v49, vcc
	v_cmp_eq_u32_e32 vcc, 16, v110
	ds_read_b32 v59, v56
	v_cndmask_b32_e32 v58, v58, v50, vcc
	v_cmp_eq_u32_e32 vcc, 17, v110
	v_cndmask_b32_e32 v58, v58, v51, vcc
	v_cmp_eq_u32_e32 vcc, 18, v110
	;; [unrolled: 2-line block ×4, first 2 shown]
	v_add_co_u32_e64 v110, s[0:1], 1, v110
	v_cndmask_b32_e32 v58, v58, v54, vcc
	v_add_u32_e32 v56, 4, v56
	v_addc_co_u32_e64 v57, s[0:1], 0, v57, s[0:1]
	s_waitcnt lgkmcnt(0)
	v_fmac_f32_e32 v109, v58, v59
	s_andn2_b64 exec, exec, s[10:11]
	s_cbranch_execnz .LBB84_221
; %bb.222:
	s_or_b64 exec, exec, s[10:11]
.LBB84_223:
	s_or_b64 exec, exec, s[8:9]
.LBB84_224:
	s_or_b64 exec, exec, s[6:7]
	v_mov_b32_e32 v39, 0
	ds_read_b32 v39, v39 offset:20
	s_waitcnt lgkmcnt(0)
	v_mul_f32_e32 v39, v109, v39
.LBB84_225:
	s_or_b64 exec, exec, s[4:5]
	v_cmp_lt_u32_e64 s[0:1], 4, v0
	ds_write_b32 v108, v38
	s_waitcnt lgkmcnt(0)
	; wave barrier
	s_and_saveexec_b64 s[4:5], s[0:1]
	s_cbranch_execz .LBB84_241
; %bb.226:
	s_andn2_b64 vcc, exec, s[46:47]
	s_cbranch_vccnz .LBB84_228
; %bb.227:
	v_cmp_eq_u32_e32 vcc, 1, v0
	v_cndmask_b32_e32 v109, v34, v35, vcc
	v_cmp_eq_u32_e32 vcc, 2, v0
	v_cndmask_b32_e32 v109, v109, v36, vcc
	;; [unrolled: 2-line block ×16, first 2 shown]
	v_cmp_eq_u32_e32 vcc, 17, v0
	ds_read_b32 v110, v108
	v_cndmask_b32_e32 v109, v109, v51, vcc
	v_cmp_eq_u32_e32 vcc, 18, v0
	v_cndmask_b32_e32 v109, v109, v52, vcc
	v_cmp_eq_u32_e32 vcc, 19, v0
	;; [unrolled: 2-line block ×3, first 2 shown]
	v_cndmask_b32_e32 v109, v109, v54, vcc
	s_waitcnt lgkmcnt(0)
	v_mul_f32_e32 v109, v109, v110
	s_cbranch_execz .LBB84_229
	s_branch .LBB84_230
.LBB84_228:
                                        ; implicit-def: $vgpr109
.LBB84_229:
	ds_read_b32 v109, v108
.LBB84_230:
	s_and_saveexec_b64 s[6:7], s[2:3]
	s_cbranch_execz .LBB84_240
; %bb.231:
	v_add_u32_e32 v110, -6, v0
	v_add_u32_e32 v111, -5, v0
	v_cmp_lt_u32_e32 vcc, 6, v110
	v_mov_b32_e32 v110, 5
	s_and_saveexec_b64 s[2:3], vcc
	s_cbranch_execz .LBB84_235
; %bb.232:
	v_and_b32_e32 v110, -8, v111
	v_sub_u32_e32 v112, 0, v110
	s_mov_b64 s[8:9], 12
	s_movk_i32 s12, 0x74
	s_mov_b64 s[10:11], 0
.LBB84_233:                             ; =>This Inner Loop Header: Depth=1
	s_add_i32 s13, s8, -7
	v_mov_b32_e32 v110, s12
	s_add_i32 s14, s8, -6
	s_set_gpr_idx_on s13, gpr_idx(SRC0)
	v_mov_b32_e32 v119, v34
	s_set_gpr_idx_off
	ds_read2_b32 v[113:114], v110 offset1:1
	s_add_i32 s15, s8, -5
	s_set_gpr_idx_on s14, gpr_idx(SRC0)
	v_mov_b32_e32 v120, v34
	s_set_gpr_idx_off
	s_add_i32 s16, s8, -4
	s_set_gpr_idx_on s15, gpr_idx(SRC0)
	v_mov_b32_e32 v121, v34
	s_set_gpr_idx_off
	ds_read2_b32 v[115:116], v110 offset0:2 offset1:3
	s_add_i32 s17, s8, -3
	s_set_gpr_idx_on s16, gpr_idx(SRC0)
	v_mov_b32_e32 v122, v34
	s_set_gpr_idx_off
	s_add_i32 s18, s8, -2
	s_set_gpr_idx_on s17, gpr_idx(SRC0)
	v_mov_b32_e32 v123, v34
	s_set_gpr_idx_off
	ds_read2_b32 v[117:118], v110 offset0:4 offset1:5
	s_add_i32 s19, s8, -1
	s_waitcnt lgkmcnt(2)
	v_fmac_f32_e32 v109, v119, v113
	s_set_gpr_idx_on s18, gpr_idx(SRC0)
	v_mov_b32_e32 v119, v34
	s_set_gpr_idx_off
	v_fmac_f32_e32 v109, v120, v114
	s_set_gpr_idx_on s19, gpr_idx(SRC0)
	v_mov_b32_e32 v120, v34
	s_set_gpr_idx_off
	ds_read2_b32 v[113:114], v110 offset0:6 offset1:7
	s_waitcnt lgkmcnt(2)
	v_fmac_f32_e32 v109, v121, v115
	s_set_gpr_idx_on s8, gpr_idx(SRC0)
	v_mov_b32_e32 v115, v34
	s_set_gpr_idx_off
	v_fmac_f32_e32 v109, v122, v116
	s_add_u32 s8, s8, 8
	s_waitcnt lgkmcnt(1)
	v_fmac_f32_e32 v109, v123, v117
	v_add_u32_e32 v110, s8, v112
	v_fmac_f32_e32 v109, v119, v118
	s_addc_u32 s9, s9, 0
	s_add_i32 s12, s12, 32
	s_add_i32 s13, s8, -7
	v_cmp_eq_u32_e32 vcc, 12, v110
	s_waitcnt lgkmcnt(0)
	v_fmac_f32_e32 v109, v120, v113
	v_mov_b32_e32 v110, s13
	s_or_b64 s[10:11], vcc, s[10:11]
	v_fmac_f32_e32 v109, v115, v114
	s_andn2_b64 exec, exec, s[10:11]
	s_cbranch_execnz .LBB84_233
; %bb.234:
	s_or_b64 exec, exec, s[10:11]
.LBB84_235:
	s_or_b64 exec, exec, s[2:3]
	v_and_b32_e32 v55, 7, v111
	v_cmp_ne_u32_e32 vcc, 0, v55
	s_and_saveexec_b64 s[8:9], vcc
	s_cbranch_execz .LBB84_239
; %bb.236:
	v_mov_b32_e32 v56, 0x60
	v_lshl_add_u32 v56, v110, 2, v56
	v_mov_b32_e32 v57, 0
	s_mov_b64 s[10:11], 0
.LBB84_237:                             ; =>This Inner Loop Header: Depth=1
	v_cmp_eq_u32_e32 vcc, 1, v110
	v_cndmask_b32_e32 v58, v34, v35, vcc
	v_add_u32_e32 v55, -1, v55
	v_cmp_eq_u32_e32 vcc, 2, v110
	v_cndmask_b32_e32 v58, v58, v36, vcc
	v_cmp_eq_u32_e32 vcc, 0, v55
	v_cmp_eq_u32_e64 s[2:3], 3, v110
	v_cndmask_b32_e64 v58, v58, v37, s[2:3]
	s_or_b64 s[10:11], vcc, s[10:11]
	v_cmp_eq_u32_e32 vcc, 4, v110
	v_cndmask_b32_e32 v58, v58, v38, vcc
	v_cmp_eq_u32_e32 vcc, 5, v110
	v_cndmask_b32_e32 v58, v58, v39, vcc
	;; [unrolled: 2-line block ×12, first 2 shown]
	v_cmp_eq_u32_e32 vcc, 16, v110
	ds_read_b32 v59, v56
	v_cndmask_b32_e32 v58, v58, v50, vcc
	v_cmp_eq_u32_e32 vcc, 17, v110
	v_cndmask_b32_e32 v58, v58, v51, vcc
	v_cmp_eq_u32_e32 vcc, 18, v110
	v_cndmask_b32_e32 v58, v58, v52, vcc
	v_cmp_eq_u32_e32 vcc, 19, v110
	v_cndmask_b32_e32 v58, v58, v53, vcc
	v_cmp_eq_u32_e32 vcc, 20, v110
	v_add_co_u32_e64 v110, s[2:3], 1, v110
	v_cndmask_b32_e32 v58, v58, v54, vcc
	v_add_u32_e32 v56, 4, v56
	v_addc_co_u32_e64 v57, s[2:3], 0, v57, s[2:3]
	s_waitcnt lgkmcnt(0)
	v_fmac_f32_e32 v109, v58, v59
	s_andn2_b64 exec, exec, s[10:11]
	s_cbranch_execnz .LBB84_237
; %bb.238:
	s_or_b64 exec, exec, s[10:11]
.LBB84_239:
	s_or_b64 exec, exec, s[8:9]
.LBB84_240:
	s_or_b64 exec, exec, s[6:7]
	v_mov_b32_e32 v38, 0
	ds_read_b32 v38, v38 offset:16
	s_waitcnt lgkmcnt(0)
	v_mul_f32_e32 v38, v109, v38
.LBB84_241:
	s_or_b64 exec, exec, s[4:5]
	v_cmp_lt_u32_e64 s[2:3], 3, v0
	ds_write_b32 v108, v37
	s_waitcnt lgkmcnt(0)
	; wave barrier
	s_and_saveexec_b64 s[4:5], s[2:3]
	s_cbranch_execz .LBB84_257
; %bb.242:
	s_andn2_b64 vcc, exec, s[46:47]
	s_cbranch_vccnz .LBB84_244
; %bb.243:
	v_cmp_eq_u32_e32 vcc, 1, v0
	v_cndmask_b32_e32 v109, v34, v35, vcc
	v_cmp_eq_u32_e32 vcc, 2, v0
	v_cndmask_b32_e32 v109, v109, v36, vcc
	;; [unrolled: 2-line block ×16, first 2 shown]
	v_cmp_eq_u32_e32 vcc, 17, v0
	ds_read_b32 v110, v108
	v_cndmask_b32_e32 v109, v109, v51, vcc
	v_cmp_eq_u32_e32 vcc, 18, v0
	v_cndmask_b32_e32 v109, v109, v52, vcc
	v_cmp_eq_u32_e32 vcc, 19, v0
	v_cndmask_b32_e32 v109, v109, v53, vcc
	v_cmp_eq_u32_e32 vcc, 20, v0
	v_cndmask_b32_e32 v109, v109, v54, vcc
	s_waitcnt lgkmcnt(0)
	v_mul_f32_e32 v109, v109, v110
	s_cbranch_execz .LBB84_245
	s_branch .LBB84_246
.LBB84_244:
                                        ; implicit-def: $vgpr109
.LBB84_245:
	ds_read_b32 v109, v108
.LBB84_246:
	s_and_saveexec_b64 s[6:7], s[0:1]
	s_cbranch_execz .LBB84_256
; %bb.247:
	v_add_u32_e32 v110, -5, v0
	v_add_u32_e32 v111, -4, v0
	v_cmp_lt_u32_e32 vcc, 6, v110
	v_mov_b32_e32 v110, 4
	s_and_saveexec_b64 s[0:1], vcc
	s_cbranch_execz .LBB84_251
; %bb.248:
	v_and_b32_e32 v110, -8, v111
	v_sub_u32_e32 v112, 0, v110
	s_mov_b64 s[8:9], 5
	s_movk_i32 s12, 0x70
	s_mov_b64 s[10:11], 0
.LBB84_249:                             ; =>This Inner Loop Header: Depth=1
	s_add_i32 s13, s8, -1
	v_mov_b32_e32 v110, s12
	s_set_gpr_idx_on s13, gpr_idx(SRC0)
	v_mov_b32_e32 v121, v34
	s_set_gpr_idx_off
	s_add_i32 s14, s8, 1
	ds_read_b128 v[113:116], v110
	ds_read_b128 v[117:120], v110 offset:16
	s_set_gpr_idx_on s8, gpr_idx(SRC0)
	v_mov_b32_e32 v122, v34
	s_set_gpr_idx_off
	s_add_i32 s15, s8, 2
	s_set_gpr_idx_on s14, gpr_idx(SRC0)
	v_mov_b32_e32 v123, v34
	s_set_gpr_idx_off
	s_add_i32 s16, s8, 3
	;; [unrolled: 4-line block ×4, first 2 shown]
	s_waitcnt lgkmcnt(1)
	v_fmac_f32_e32 v109, v121, v113
	s_set_gpr_idx_on s17, gpr_idx(SRC0)
	v_mov_b32_e32 v113, v34
	s_set_gpr_idx_off
	s_add_i32 s19, s8, 6
	v_fmac_f32_e32 v109, v122, v114
	s_set_gpr_idx_on s18, gpr_idx(SRC0)
	v_mov_b32_e32 v114, v34
	s_set_gpr_idx_off
	v_fmac_f32_e32 v109, v123, v115
	s_set_gpr_idx_on s19, gpr_idx(SRC0)
	v_mov_b32_e32 v115, v34
	s_set_gpr_idx_off
	v_fmac_f32_e32 v109, v124, v116
	s_add_u32 s8, s8, 8
	s_waitcnt lgkmcnt(0)
	v_fmac_f32_e32 v109, v125, v117
	v_add_u32_e32 v110, s8, v112
	v_fmac_f32_e32 v109, v113, v118
	s_addc_u32 s9, s9, 0
	s_add_i32 s12, s12, 32
	s_add_i32 s13, s8, -1
	v_cmp_eq_u32_e32 vcc, 5, v110
	v_fmac_f32_e32 v109, v114, v119
	v_mov_b32_e32 v110, s13
	s_or_b64 s[10:11], vcc, s[10:11]
	v_fmac_f32_e32 v109, v115, v120
	s_andn2_b64 exec, exec, s[10:11]
	s_cbranch_execnz .LBB84_249
; %bb.250:
	s_or_b64 exec, exec, s[10:11]
.LBB84_251:
	s_or_b64 exec, exec, s[0:1]
	v_and_b32_e32 v55, 7, v111
	v_cmp_ne_u32_e32 vcc, 0, v55
	s_and_saveexec_b64 s[8:9], vcc
	s_cbranch_execz .LBB84_255
; %bb.252:
	v_mov_b32_e32 v56, 0x60
	v_lshl_add_u32 v56, v110, 2, v56
	v_mov_b32_e32 v57, 0
	s_mov_b64 s[10:11], 0
.LBB84_253:                             ; =>This Inner Loop Header: Depth=1
	v_cmp_eq_u32_e32 vcc, 1, v110
	v_cndmask_b32_e32 v58, v34, v35, vcc
	v_add_u32_e32 v55, -1, v55
	v_cmp_eq_u32_e32 vcc, 2, v110
	v_cndmask_b32_e32 v58, v58, v36, vcc
	v_cmp_eq_u32_e32 vcc, 0, v55
	v_cmp_eq_u32_e64 s[0:1], 3, v110
	v_cndmask_b32_e64 v58, v58, v37, s[0:1]
	s_or_b64 s[10:11], vcc, s[10:11]
	v_cmp_eq_u32_e32 vcc, 4, v110
	v_cndmask_b32_e32 v58, v58, v38, vcc
	v_cmp_eq_u32_e32 vcc, 5, v110
	v_cndmask_b32_e32 v58, v58, v39, vcc
	;; [unrolled: 2-line block ×12, first 2 shown]
	v_cmp_eq_u32_e32 vcc, 16, v110
	ds_read_b32 v59, v56
	v_cndmask_b32_e32 v58, v58, v50, vcc
	v_cmp_eq_u32_e32 vcc, 17, v110
	v_cndmask_b32_e32 v58, v58, v51, vcc
	v_cmp_eq_u32_e32 vcc, 18, v110
	;; [unrolled: 2-line block ×4, first 2 shown]
	v_add_co_u32_e64 v110, s[0:1], 1, v110
	v_cndmask_b32_e32 v58, v58, v54, vcc
	v_add_u32_e32 v56, 4, v56
	v_addc_co_u32_e64 v57, s[0:1], 0, v57, s[0:1]
	s_waitcnt lgkmcnt(0)
	v_fmac_f32_e32 v109, v58, v59
	s_andn2_b64 exec, exec, s[10:11]
	s_cbranch_execnz .LBB84_253
; %bb.254:
	s_or_b64 exec, exec, s[10:11]
.LBB84_255:
	s_or_b64 exec, exec, s[8:9]
.LBB84_256:
	s_or_b64 exec, exec, s[6:7]
	v_mov_b32_e32 v37, 0
	ds_read_b32 v37, v37 offset:12
	s_waitcnt lgkmcnt(0)
	v_mul_f32_e32 v37, v109, v37
.LBB84_257:
	s_or_b64 exec, exec, s[4:5]
	v_cmp_lt_u32_e64 s[0:1], 2, v0
	ds_write_b32 v108, v36
	s_waitcnt lgkmcnt(0)
	; wave barrier
	s_and_saveexec_b64 s[4:5], s[0:1]
	s_cbranch_execz .LBB84_273
; %bb.258:
	s_andn2_b64 vcc, exec, s[46:47]
	s_cbranch_vccnz .LBB84_260
; %bb.259:
	v_cmp_eq_u32_e32 vcc, 1, v0
	v_cndmask_b32_e32 v109, v34, v35, vcc
	v_cmp_eq_u32_e32 vcc, 2, v0
	v_cndmask_b32_e32 v109, v109, v36, vcc
	v_cmp_eq_u32_e32 vcc, 3, v0
	v_cndmask_b32_e32 v109, v109, v37, vcc
	v_cmp_eq_u32_e32 vcc, 4, v0
	v_cndmask_b32_e32 v109, v109, v38, vcc
	v_cmp_eq_u32_e32 vcc, 5, v0
	v_cndmask_b32_e32 v109, v109, v39, vcc
	v_cmp_eq_u32_e32 vcc, 6, v0
	v_cndmask_b32_e32 v109, v109, v40, vcc
	v_cmp_eq_u32_e32 vcc, 7, v0
	v_cndmask_b32_e32 v109, v109, v41, vcc
	v_cmp_eq_u32_e32 vcc, 8, v0
	v_cndmask_b32_e32 v109, v109, v42, vcc
	v_cmp_eq_u32_e32 vcc, 9, v0
	v_cndmask_b32_e32 v109, v109, v43, vcc
	v_cmp_eq_u32_e32 vcc, 10, v0
	v_cndmask_b32_e32 v109, v109, v44, vcc
	v_cmp_eq_u32_e32 vcc, 11, v0
	v_cndmask_b32_e32 v109, v109, v45, vcc
	v_cmp_eq_u32_e32 vcc, 12, v0
	v_cndmask_b32_e32 v109, v109, v46, vcc
	v_cmp_eq_u32_e32 vcc, 13, v0
	v_cndmask_b32_e32 v109, v109, v47, vcc
	v_cmp_eq_u32_e32 vcc, 14, v0
	v_cndmask_b32_e32 v109, v109, v48, vcc
	v_cmp_eq_u32_e32 vcc, 15, v0
	v_cndmask_b32_e32 v109, v109, v49, vcc
	v_cmp_eq_u32_e32 vcc, 16, v0
	v_cndmask_b32_e32 v109, v109, v50, vcc
	v_cmp_eq_u32_e32 vcc, 17, v0
	ds_read_b32 v110, v108
	v_cndmask_b32_e32 v109, v109, v51, vcc
	v_cmp_eq_u32_e32 vcc, 18, v0
	v_cndmask_b32_e32 v109, v109, v52, vcc
	v_cmp_eq_u32_e32 vcc, 19, v0
	;; [unrolled: 2-line block ×3, first 2 shown]
	v_cndmask_b32_e32 v109, v109, v54, vcc
	s_waitcnt lgkmcnt(0)
	v_mul_f32_e32 v109, v109, v110
	s_cbranch_execz .LBB84_261
	s_branch .LBB84_262
.LBB84_260:
                                        ; implicit-def: $vgpr109
.LBB84_261:
	ds_read_b32 v109, v108
.LBB84_262:
	s_and_saveexec_b64 s[6:7], s[2:3]
	s_cbranch_execz .LBB84_272
; %bb.263:
	v_add_u32_e32 v110, -4, v0
	v_add_u32_e32 v111, -3, v0
	v_cmp_lt_u32_e32 vcc, 6, v110
	v_mov_b32_e32 v110, 3
	s_and_saveexec_b64 s[2:3], vcc
	s_cbranch_execz .LBB84_267
; %bb.264:
	v_and_b32_e32 v110, -8, v111
	v_sub_u32_e32 v112, 0, v110
	s_mov_b64 s[8:9], 10
	s_movk_i32 s12, 0x6c
	s_mov_b64 s[10:11], 0
.LBB84_265:                             ; =>This Inner Loop Header: Depth=1
	s_add_i32 s13, s8, -7
	v_mov_b32_e32 v110, s12
	s_add_i32 s14, s8, -6
	s_set_gpr_idx_on s13, gpr_idx(SRC0)
	v_mov_b32_e32 v119, v34
	s_set_gpr_idx_off
	ds_read2_b32 v[113:114], v110 offset1:1
	s_add_i32 s15, s8, -5
	s_set_gpr_idx_on s14, gpr_idx(SRC0)
	v_mov_b32_e32 v120, v34
	s_set_gpr_idx_off
	s_add_i32 s16, s8, -4
	s_set_gpr_idx_on s15, gpr_idx(SRC0)
	v_mov_b32_e32 v121, v34
	s_set_gpr_idx_off
	ds_read2_b32 v[115:116], v110 offset0:2 offset1:3
	s_add_i32 s17, s8, -3
	s_set_gpr_idx_on s16, gpr_idx(SRC0)
	v_mov_b32_e32 v122, v34
	s_set_gpr_idx_off
	s_add_i32 s18, s8, -2
	s_set_gpr_idx_on s17, gpr_idx(SRC0)
	v_mov_b32_e32 v123, v34
	s_set_gpr_idx_off
	ds_read2_b32 v[117:118], v110 offset0:4 offset1:5
	s_add_i32 s19, s8, -1
	s_waitcnt lgkmcnt(2)
	v_fmac_f32_e32 v109, v119, v113
	s_set_gpr_idx_on s18, gpr_idx(SRC0)
	v_mov_b32_e32 v119, v34
	s_set_gpr_idx_off
	v_fmac_f32_e32 v109, v120, v114
	s_set_gpr_idx_on s19, gpr_idx(SRC0)
	v_mov_b32_e32 v120, v34
	s_set_gpr_idx_off
	ds_read2_b32 v[113:114], v110 offset0:6 offset1:7
	s_waitcnt lgkmcnt(2)
	v_fmac_f32_e32 v109, v121, v115
	s_set_gpr_idx_on s8, gpr_idx(SRC0)
	v_mov_b32_e32 v115, v34
	s_set_gpr_idx_off
	v_fmac_f32_e32 v109, v122, v116
	s_add_u32 s8, s8, 8
	s_waitcnt lgkmcnt(1)
	v_fmac_f32_e32 v109, v123, v117
	v_add_u32_e32 v110, s8, v112
	v_fmac_f32_e32 v109, v119, v118
	s_addc_u32 s9, s9, 0
	s_add_i32 s12, s12, 32
	s_add_i32 s13, s8, -7
	v_cmp_eq_u32_e32 vcc, 10, v110
	s_waitcnt lgkmcnt(0)
	v_fmac_f32_e32 v109, v120, v113
	v_mov_b32_e32 v110, s13
	s_or_b64 s[10:11], vcc, s[10:11]
	v_fmac_f32_e32 v109, v115, v114
	s_andn2_b64 exec, exec, s[10:11]
	s_cbranch_execnz .LBB84_265
; %bb.266:
	s_or_b64 exec, exec, s[10:11]
.LBB84_267:
	s_or_b64 exec, exec, s[2:3]
	v_and_b32_e32 v55, 7, v111
	v_cmp_ne_u32_e32 vcc, 0, v55
	s_and_saveexec_b64 s[8:9], vcc
	s_cbranch_execz .LBB84_271
; %bb.268:
	v_mov_b32_e32 v56, 0x60
	v_lshl_add_u32 v56, v110, 2, v56
	v_mov_b32_e32 v57, 0
	s_mov_b64 s[10:11], 0
.LBB84_269:                             ; =>This Inner Loop Header: Depth=1
	v_cmp_eq_u32_e32 vcc, 1, v110
	v_cndmask_b32_e32 v58, v34, v35, vcc
	v_add_u32_e32 v55, -1, v55
	v_cmp_eq_u32_e32 vcc, 2, v110
	v_cndmask_b32_e32 v58, v58, v36, vcc
	v_cmp_eq_u32_e32 vcc, 0, v55
	v_cmp_eq_u32_e64 s[2:3], 3, v110
	v_cndmask_b32_e64 v58, v58, v37, s[2:3]
	s_or_b64 s[10:11], vcc, s[10:11]
	v_cmp_eq_u32_e32 vcc, 4, v110
	v_cndmask_b32_e32 v58, v58, v38, vcc
	v_cmp_eq_u32_e32 vcc, 5, v110
	v_cndmask_b32_e32 v58, v58, v39, vcc
	;; [unrolled: 2-line block ×12, first 2 shown]
	v_cmp_eq_u32_e32 vcc, 16, v110
	ds_read_b32 v59, v56
	v_cndmask_b32_e32 v58, v58, v50, vcc
	v_cmp_eq_u32_e32 vcc, 17, v110
	v_cndmask_b32_e32 v58, v58, v51, vcc
	v_cmp_eq_u32_e32 vcc, 18, v110
	;; [unrolled: 2-line block ×4, first 2 shown]
	v_add_co_u32_e64 v110, s[2:3], 1, v110
	v_cndmask_b32_e32 v58, v58, v54, vcc
	v_add_u32_e32 v56, 4, v56
	v_addc_co_u32_e64 v57, s[2:3], 0, v57, s[2:3]
	s_waitcnt lgkmcnt(0)
	v_fmac_f32_e32 v109, v58, v59
	s_andn2_b64 exec, exec, s[10:11]
	s_cbranch_execnz .LBB84_269
; %bb.270:
	s_or_b64 exec, exec, s[10:11]
.LBB84_271:
	s_or_b64 exec, exec, s[8:9]
.LBB84_272:
	s_or_b64 exec, exec, s[6:7]
	v_mov_b32_e32 v36, 0
	ds_read_b32 v36, v36 offset:8
	s_waitcnt lgkmcnt(0)
	v_mul_f32_e32 v36, v109, v36
.LBB84_273:
	s_or_b64 exec, exec, s[4:5]
	v_cmp_lt_u32_e64 s[2:3], 1, v0
	ds_write_b32 v108, v35
	s_waitcnt lgkmcnt(0)
	; wave barrier
	s_and_saveexec_b64 s[4:5], s[2:3]
	s_cbranch_execz .LBB84_289
; %bb.274:
	s_andn2_b64 vcc, exec, s[46:47]
	s_cbranch_vccnz .LBB84_276
; %bb.275:
	v_cmp_eq_u32_e32 vcc, 1, v0
	v_cndmask_b32_e32 v109, v34, v35, vcc
	v_cmp_eq_u32_e32 vcc, 2, v0
	v_cndmask_b32_e32 v109, v109, v36, vcc
	;; [unrolled: 2-line block ×16, first 2 shown]
	v_cmp_eq_u32_e32 vcc, 17, v0
	ds_read_b32 v110, v108
	v_cndmask_b32_e32 v109, v109, v51, vcc
	v_cmp_eq_u32_e32 vcc, 18, v0
	v_cndmask_b32_e32 v109, v109, v52, vcc
	v_cmp_eq_u32_e32 vcc, 19, v0
	;; [unrolled: 2-line block ×3, first 2 shown]
	v_cndmask_b32_e32 v109, v109, v54, vcc
	s_waitcnt lgkmcnt(0)
	v_mul_f32_e32 v109, v109, v110
	s_cbranch_execz .LBB84_277
	s_branch .LBB84_278
.LBB84_276:
                                        ; implicit-def: $vgpr109
.LBB84_277:
	ds_read_b32 v109, v108
.LBB84_278:
	s_and_saveexec_b64 s[6:7], s[0:1]
	s_cbranch_execz .LBB84_288
; %bb.279:
	v_add_u32_e32 v110, -3, v0
	v_add_u32_e32 v111, -2, v0
	v_cmp_lt_u32_e32 vcc, 6, v110
	v_mov_b32_e32 v110, 2
	s_and_saveexec_b64 s[0:1], vcc
	s_cbranch_execz .LBB84_283
; %bb.280:
	v_and_b32_e32 v110, -8, v111
	v_sub_u32_e32 v112, 0, v110
	s_mov_b64 s[8:9], 9
	s_movk_i32 s12, 0x68
	s_mov_b64 s[10:11], 0
.LBB84_281:                             ; =>This Inner Loop Header: Depth=1
	s_add_i32 s13, s8, -7
	v_mov_b32_e32 v110, s12
	s_add_i32 s14, s8, -6
	s_set_gpr_idx_on s13, gpr_idx(SRC0)
	v_mov_b32_e32 v121, v34
	s_set_gpr_idx_off
	ds_read2_b64 v[113:116], v110 offset1:1
	s_add_i32 s15, s8, -5
	s_set_gpr_idx_on s14, gpr_idx(SRC0)
	v_mov_b32_e32 v122, v34
	s_set_gpr_idx_off
	s_add_i32 s16, s8, -4
	s_set_gpr_idx_on s15, gpr_idx(SRC0)
	v_mov_b32_e32 v123, v34
	s_set_gpr_idx_off
	;; [unrolled: 4-line block ×4, first 2 shown]
	ds_read2_b64 v[117:120], v110 offset0:2 offset1:3
	s_add_i32 s19, s8, -1
	s_waitcnt lgkmcnt(1)
	v_fmac_f32_e32 v109, v121, v113
	s_set_gpr_idx_on s18, gpr_idx(SRC0)
	v_mov_b32_e32 v113, v34
	s_set_gpr_idx_off
	v_fmac_f32_e32 v109, v122, v114
	s_set_gpr_idx_on s19, gpr_idx(SRC0)
	v_mov_b32_e32 v114, v34
	s_set_gpr_idx_off
	;; [unrolled: 4-line block ×3, first 2 shown]
	v_fmac_f32_e32 v109, v124, v116
	s_add_u32 s8, s8, 8
	s_waitcnt lgkmcnt(0)
	v_fmac_f32_e32 v109, v125, v117
	v_add_u32_e32 v110, s8, v112
	v_fmac_f32_e32 v109, v113, v118
	s_addc_u32 s9, s9, 0
	s_add_i32 s12, s12, 32
	s_add_i32 s13, s8, -7
	v_cmp_eq_u32_e32 vcc, 9, v110
	v_fmac_f32_e32 v109, v114, v119
	v_mov_b32_e32 v110, s13
	s_or_b64 s[10:11], vcc, s[10:11]
	v_fmac_f32_e32 v109, v115, v120
	s_andn2_b64 exec, exec, s[10:11]
	s_cbranch_execnz .LBB84_281
; %bb.282:
	s_or_b64 exec, exec, s[10:11]
.LBB84_283:
	s_or_b64 exec, exec, s[0:1]
	v_and_b32_e32 v55, 7, v111
	v_cmp_ne_u32_e32 vcc, 0, v55
	s_and_saveexec_b64 s[8:9], vcc
	s_cbranch_execz .LBB84_287
; %bb.284:
	v_mov_b32_e32 v56, 0x60
	v_lshl_add_u32 v56, v110, 2, v56
	v_mov_b32_e32 v57, 0
	s_mov_b64 s[10:11], 0
.LBB84_285:                             ; =>This Inner Loop Header: Depth=1
	v_cmp_eq_u32_e32 vcc, 1, v110
	v_cndmask_b32_e32 v58, v34, v35, vcc
	v_add_u32_e32 v55, -1, v55
	v_cmp_eq_u32_e32 vcc, 2, v110
	v_cndmask_b32_e32 v58, v58, v36, vcc
	v_cmp_eq_u32_e32 vcc, 0, v55
	v_cmp_eq_u32_e64 s[0:1], 3, v110
	v_cndmask_b32_e64 v58, v58, v37, s[0:1]
	s_or_b64 s[10:11], vcc, s[10:11]
	v_cmp_eq_u32_e32 vcc, 4, v110
	v_cndmask_b32_e32 v58, v58, v38, vcc
	v_cmp_eq_u32_e32 vcc, 5, v110
	v_cndmask_b32_e32 v58, v58, v39, vcc
	;; [unrolled: 2-line block ×12, first 2 shown]
	v_cmp_eq_u32_e32 vcc, 16, v110
	ds_read_b32 v59, v56
	v_cndmask_b32_e32 v58, v58, v50, vcc
	v_cmp_eq_u32_e32 vcc, 17, v110
	v_cndmask_b32_e32 v58, v58, v51, vcc
	v_cmp_eq_u32_e32 vcc, 18, v110
	;; [unrolled: 2-line block ×4, first 2 shown]
	v_add_co_u32_e64 v110, s[0:1], 1, v110
	v_cndmask_b32_e32 v58, v58, v54, vcc
	v_add_u32_e32 v56, 4, v56
	v_addc_co_u32_e64 v57, s[0:1], 0, v57, s[0:1]
	s_waitcnt lgkmcnt(0)
	v_fmac_f32_e32 v109, v58, v59
	s_andn2_b64 exec, exec, s[10:11]
	s_cbranch_execnz .LBB84_285
; %bb.286:
	s_or_b64 exec, exec, s[10:11]
.LBB84_287:
	s_or_b64 exec, exec, s[8:9]
.LBB84_288:
	s_or_b64 exec, exec, s[6:7]
	v_mov_b32_e32 v35, 0
	ds_read_b32 v35, v35 offset:4
	s_waitcnt lgkmcnt(0)
	v_mul_f32_e32 v35, v109, v35
.LBB84_289:
	s_or_b64 exec, exec, s[4:5]
	v_cmp_ne_u32_e32 vcc, 0, v0
	ds_write_b32 v108, v34
	s_waitcnt lgkmcnt(0)
	; wave barrier
	s_and_saveexec_b64 s[4:5], vcc
	s_cbranch_execz .LBB84_305
; %bb.290:
	s_andn2_b64 vcc, exec, s[46:47]
	s_cbranch_vccnz .LBB84_292
; %bb.291:
	v_cmp_eq_u32_e32 vcc, 1, v0
	v_cndmask_b32_e32 v109, v34, v35, vcc
	v_cmp_eq_u32_e32 vcc, 2, v0
	v_cndmask_b32_e32 v109, v109, v36, vcc
	;; [unrolled: 2-line block ×16, first 2 shown]
	v_cmp_eq_u32_e32 vcc, 17, v0
	ds_read_b32 v110, v108
	v_cndmask_b32_e32 v109, v109, v51, vcc
	v_cmp_eq_u32_e32 vcc, 18, v0
	v_cndmask_b32_e32 v109, v109, v52, vcc
	v_cmp_eq_u32_e32 vcc, 19, v0
	;; [unrolled: 2-line block ×3, first 2 shown]
	v_cndmask_b32_e32 v109, v109, v54, vcc
	s_waitcnt lgkmcnt(0)
	v_mul_f32_e32 v109, v109, v110
	s_cbranch_execz .LBB84_293
	s_branch .LBB84_294
.LBB84_292:
                                        ; implicit-def: $vgpr109
.LBB84_293:
	ds_read_b32 v109, v108
.LBB84_294:
	s_and_saveexec_b64 s[6:7], s[2:3]
	s_cbranch_execz .LBB84_304
; %bb.295:
	v_add_u32_e32 v110, -2, v0
	v_add_u32_e32 v111, -1, v0
	v_cmp_lt_u32_e32 vcc, 6, v110
	v_mov_b32_e32 v110, 1
	s_and_saveexec_b64 s[0:1], vcc
	s_cbranch_execz .LBB84_299
; %bb.296:
	v_and_b32_e32 v110, -8, v111
	v_sub_u32_e32 v112, 0, v110
	s_mov_b64 s[2:3], 8
	s_movk_i32 s10, 0x64
	s_mov_b64 s[8:9], 0
.LBB84_297:                             ; =>This Inner Loop Header: Depth=1
	s_add_i32 s11, s2, -7
	v_mov_b32_e32 v110, s10
	s_add_i32 s12, s2, -6
	s_set_gpr_idx_on s11, gpr_idx(SRC0)
	v_mov_b32_e32 v119, v34
	s_set_gpr_idx_off
	ds_read2_b32 v[113:114], v110 offset1:1
	s_add_i32 s13, s2, -5
	s_set_gpr_idx_on s12, gpr_idx(SRC0)
	v_mov_b32_e32 v120, v34
	s_set_gpr_idx_off
	s_add_i32 s14, s2, -4
	s_set_gpr_idx_on s13, gpr_idx(SRC0)
	v_mov_b32_e32 v121, v34
	s_set_gpr_idx_off
	ds_read2_b32 v[115:116], v110 offset0:2 offset1:3
	s_add_i32 s15, s2, -3
	s_set_gpr_idx_on s14, gpr_idx(SRC0)
	v_mov_b32_e32 v122, v34
	s_set_gpr_idx_off
	s_add_i32 s16, s2, -2
	s_set_gpr_idx_on s15, gpr_idx(SRC0)
	v_mov_b32_e32 v123, v34
	s_set_gpr_idx_off
	ds_read2_b32 v[117:118], v110 offset0:4 offset1:5
	s_add_i32 s17, s2, -1
	s_waitcnt lgkmcnt(2)
	v_fmac_f32_e32 v109, v119, v113
	s_set_gpr_idx_on s16, gpr_idx(SRC0)
	v_mov_b32_e32 v119, v34
	s_set_gpr_idx_off
	v_fmac_f32_e32 v109, v120, v114
	s_set_gpr_idx_on s17, gpr_idx(SRC0)
	v_mov_b32_e32 v120, v34
	s_set_gpr_idx_off
	ds_read2_b32 v[113:114], v110 offset0:6 offset1:7
	s_waitcnt lgkmcnt(2)
	v_fmac_f32_e32 v109, v121, v115
	s_set_gpr_idx_on s2, gpr_idx(SRC0)
	v_mov_b32_e32 v115, v34
	s_set_gpr_idx_off
	v_fmac_f32_e32 v109, v122, v116
	s_add_u32 s2, s2, 8
	s_waitcnt lgkmcnt(1)
	v_fmac_f32_e32 v109, v123, v117
	v_add_u32_e32 v110, s2, v112
	v_fmac_f32_e32 v109, v119, v118
	s_addc_u32 s3, s3, 0
	s_add_i32 s10, s10, 32
	s_add_i32 s11, s2, -7
	v_cmp_eq_u32_e32 vcc, 8, v110
	s_waitcnt lgkmcnt(0)
	v_fmac_f32_e32 v109, v120, v113
	v_mov_b32_e32 v110, s11
	s_or_b64 s[8:9], vcc, s[8:9]
	v_fmac_f32_e32 v109, v115, v114
	s_andn2_b64 exec, exec, s[8:9]
	s_cbranch_execnz .LBB84_297
; %bb.298:
	s_or_b64 exec, exec, s[8:9]
.LBB84_299:
	s_or_b64 exec, exec, s[0:1]
	v_and_b32_e32 v55, 7, v111
	v_cmp_ne_u32_e32 vcc, 0, v55
	s_and_saveexec_b64 s[2:3], vcc
	s_cbranch_execz .LBB84_303
; %bb.300:
	v_mov_b32_e32 v56, 0x60
	v_lshl_add_u32 v56, v110, 2, v56
	v_mov_b32_e32 v57, 0
	s_mov_b64 s[8:9], 0
.LBB84_301:                             ; =>This Inner Loop Header: Depth=1
	v_cmp_eq_u32_e32 vcc, 1, v110
	v_cndmask_b32_e32 v58, v34, v35, vcc
	v_add_u32_e32 v55, -1, v55
	v_cmp_eq_u32_e32 vcc, 2, v110
	v_cndmask_b32_e32 v58, v58, v36, vcc
	v_cmp_eq_u32_e32 vcc, 0, v55
	v_cmp_eq_u32_e64 s[0:1], 3, v110
	v_cndmask_b32_e64 v58, v58, v37, s[0:1]
	s_or_b64 s[8:9], vcc, s[8:9]
	v_cmp_eq_u32_e32 vcc, 4, v110
	v_cndmask_b32_e32 v58, v58, v38, vcc
	v_cmp_eq_u32_e32 vcc, 5, v110
	v_cndmask_b32_e32 v58, v58, v39, vcc
	;; [unrolled: 2-line block ×12, first 2 shown]
	v_cmp_eq_u32_e32 vcc, 16, v110
	ds_read_b32 v59, v56
	v_cndmask_b32_e32 v58, v58, v50, vcc
	v_cmp_eq_u32_e32 vcc, 17, v110
	v_cndmask_b32_e32 v58, v58, v51, vcc
	v_cmp_eq_u32_e32 vcc, 18, v110
	;; [unrolled: 2-line block ×4, first 2 shown]
	v_add_co_u32_e64 v110, s[0:1], 1, v110
	v_cndmask_b32_e32 v58, v58, v54, vcc
	v_add_u32_e32 v56, 4, v56
	v_addc_co_u32_e64 v57, s[0:1], 0, v57, s[0:1]
	s_waitcnt lgkmcnt(0)
	v_fmac_f32_e32 v109, v58, v59
	s_andn2_b64 exec, exec, s[8:9]
	s_cbranch_execnz .LBB84_301
; %bb.302:
	s_or_b64 exec, exec, s[8:9]
.LBB84_303:
	s_or_b64 exec, exec, s[2:3]
.LBB84_304:
	s_or_b64 exec, exec, s[6:7]
	v_mov_b32_e32 v34, 0
	ds_read_b32 v34, v34
	s_waitcnt lgkmcnt(0)
	v_mul_f32_e32 v34, v109, v34
.LBB84_305:
	s_or_b64 exec, exec, s[4:5]
	s_branch .LBB84_509
.LBB84_306:
	v_cmp_eq_u32_e64 s[2:3], 0, v0
	s_waitcnt vmcnt(0) lgkmcnt(0)
	ds_write_b32 v108, v3
	s_waitcnt lgkmcnt(0)
	; wave barrier
	s_and_saveexec_b64 s[0:1], s[2:3]
	s_cbranch_execz .LBB84_312
; %bb.307:
	s_and_b64 vcc, exec, s[46:47]
	s_cbranch_vccz .LBB84_309
; %bb.308:
	v_cmp_eq_u32_e32 vcc, 1, v0
	v_cndmask_b32_e32 v3, v2, v3, vcc
	v_cmp_eq_u32_e32 vcc, 2, v0
	v_cndmask_b32_e32 v3, v3, v4, vcc
	;; [unrolled: 2-line block ×16, first 2 shown]
	v_cmp_eq_u32_e32 vcc, 17, v0
	ds_read_b32 v23, v108
	v_cndmask_b32_e32 v3, v3, v19, vcc
	v_cmp_eq_u32_e32 vcc, 18, v0
	v_cndmask_b32_e32 v3, v3, v20, vcc
	v_cmp_eq_u32_e32 vcc, 19, v0
	;; [unrolled: 2-line block ×3, first 2 shown]
	v_cndmask_b32_e32 v3, v3, v22, vcc
	s_waitcnt lgkmcnt(0)
	v_mul_f32_e32 v3, v3, v23
	s_cbranch_execz .LBB84_310
	s_branch .LBB84_311
.LBB84_309:
                                        ; implicit-def: $vgpr3
.LBB84_310:
	ds_read_b32 v3, v108
.LBB84_311:
	v_mov_b32_e32 v23, 0
	ds_read_b32 v23, v23 offset:4
	s_waitcnt lgkmcnt(0)
	v_mul_f32_e32 v3, v3, v23
.LBB84_312:
	s_or_b64 exec, exec, s[0:1]
	v_cndmask_b32_e64 v34, 0, 1, s[46:47]
	v_cmp_gt_u32_e32 vcc, 2, v0
	v_cmp_ne_u32_e64 s[0:1], 1, v34
	ds_write_b32 v108, v4
	s_waitcnt lgkmcnt(0)
	; wave barrier
	s_and_saveexec_b64 s[4:5], vcc
	s_cbranch_execz .LBB84_318
; %bb.313:
	s_and_b64 vcc, exec, s[0:1]
	s_cbranch_vccnz .LBB84_315
; %bb.314:
	v_cmp_eq_u32_e32 vcc, 1, v0
	v_cndmask_b32_e32 v23, v2, v3, vcc
	v_cmp_eq_u32_e32 vcc, 2, v0
	v_cndmask_b32_e32 v4, v23, v4, vcc
	;; [unrolled: 2-line block ×16, first 2 shown]
	v_cmp_eq_u32_e32 vcc, 17, v0
	ds_read_b32 v23, v108
	v_cndmask_b32_e32 v4, v4, v19, vcc
	v_cmp_eq_u32_e32 vcc, 18, v0
	v_cndmask_b32_e32 v4, v4, v20, vcc
	v_cmp_eq_u32_e32 vcc, 19, v0
	;; [unrolled: 2-line block ×3, first 2 shown]
	v_cndmask_b32_e32 v4, v4, v22, vcc
	s_waitcnt lgkmcnt(0)
	v_mul_f32_e32 v4, v4, v23
	s_cbranch_execz .LBB84_316
	s_branch .LBB84_317
.LBB84_315:
                                        ; implicit-def: $vgpr4
.LBB84_316:
	ds_read_b32 v4, v108
.LBB84_317:
	v_mov_b32_e32 v23, 0
	ds_read2_b32 v[23:24], v23 offset0:2 offset1:25
	s_waitcnt lgkmcnt(0)
	v_fma_f32 v24, v3, v24, v4
	v_cndmask_b32_e64 v4, v4, v24, s[2:3]
	v_mul_f32_e32 v4, v4, v23
.LBB84_318:
	s_or_b64 exec, exec, s[4:5]
	v_add_u32_e32 v34, 1, v0
	v_cmp_gt_u32_e64 s[4:5], 3, v0
	ds_write_b32 v108, v5
	s_waitcnt lgkmcnt(0)
	; wave barrier
	s_and_saveexec_b64 s[6:7], s[4:5]
	s_cbranch_execz .LBB84_326
; %bb.319:
	s_and_b64 vcc, exec, s[0:1]
	s_cbranch_vccnz .LBB84_321
; %bb.320:
	v_cmp_eq_u32_e32 vcc, 1, v0
	v_cndmask_b32_e32 v23, v2, v3, vcc
	v_cmp_eq_u32_e32 vcc, 2, v0
	v_cndmask_b32_e32 v23, v23, v4, vcc
	;; [unrolled: 2-line block ×16, first 2 shown]
	v_cmp_eq_u32_e32 vcc, 17, v0
	ds_read_b32 v24, v108
	v_cndmask_b32_e32 v23, v23, v19, vcc
	v_cmp_eq_u32_e32 vcc, 18, v0
	v_cndmask_b32_e32 v23, v23, v20, vcc
	v_cmp_eq_u32_e32 vcc, 19, v0
	v_cndmask_b32_e32 v23, v23, v21, vcc
	v_cmp_eq_u32_e32 vcc, 20, v0
	v_cndmask_b32_e32 v23, v23, v22, vcc
	s_waitcnt lgkmcnt(0)
	v_mul_f32_e32 v23, v23, v24
	s_cbranch_execz .LBB84_322
	s_branch .LBB84_323
.LBB84_321:
                                        ; implicit-def: $vgpr23
.LBB84_322:
	ds_read_b32 v23, v108
.LBB84_323:
	v_cmp_ne_u32_e32 vcc, 2, v0
	s_and_saveexec_b64 s[8:9], vcc
	s_cbranch_execz .LBB84_325
; %bb.324:
	v_cmp_eq_u32_e32 vcc, 1, v34
	v_cndmask_b32_e32 v24, v2, v3, vcc
	v_cmp_eq_u32_e32 vcc, 2, v34
	v_cndmask_b32_e32 v24, v24, v4, vcc
	;; [unrolled: 2-line block ×16, first 2 shown]
	v_cmp_eq_u32_e32 vcc, 17, v34
	v_mov_b32_e32 v24, 0
	v_cndmask_b32_e32 v5, v5, v19, vcc
	v_cmp_eq_u32_e32 vcc, 18, v34
	ds_read_b32 v25, v108 offset:4
	ds_read_b32 v24, v24 offset:104
	v_cndmask_b32_e32 v5, v5, v20, vcc
	v_cmp_eq_u32_e32 vcc, 19, v34
	v_cndmask_b32_e32 v5, v5, v21, vcc
	v_cmp_eq_u32_e32 vcc, 20, v34
	v_cndmask_b32_e32 v5, v5, v22, vcc
	s_waitcnt lgkmcnt(1)
	v_fmac_f32_e32 v23, v5, v25
	s_waitcnt lgkmcnt(0)
	v_fma_f32 v5, v4, v24, v23
	v_cndmask_b32_e64 v23, v23, v5, s[2:3]
.LBB84_325:
	s_or_b64 exec, exec, s[8:9]
	v_mov_b32_e32 v5, 0
	ds_read_b32 v5, v5 offset:12
	s_waitcnt lgkmcnt(0)
	v_mul_f32_e32 v5, v23, v5
.LBB84_326:
	s_or_b64 exec, exec, s[6:7]
	v_cmp_gt_u32_e32 vcc, 4, v0
	ds_write_b32 v108, v6
	s_waitcnt lgkmcnt(0)
	; wave barrier
	s_and_saveexec_b64 s[8:9], vcc
	s_cbranch_execz .LBB84_336
; %bb.327:
	s_and_b64 vcc, exec, s[0:1]
	s_cbranch_vccnz .LBB84_329
; %bb.328:
	v_cmp_eq_u32_e32 vcc, 1, v0
	v_cndmask_b32_e32 v23, v2, v3, vcc
	v_cmp_eq_u32_e32 vcc, 2, v0
	v_cndmask_b32_e32 v23, v23, v4, vcc
	;; [unrolled: 2-line block ×16, first 2 shown]
	v_cmp_eq_u32_e32 vcc, 17, v0
	ds_read_b32 v24, v108
	v_cndmask_b32_e32 v23, v23, v19, vcc
	v_cmp_eq_u32_e32 vcc, 18, v0
	v_cndmask_b32_e32 v23, v23, v20, vcc
	v_cmp_eq_u32_e32 vcc, 19, v0
	;; [unrolled: 2-line block ×3, first 2 shown]
	v_cndmask_b32_e32 v23, v23, v22, vcc
	s_waitcnt lgkmcnt(0)
	v_mul_f32_e32 v25, v23, v24
	s_cbranch_execz .LBB84_330
	s_branch .LBB84_331
.LBB84_329:
                                        ; implicit-def: $vgpr25
.LBB84_330:
	ds_read_b32 v25, v108
.LBB84_331:
	v_cmp_ne_u32_e32 vcc, 3, v0
	s_and_saveexec_b64 s[10:11], vcc
	s_cbranch_execz .LBB84_335
; %bb.332:
	v_mov_b32_e32 v23, 0x64
	v_lshl_add_u32 v26, v0, 2, v23
	v_mov_b32_e32 v24, v1
	s_mov_b64 s[12:13], 0
	v_mov_b32_e32 v23, v0
.LBB84_333:                             ; =>This Inner Loop Header: Depth=1
	v_add_co_u32_e32 v23, vcc, 1, v23
	v_addc_co_u32_e32 v24, vcc, 0, v24, vcc
	v_cmp_eq_u32_e32 vcc, 1, v23
	v_cndmask_b32_e32 v28, v2, v3, vcc
	v_cmp_lt_u32_e32 vcc, 2, v23
	v_cmp_eq_u32_e64 s[6:7], 2, v23
	v_cndmask_b32_e64 v28, v28, v4, s[6:7]
	s_or_b64 s[12:13], vcc, s[12:13]
	v_cmp_eq_u32_e32 vcc, 3, v23
	v_cndmask_b32_e32 v28, v28, v5, vcc
	v_cmp_eq_u32_e32 vcc, 4, v23
	v_cndmask_b32_e32 v28, v28, v6, vcc
	;; [unrolled: 2-line block ×13, first 2 shown]
	v_cmp_eq_u32_e32 vcc, 16, v23
	ds_read_b32 v27, v26
	v_cndmask_b32_e32 v28, v28, v18, vcc
	v_cmp_eq_u32_e32 vcc, 17, v23
	v_cndmask_b32_e32 v28, v28, v19, vcc
	v_cmp_eq_u32_e32 vcc, 18, v23
	;; [unrolled: 2-line block ×4, first 2 shown]
	v_cndmask_b32_e32 v28, v28, v22, vcc
	v_add_u32_e32 v26, 4, v26
	s_waitcnt lgkmcnt(0)
	v_fmac_f32_e32 v25, v28, v27
	s_andn2_b64 exec, exec, s[12:13]
	s_cbranch_execnz .LBB84_333
; %bb.334:
	s_or_b64 exec, exec, s[12:13]
.LBB84_335:
	s_or_b64 exec, exec, s[10:11]
	v_mov_b32_e32 v6, 0
	ds_read_b32 v6, v6 offset:16
	s_waitcnt lgkmcnt(0)
	v_mul_f32_e32 v6, v25, v6
.LBB84_336:
	s_or_b64 exec, exec, s[8:9]
	v_cmp_gt_u32_e64 s[6:7], 5, v0
	ds_write_b32 v108, v7
	s_waitcnt lgkmcnt(0)
	; wave barrier
	s_and_saveexec_b64 s[10:11], s[6:7]
	s_cbranch_execz .LBB84_346
; %bb.337:
	s_and_b64 vcc, exec, s[0:1]
	s_cbranch_vccnz .LBB84_339
; %bb.338:
	v_cmp_eq_u32_e32 vcc, 1, v0
	v_cndmask_b32_e32 v23, v2, v3, vcc
	v_cmp_eq_u32_e32 vcc, 2, v0
	v_cndmask_b32_e32 v23, v23, v4, vcc
	;; [unrolled: 2-line block ×16, first 2 shown]
	v_cmp_eq_u32_e32 vcc, 17, v0
	ds_read_b32 v24, v108
	v_cndmask_b32_e32 v23, v23, v19, vcc
	v_cmp_eq_u32_e32 vcc, 18, v0
	v_cndmask_b32_e32 v23, v23, v20, vcc
	v_cmp_eq_u32_e32 vcc, 19, v0
	;; [unrolled: 2-line block ×3, first 2 shown]
	v_cndmask_b32_e32 v23, v23, v22, vcc
	s_waitcnt lgkmcnt(0)
	v_mul_f32_e32 v25, v23, v24
	s_cbranch_execz .LBB84_340
	s_branch .LBB84_341
.LBB84_339:
                                        ; implicit-def: $vgpr25
.LBB84_340:
	ds_read_b32 v25, v108
.LBB84_341:
	v_cmp_ne_u32_e32 vcc, 4, v0
	s_and_saveexec_b64 s[12:13], vcc
	s_cbranch_execz .LBB84_345
; %bb.342:
	v_mov_b32_e32 v23, 0x64
	v_lshl_add_u32 v26, v0, 2, v23
	v_mov_b32_e32 v24, v1
	s_mov_b64 s[14:15], 0
	v_mov_b32_e32 v23, v0
.LBB84_343:                             ; =>This Inner Loop Header: Depth=1
	v_add_co_u32_e32 v23, vcc, 1, v23
	v_addc_co_u32_e32 v24, vcc, 0, v24, vcc
	v_cmp_eq_u32_e32 vcc, 1, v23
	v_cndmask_b32_e32 v28, v2, v3, vcc
	v_cmp_lt_u32_e32 vcc, 3, v23
	v_cmp_eq_u32_e64 s[8:9], 2, v23
	v_cndmask_b32_e64 v28, v28, v4, s[8:9]
	s_or_b64 s[14:15], vcc, s[14:15]
	v_cmp_eq_u32_e32 vcc, 3, v23
	v_cndmask_b32_e32 v28, v28, v5, vcc
	v_cmp_eq_u32_e32 vcc, 4, v23
	v_cndmask_b32_e32 v28, v28, v6, vcc
	;; [unrolled: 2-line block ×13, first 2 shown]
	v_cmp_eq_u32_e32 vcc, 16, v23
	ds_read_b32 v27, v26
	v_cndmask_b32_e32 v28, v28, v18, vcc
	v_cmp_eq_u32_e32 vcc, 17, v23
	v_cndmask_b32_e32 v28, v28, v19, vcc
	v_cmp_eq_u32_e32 vcc, 18, v23
	;; [unrolled: 2-line block ×4, first 2 shown]
	v_cndmask_b32_e32 v28, v28, v22, vcc
	v_add_u32_e32 v26, 4, v26
	s_waitcnt lgkmcnt(0)
	v_fmac_f32_e32 v25, v28, v27
	s_andn2_b64 exec, exec, s[14:15]
	s_cbranch_execnz .LBB84_343
; %bb.344:
	s_or_b64 exec, exec, s[14:15]
.LBB84_345:
	s_or_b64 exec, exec, s[12:13]
	v_mov_b32_e32 v7, 0
	ds_read_b32 v7, v7 offset:20
	s_waitcnt lgkmcnt(0)
	v_mul_f32_e32 v7, v25, v7
.LBB84_346:
	s_or_b64 exec, exec, s[10:11]
	v_cmp_gt_u32_e32 vcc, 6, v0
	ds_write_b32 v108, v8
	s_waitcnt lgkmcnt(0)
	; wave barrier
	s_and_saveexec_b64 s[10:11], vcc
	s_cbranch_execz .LBB84_356
; %bb.347:
	s_and_b64 vcc, exec, s[0:1]
	s_cbranch_vccnz .LBB84_349
; %bb.348:
	v_cmp_eq_u32_e32 vcc, 1, v0
	v_cndmask_b32_e32 v23, v2, v3, vcc
	v_cmp_eq_u32_e32 vcc, 2, v0
	v_cndmask_b32_e32 v23, v23, v4, vcc
	;; [unrolled: 2-line block ×16, first 2 shown]
	v_cmp_eq_u32_e32 vcc, 17, v0
	ds_read_b32 v24, v108
	v_cndmask_b32_e32 v23, v23, v19, vcc
	v_cmp_eq_u32_e32 vcc, 18, v0
	v_cndmask_b32_e32 v23, v23, v20, vcc
	v_cmp_eq_u32_e32 vcc, 19, v0
	v_cndmask_b32_e32 v23, v23, v21, vcc
	v_cmp_eq_u32_e32 vcc, 20, v0
	v_cndmask_b32_e32 v23, v23, v22, vcc
	s_waitcnt lgkmcnt(0)
	v_mul_f32_e32 v25, v23, v24
	s_cbranch_execz .LBB84_350
	s_branch .LBB84_351
.LBB84_349:
                                        ; implicit-def: $vgpr25
.LBB84_350:
	ds_read_b32 v25, v108
.LBB84_351:
	v_cmp_ne_u32_e32 vcc, 5, v0
	s_and_saveexec_b64 s[12:13], vcc
	s_cbranch_execz .LBB84_355
; %bb.352:
	v_mov_b32_e32 v23, 0x64
	v_lshl_add_u32 v26, v0, 2, v23
	v_mov_b32_e32 v24, v1
	s_mov_b64 s[14:15], 0
	v_mov_b32_e32 v23, v0
.LBB84_353:                             ; =>This Inner Loop Header: Depth=1
	v_add_co_u32_e32 v23, vcc, 1, v23
	v_addc_co_u32_e32 v24, vcc, 0, v24, vcc
	v_cmp_eq_u32_e32 vcc, 1, v23
	v_cndmask_b32_e32 v28, v2, v3, vcc
	v_cmp_lt_u32_e32 vcc, 4, v23
	v_cmp_eq_u32_e64 s[8:9], 2, v23
	v_cndmask_b32_e64 v28, v28, v4, s[8:9]
	s_or_b64 s[14:15], vcc, s[14:15]
	v_cmp_eq_u32_e32 vcc, 3, v23
	v_cndmask_b32_e32 v28, v28, v5, vcc
	v_cmp_eq_u32_e32 vcc, 4, v23
	v_cndmask_b32_e32 v28, v28, v6, vcc
	;; [unrolled: 2-line block ×13, first 2 shown]
	v_cmp_eq_u32_e32 vcc, 16, v23
	ds_read_b32 v27, v26
	v_cndmask_b32_e32 v28, v28, v18, vcc
	v_cmp_eq_u32_e32 vcc, 17, v23
	v_cndmask_b32_e32 v28, v28, v19, vcc
	v_cmp_eq_u32_e32 vcc, 18, v23
	;; [unrolled: 2-line block ×4, first 2 shown]
	v_cndmask_b32_e32 v28, v28, v22, vcc
	v_add_u32_e32 v26, 4, v26
	s_waitcnt lgkmcnt(0)
	v_fmac_f32_e32 v25, v28, v27
	s_andn2_b64 exec, exec, s[14:15]
	s_cbranch_execnz .LBB84_353
; %bb.354:
	s_or_b64 exec, exec, s[14:15]
.LBB84_355:
	s_or_b64 exec, exec, s[12:13]
	v_mov_b32_e32 v8, 0
	ds_read_b32 v8, v8 offset:24
	s_waitcnt lgkmcnt(0)
	v_mul_f32_e32 v8, v25, v8
.LBB84_356:
	s_or_b64 exec, exec, s[10:11]
	v_cmp_gt_u32_e64 s[8:9], 7, v0
	ds_write_b32 v108, v9
	s_waitcnt lgkmcnt(0)
	; wave barrier
	s_and_saveexec_b64 s[12:13], s[8:9]
	s_cbranch_execz .LBB84_366
; %bb.357:
	s_and_b64 vcc, exec, s[0:1]
	s_cbranch_vccnz .LBB84_359
; %bb.358:
	v_cmp_eq_u32_e32 vcc, 1, v0
	v_cndmask_b32_e32 v23, v2, v3, vcc
	v_cmp_eq_u32_e32 vcc, 2, v0
	v_cndmask_b32_e32 v23, v23, v4, vcc
	;; [unrolled: 2-line block ×16, first 2 shown]
	v_cmp_eq_u32_e32 vcc, 17, v0
	ds_read_b32 v24, v108
	v_cndmask_b32_e32 v23, v23, v19, vcc
	v_cmp_eq_u32_e32 vcc, 18, v0
	v_cndmask_b32_e32 v23, v23, v20, vcc
	v_cmp_eq_u32_e32 vcc, 19, v0
	;; [unrolled: 2-line block ×3, first 2 shown]
	v_cndmask_b32_e32 v23, v23, v22, vcc
	s_waitcnt lgkmcnt(0)
	v_mul_f32_e32 v25, v23, v24
	s_cbranch_execz .LBB84_360
	s_branch .LBB84_361
.LBB84_359:
                                        ; implicit-def: $vgpr25
.LBB84_360:
	ds_read_b32 v25, v108
.LBB84_361:
	v_cmp_ne_u32_e32 vcc, 6, v0
	s_and_saveexec_b64 s[14:15], vcc
	s_cbranch_execz .LBB84_365
; %bb.362:
	v_mov_b32_e32 v23, 0x64
	v_lshl_add_u32 v26, v0, 2, v23
	v_mov_b32_e32 v24, v1
	s_mov_b64 s[16:17], 0
	v_mov_b32_e32 v23, v0
.LBB84_363:                             ; =>This Inner Loop Header: Depth=1
	v_add_co_u32_e32 v23, vcc, 1, v23
	v_addc_co_u32_e32 v24, vcc, 0, v24, vcc
	v_cmp_eq_u32_e32 vcc, 1, v23
	v_cndmask_b32_e32 v28, v2, v3, vcc
	v_cmp_lt_u32_e32 vcc, 5, v23
	v_cmp_eq_u32_e64 s[10:11], 2, v23
	v_cndmask_b32_e64 v28, v28, v4, s[10:11]
	s_or_b64 s[16:17], vcc, s[16:17]
	v_cmp_eq_u32_e32 vcc, 3, v23
	v_cndmask_b32_e32 v28, v28, v5, vcc
	v_cmp_eq_u32_e32 vcc, 4, v23
	v_cndmask_b32_e32 v28, v28, v6, vcc
	v_cmp_eq_u32_e32 vcc, 5, v23
	v_cndmask_b32_e32 v28, v28, v7, vcc
	v_cmp_eq_u32_e32 vcc, 6, v23
	v_cndmask_b32_e32 v28, v28, v8, vcc
	v_cmp_eq_u32_e32 vcc, 7, v23
	v_cndmask_b32_e32 v28, v28, v9, vcc
	v_cmp_eq_u32_e32 vcc, 8, v23
	v_cndmask_b32_e32 v28, v28, v10, vcc
	v_cmp_eq_u32_e32 vcc, 9, v23
	v_cndmask_b32_e32 v28, v28, v11, vcc
	v_cmp_eq_u32_e32 vcc, 10, v23
	v_cndmask_b32_e32 v28, v28, v12, vcc
	v_cmp_eq_u32_e32 vcc, 11, v23
	v_cndmask_b32_e32 v28, v28, v13, vcc
	v_cmp_eq_u32_e32 vcc, 12, v23
	v_cndmask_b32_e32 v28, v28, v14, vcc
	v_cmp_eq_u32_e32 vcc, 13, v23
	v_cndmask_b32_e32 v28, v28, v15, vcc
	v_cmp_eq_u32_e32 vcc, 14, v23
	v_cndmask_b32_e32 v28, v28, v16, vcc
	v_cmp_eq_u32_e32 vcc, 15, v23
	v_cndmask_b32_e32 v28, v28, v17, vcc
	v_cmp_eq_u32_e32 vcc, 16, v23
	ds_read_b32 v27, v26
	v_cndmask_b32_e32 v28, v28, v18, vcc
	v_cmp_eq_u32_e32 vcc, 17, v23
	v_cndmask_b32_e32 v28, v28, v19, vcc
	v_cmp_eq_u32_e32 vcc, 18, v23
	;; [unrolled: 2-line block ×4, first 2 shown]
	v_cndmask_b32_e32 v28, v28, v22, vcc
	v_add_u32_e32 v26, 4, v26
	s_waitcnt lgkmcnt(0)
	v_fmac_f32_e32 v25, v28, v27
	s_andn2_b64 exec, exec, s[16:17]
	s_cbranch_execnz .LBB84_363
; %bb.364:
	s_or_b64 exec, exec, s[16:17]
.LBB84_365:
	s_or_b64 exec, exec, s[14:15]
	v_mov_b32_e32 v9, 0
	ds_read_b32 v9, v9 offset:28
	s_waitcnt lgkmcnt(0)
	v_mul_f32_e32 v9, v25, v9
.LBB84_366:
	s_or_b64 exec, exec, s[12:13]
	v_cmp_gt_u32_e32 vcc, 8, v0
	ds_write_b32 v108, v10
	s_waitcnt lgkmcnt(0)
	; wave barrier
	s_and_saveexec_b64 s[12:13], vcc
	s_cbranch_execz .LBB84_376
; %bb.367:
	s_and_b64 vcc, exec, s[0:1]
	s_cbranch_vccnz .LBB84_369
; %bb.368:
	v_cmp_eq_u32_e32 vcc, 1, v0
	v_cndmask_b32_e32 v23, v2, v3, vcc
	v_cmp_eq_u32_e32 vcc, 2, v0
	v_cndmask_b32_e32 v23, v23, v4, vcc
	;; [unrolled: 2-line block ×16, first 2 shown]
	v_cmp_eq_u32_e32 vcc, 17, v0
	ds_read_b32 v24, v108
	v_cndmask_b32_e32 v23, v23, v19, vcc
	v_cmp_eq_u32_e32 vcc, 18, v0
	v_cndmask_b32_e32 v23, v23, v20, vcc
	v_cmp_eq_u32_e32 vcc, 19, v0
	;; [unrolled: 2-line block ×3, first 2 shown]
	v_cndmask_b32_e32 v23, v23, v22, vcc
	s_waitcnt lgkmcnt(0)
	v_mul_f32_e32 v25, v23, v24
	s_cbranch_execz .LBB84_370
	s_branch .LBB84_371
.LBB84_369:
                                        ; implicit-def: $vgpr25
.LBB84_370:
	ds_read_b32 v25, v108
.LBB84_371:
	v_cmp_ne_u32_e32 vcc, 7, v0
	s_and_saveexec_b64 s[14:15], vcc
	s_cbranch_execz .LBB84_375
; %bb.372:
	v_mov_b32_e32 v23, 0x64
	v_lshl_add_u32 v26, v0, 2, v23
	v_mov_b32_e32 v24, v1
	s_mov_b64 s[16:17], 0
	v_mov_b32_e32 v23, v0
.LBB84_373:                             ; =>This Inner Loop Header: Depth=1
	v_add_co_u32_e32 v23, vcc, 1, v23
	v_addc_co_u32_e32 v24, vcc, 0, v24, vcc
	v_cmp_eq_u32_e32 vcc, 1, v23
	v_cndmask_b32_e32 v28, v2, v3, vcc
	v_cmp_lt_u32_e32 vcc, 6, v23
	v_cmp_eq_u32_e64 s[10:11], 2, v23
	v_cndmask_b32_e64 v28, v28, v4, s[10:11]
	s_or_b64 s[16:17], vcc, s[16:17]
	v_cmp_eq_u32_e32 vcc, 3, v23
	v_cndmask_b32_e32 v28, v28, v5, vcc
	v_cmp_eq_u32_e32 vcc, 4, v23
	v_cndmask_b32_e32 v28, v28, v6, vcc
	v_cmp_eq_u32_e32 vcc, 5, v23
	v_cndmask_b32_e32 v28, v28, v7, vcc
	v_cmp_eq_u32_e32 vcc, 6, v23
	v_cndmask_b32_e32 v28, v28, v8, vcc
	v_cmp_eq_u32_e32 vcc, 7, v23
	v_cndmask_b32_e32 v28, v28, v9, vcc
	v_cmp_eq_u32_e32 vcc, 8, v23
	v_cndmask_b32_e32 v28, v28, v10, vcc
	v_cmp_eq_u32_e32 vcc, 9, v23
	v_cndmask_b32_e32 v28, v28, v11, vcc
	v_cmp_eq_u32_e32 vcc, 10, v23
	v_cndmask_b32_e32 v28, v28, v12, vcc
	v_cmp_eq_u32_e32 vcc, 11, v23
	v_cndmask_b32_e32 v28, v28, v13, vcc
	v_cmp_eq_u32_e32 vcc, 12, v23
	v_cndmask_b32_e32 v28, v28, v14, vcc
	v_cmp_eq_u32_e32 vcc, 13, v23
	v_cndmask_b32_e32 v28, v28, v15, vcc
	v_cmp_eq_u32_e32 vcc, 14, v23
	v_cndmask_b32_e32 v28, v28, v16, vcc
	v_cmp_eq_u32_e32 vcc, 15, v23
	v_cndmask_b32_e32 v28, v28, v17, vcc
	v_cmp_eq_u32_e32 vcc, 16, v23
	ds_read_b32 v27, v26
	v_cndmask_b32_e32 v28, v28, v18, vcc
	v_cmp_eq_u32_e32 vcc, 17, v23
	v_cndmask_b32_e32 v28, v28, v19, vcc
	v_cmp_eq_u32_e32 vcc, 18, v23
	;; [unrolled: 2-line block ×4, first 2 shown]
	v_cndmask_b32_e32 v28, v28, v22, vcc
	v_add_u32_e32 v26, 4, v26
	s_waitcnt lgkmcnt(0)
	v_fmac_f32_e32 v25, v28, v27
	s_andn2_b64 exec, exec, s[16:17]
	s_cbranch_execnz .LBB84_373
; %bb.374:
	s_or_b64 exec, exec, s[16:17]
.LBB84_375:
	s_or_b64 exec, exec, s[14:15]
	v_mov_b32_e32 v10, 0
	ds_read_b32 v10, v10 offset:32
	s_waitcnt lgkmcnt(0)
	v_mul_f32_e32 v10, v25, v10
.LBB84_376:
	s_or_b64 exec, exec, s[12:13]
	v_cmp_gt_u32_e32 vcc, 9, v0
	ds_write_b32 v108, v11
	s_waitcnt lgkmcnt(0)
	; wave barrier
	s_and_saveexec_b64 s[10:11], vcc
	s_cbranch_execz .LBB84_398
; %bb.377:
	s_and_b64 vcc, exec, s[0:1]
	s_cbranch_vccnz .LBB84_379
; %bb.378:
	v_cmp_eq_u32_e32 vcc, 1, v0
	v_cndmask_b32_e32 v23, v2, v3, vcc
	v_cmp_eq_u32_e32 vcc, 2, v0
	v_cndmask_b32_e32 v23, v23, v4, vcc
	;; [unrolled: 2-line block ×16, first 2 shown]
	v_cmp_eq_u32_e32 vcc, 17, v0
	ds_read_b32 v24, v108
	v_cndmask_b32_e32 v23, v23, v19, vcc
	v_cmp_eq_u32_e32 vcc, 18, v0
	v_cndmask_b32_e32 v23, v23, v20, vcc
	v_cmp_eq_u32_e32 vcc, 19, v0
	;; [unrolled: 2-line block ×3, first 2 shown]
	v_cndmask_b32_e32 v23, v23, v22, vcc
	s_waitcnt lgkmcnt(0)
	v_mul_f32_e32 v23, v23, v24
	s_cbranch_execz .LBB84_380
	s_branch .LBB84_381
.LBB84_379:
                                        ; implicit-def: $vgpr23
.LBB84_380:
	ds_read_b32 v23, v108
.LBB84_381:
	v_cmp_ne_u32_e32 vcc, 8, v0
	s_and_saveexec_b64 s[12:13], vcc
	s_cbranch_execz .LBB84_397
; %bb.382:
	v_cmp_eq_u32_e32 vcc, 1, v34
	v_cndmask_b32_e32 v24, v2, v3, vcc
	v_cmp_eq_u32_e32 vcc, 2, v34
	v_cndmask_b32_e32 v24, v24, v4, vcc
	;; [unrolled: 2-line block ×16, first 2 shown]
	v_cmp_eq_u32_e32 vcc, 17, v34
	ds_read_b32 v25, v108 offset:4
	v_cndmask_b32_e32 v24, v24, v19, vcc
	v_cmp_eq_u32_e32 vcc, 18, v34
	v_cndmask_b32_e32 v24, v24, v20, vcc
	v_cmp_eq_u32_e32 vcc, 19, v34
	;; [unrolled: 2-line block ×3, first 2 shown]
	v_cndmask_b32_e32 v24, v24, v22, vcc
	s_waitcnt lgkmcnt(0)
	v_fmac_f32_e32 v23, v24, v25
	s_and_saveexec_b64 s[14:15], s[8:9]
	s_cbranch_execz .LBB84_396
; %bb.383:
	v_add_u32_e32 v24, 2, v0
	v_cmp_eq_u32_e32 vcc, 1, v24
	v_cndmask_b32_e32 v25, v2, v3, vcc
	v_cmp_eq_u32_e32 vcc, 2, v24
	v_cndmask_b32_e32 v25, v25, v4, vcc
	v_cmp_eq_u32_e32 vcc, 3, v24
	v_cndmask_b32_e32 v25, v25, v5, vcc
	v_cmp_eq_u32_e32 vcc, 4, v24
	v_cndmask_b32_e32 v25, v25, v6, vcc
	v_cmp_eq_u32_e32 vcc, 5, v24
	v_cndmask_b32_e32 v25, v25, v7, vcc
	v_cmp_eq_u32_e32 vcc, 6, v24
	v_cndmask_b32_e32 v25, v25, v8, vcc
	v_cmp_eq_u32_e32 vcc, 7, v24
	v_cndmask_b32_e32 v25, v25, v9, vcc
	v_cmp_eq_u32_e32 vcc, 8, v24
	v_cndmask_b32_e32 v25, v25, v10, vcc
	v_cmp_eq_u32_e32 vcc, 9, v24
	v_cndmask_b32_e32 v25, v25, v11, vcc
	v_cmp_eq_u32_e32 vcc, 10, v24
	v_cndmask_b32_e32 v25, v25, v12, vcc
	v_cmp_eq_u32_e32 vcc, 11, v24
	v_cndmask_b32_e32 v25, v25, v13, vcc
	v_cmp_eq_u32_e32 vcc, 12, v24
	v_cndmask_b32_e32 v25, v25, v14, vcc
	v_cmp_eq_u32_e32 vcc, 13, v24
	v_cndmask_b32_e32 v25, v25, v15, vcc
	v_cmp_eq_u32_e32 vcc, 14, v24
	v_cndmask_b32_e32 v25, v25, v16, vcc
	v_cmp_eq_u32_e32 vcc, 15, v24
	v_cndmask_b32_e32 v25, v25, v17, vcc
	v_cmp_eq_u32_e32 vcc, 16, v24
	v_cndmask_b32_e32 v25, v25, v18, vcc
	v_cmp_eq_u32_e32 vcc, 17, v24
	ds_read_b32 v26, v108 offset:8
	v_cndmask_b32_e32 v25, v25, v19, vcc
	v_cmp_eq_u32_e32 vcc, 18, v24
	v_cndmask_b32_e32 v25, v25, v20, vcc
	v_cmp_eq_u32_e32 vcc, 19, v24
	;; [unrolled: 2-line block ×3, first 2 shown]
	v_cndmask_b32_e32 v24, v25, v22, vcc
	s_waitcnt lgkmcnt(0)
	v_fmac_f32_e32 v23, v24, v26
	v_cmp_ne_u32_e32 vcc, 6, v0
	s_and_saveexec_b64 s[8:9], vcc
	s_cbranch_execz .LBB84_395
; %bb.384:
	v_add_u32_e32 v24, 3, v0
	v_cmp_eq_u32_e32 vcc, 1, v24
	v_cndmask_b32_e32 v25, v2, v3, vcc
	v_cmp_eq_u32_e32 vcc, 2, v24
	v_cndmask_b32_e32 v25, v25, v4, vcc
	;; [unrolled: 2-line block ×16, first 2 shown]
	v_cmp_eq_u32_e32 vcc, 17, v24
	ds_read_b32 v26, v108 offset:12
	v_cndmask_b32_e32 v25, v25, v19, vcc
	v_cmp_eq_u32_e32 vcc, 18, v24
	v_cndmask_b32_e32 v25, v25, v20, vcc
	v_cmp_eq_u32_e32 vcc, 19, v24
	;; [unrolled: 2-line block ×3, first 2 shown]
	v_cndmask_b32_e32 v24, v25, v22, vcc
	s_waitcnt lgkmcnt(0)
	v_fmac_f32_e32 v23, v24, v26
	s_and_saveexec_b64 s[16:17], s[6:7]
	s_cbranch_execz .LBB84_394
; %bb.385:
	v_add_u32_e32 v24, 4, v0
	v_cmp_eq_u32_e32 vcc, 1, v24
	v_cndmask_b32_e32 v25, v2, v3, vcc
	v_cmp_eq_u32_e32 vcc, 2, v24
	v_cndmask_b32_e32 v25, v25, v4, vcc
	;; [unrolled: 2-line block ×16, first 2 shown]
	v_cmp_eq_u32_e32 vcc, 17, v24
	ds_read_b32 v26, v108 offset:16
	v_cndmask_b32_e32 v25, v25, v19, vcc
	v_cmp_eq_u32_e32 vcc, 18, v24
	v_cndmask_b32_e32 v25, v25, v20, vcc
	v_cmp_eq_u32_e32 vcc, 19, v24
	;; [unrolled: 2-line block ×3, first 2 shown]
	v_cndmask_b32_e32 v24, v25, v22, vcc
	s_waitcnt lgkmcnt(0)
	v_fmac_f32_e32 v23, v24, v26
	v_cmp_ne_u32_e32 vcc, 4, v0
	s_and_saveexec_b64 s[6:7], vcc
	s_cbranch_execz .LBB84_393
; %bb.386:
	v_add_u32_e32 v24, 5, v0
	v_cmp_eq_u32_e32 vcc, 1, v24
	v_cndmask_b32_e32 v25, v2, v3, vcc
	v_cmp_eq_u32_e32 vcc, 2, v24
	v_cndmask_b32_e32 v25, v25, v4, vcc
	v_cmp_eq_u32_e32 vcc, 3, v24
	v_cndmask_b32_e32 v25, v25, v5, vcc
	v_cmp_eq_u32_e32 vcc, 4, v24
	v_cndmask_b32_e32 v25, v25, v6, vcc
	v_cmp_eq_u32_e32 vcc, 5, v24
	v_cndmask_b32_e32 v25, v25, v7, vcc
	v_cmp_eq_u32_e32 vcc, 6, v24
	v_cndmask_b32_e32 v25, v25, v8, vcc
	v_cmp_eq_u32_e32 vcc, 7, v24
	v_cndmask_b32_e32 v25, v25, v9, vcc
	v_cmp_eq_u32_e32 vcc, 8, v24
	v_cndmask_b32_e32 v25, v25, v10, vcc
	v_cmp_eq_u32_e32 vcc, 9, v24
	v_cndmask_b32_e32 v25, v25, v11, vcc
	v_cmp_eq_u32_e32 vcc, 10, v24
	v_cndmask_b32_e32 v25, v25, v12, vcc
	v_cmp_eq_u32_e32 vcc, 11, v24
	v_cndmask_b32_e32 v25, v25, v13, vcc
	v_cmp_eq_u32_e32 vcc, 12, v24
	v_cndmask_b32_e32 v25, v25, v14, vcc
	v_cmp_eq_u32_e32 vcc, 13, v24
	v_cndmask_b32_e32 v25, v25, v15, vcc
	v_cmp_eq_u32_e32 vcc, 14, v24
	v_cndmask_b32_e32 v25, v25, v16, vcc
	v_cmp_eq_u32_e32 vcc, 15, v24
	v_cndmask_b32_e32 v25, v25, v17, vcc
	v_cmp_eq_u32_e32 vcc, 16, v24
	v_cndmask_b32_e32 v25, v25, v18, vcc
	v_cmp_eq_u32_e32 vcc, 17, v24
	ds_read_b32 v26, v108 offset:20
	v_cndmask_b32_e32 v25, v25, v19, vcc
	v_cmp_eq_u32_e32 vcc, 18, v24
	v_cndmask_b32_e32 v25, v25, v20, vcc
	v_cmp_eq_u32_e32 vcc, 19, v24
	;; [unrolled: 2-line block ×3, first 2 shown]
	v_cndmask_b32_e32 v24, v25, v22, vcc
	s_waitcnt lgkmcnt(0)
	v_fmac_f32_e32 v23, v24, v26
	s_and_saveexec_b64 s[18:19], s[4:5]
	s_cbranch_execz .LBB84_392
; %bb.387:
	v_add_u32_e32 v24, 6, v0
	v_cmp_eq_u32_e32 vcc, 1, v24
	v_cndmask_b32_e32 v25, v2, v3, vcc
	v_cmp_eq_u32_e32 vcc, 2, v24
	v_cndmask_b32_e32 v25, v25, v4, vcc
	;; [unrolled: 2-line block ×16, first 2 shown]
	v_cmp_eq_u32_e32 vcc, 17, v24
	ds_read_b32 v26, v108 offset:24
	v_cndmask_b32_e32 v25, v25, v19, vcc
	v_cmp_eq_u32_e32 vcc, 18, v24
	v_cndmask_b32_e32 v25, v25, v20, vcc
	v_cmp_eq_u32_e32 vcc, 19, v24
	;; [unrolled: 2-line block ×3, first 2 shown]
	v_cndmask_b32_e32 v24, v25, v22, vcc
	s_waitcnt lgkmcnt(0)
	v_fmac_f32_e32 v23, v24, v26
	v_cmp_ne_u32_e32 vcc, 2, v0
	s_and_saveexec_b64 s[4:5], vcc
	s_cbranch_execz .LBB84_391
; %bb.388:
	v_add_u32_e32 v24, 7, v0
	v_cmp_eq_u32_e32 vcc, 1, v24
	v_cndmask_b32_e32 v25, v2, v3, vcc
	v_cmp_eq_u32_e32 vcc, 2, v24
	v_cndmask_b32_e32 v25, v25, v4, vcc
	;; [unrolled: 2-line block ×16, first 2 shown]
	v_cmp_eq_u32_e32 vcc, 17, v24
	ds_read_b32 v25, v108 offset:28
	v_cndmask_b32_e32 v11, v11, v19, vcc
	v_cmp_eq_u32_e32 vcc, 18, v24
	v_cndmask_b32_e32 v11, v11, v20, vcc
	v_cmp_eq_u32_e32 vcc, 19, v24
	v_cndmask_b32_e32 v11, v11, v21, vcc
	v_cmp_eq_u32_e32 vcc, 20, v24
	v_cndmask_b32_e32 v11, v11, v22, vcc
	s_waitcnt lgkmcnt(0)
	v_fmac_f32_e32 v23, v11, v25
	s_and_saveexec_b64 s[20:21], s[2:3]
	s_cbranch_execz .LBB84_390
; %bb.389:
	ds_read_b32 v11, v108 offset:32
	s_waitcnt lgkmcnt(0)
	v_fmac_f32_e32 v23, v10, v11
.LBB84_390:
	s_or_b64 exec, exec, s[20:21]
.LBB84_391:
	s_or_b64 exec, exec, s[4:5]
.LBB84_392:
	s_or_b64 exec, exec, s[18:19]
.LBB84_393:
	s_or_b64 exec, exec, s[6:7]
.LBB84_394:
	s_or_b64 exec, exec, s[16:17]
.LBB84_395:
	s_or_b64 exec, exec, s[8:9]
.LBB84_396:
	s_or_b64 exec, exec, s[14:15]
.LBB84_397:
	s_or_b64 exec, exec, s[12:13]
	v_mov_b32_e32 v11, 0
	ds_read_b32 v11, v11 offset:36
	s_waitcnt lgkmcnt(0)
	v_mul_f32_e32 v11, v23, v11
.LBB84_398:
	s_or_b64 exec, exec, s[10:11]
	v_cmp_gt_u32_e32 vcc, 10, v0
	ds_write_b32 v108, v12
	s_waitcnt lgkmcnt(0)
	; wave barrier
	s_and_saveexec_b64 s[4:5], vcc
	s_cbranch_execz .LBB84_408
; %bb.399:
	s_and_b64 vcc, exec, s[0:1]
	s_cbranch_vccnz .LBB84_401
; %bb.400:
	v_cmp_eq_u32_e32 vcc, 1, v0
	v_cndmask_b32_e32 v23, v2, v3, vcc
	v_cmp_eq_u32_e32 vcc, 2, v0
	v_cndmask_b32_e32 v23, v23, v4, vcc
	;; [unrolled: 2-line block ×16, first 2 shown]
	v_cmp_eq_u32_e32 vcc, 17, v0
	ds_read_b32 v24, v108
	v_cndmask_b32_e32 v23, v23, v19, vcc
	v_cmp_eq_u32_e32 vcc, 18, v0
	v_cndmask_b32_e32 v23, v23, v20, vcc
	v_cmp_eq_u32_e32 vcc, 19, v0
	;; [unrolled: 2-line block ×3, first 2 shown]
	v_cndmask_b32_e32 v23, v23, v22, vcc
	s_waitcnt lgkmcnt(0)
	v_mul_f32_e32 v25, v23, v24
	s_cbranch_execz .LBB84_402
	s_branch .LBB84_403
.LBB84_401:
                                        ; implicit-def: $vgpr25
.LBB84_402:
	ds_read_b32 v25, v108
.LBB84_403:
	v_cmp_ne_u32_e32 vcc, 9, v0
	s_and_saveexec_b64 s[6:7], vcc
	s_cbranch_execz .LBB84_407
; %bb.404:
	v_mov_b32_e32 v23, 0x64
	v_lshl_add_u32 v26, v0, 2, v23
	v_mov_b32_e32 v24, v1
	s_mov_b64 s[8:9], 0
	v_mov_b32_e32 v23, v0
.LBB84_405:                             ; =>This Inner Loop Header: Depth=1
	v_add_co_u32_e32 v23, vcc, 1, v23
	v_addc_co_u32_e32 v24, vcc, 0, v24, vcc
	v_cmp_eq_u32_e32 vcc, 1, v23
	v_cndmask_b32_e32 v28, v2, v3, vcc
	v_cmp_lt_u32_e32 vcc, 8, v23
	v_cmp_eq_u32_e64 s[2:3], 2, v23
	v_cndmask_b32_e64 v28, v28, v4, s[2:3]
	s_or_b64 s[8:9], vcc, s[8:9]
	v_cmp_eq_u32_e32 vcc, 3, v23
	v_cndmask_b32_e32 v28, v28, v5, vcc
	v_cmp_eq_u32_e32 vcc, 4, v23
	v_cndmask_b32_e32 v28, v28, v6, vcc
	;; [unrolled: 2-line block ×13, first 2 shown]
	v_cmp_eq_u32_e32 vcc, 16, v23
	ds_read_b32 v27, v26
	v_cndmask_b32_e32 v28, v28, v18, vcc
	v_cmp_eq_u32_e32 vcc, 17, v23
	v_cndmask_b32_e32 v28, v28, v19, vcc
	v_cmp_eq_u32_e32 vcc, 18, v23
	;; [unrolled: 2-line block ×4, first 2 shown]
	v_cndmask_b32_e32 v28, v28, v22, vcc
	v_add_u32_e32 v26, 4, v26
	s_waitcnt lgkmcnt(0)
	v_fmac_f32_e32 v25, v28, v27
	s_andn2_b64 exec, exec, s[8:9]
	s_cbranch_execnz .LBB84_405
; %bb.406:
	s_or_b64 exec, exec, s[8:9]
.LBB84_407:
	s_or_b64 exec, exec, s[6:7]
	v_mov_b32_e32 v12, 0
	ds_read_b32 v12, v12 offset:40
	s_waitcnt lgkmcnt(0)
	v_mul_f32_e32 v12, v25, v12
.LBB84_408:
	s_or_b64 exec, exec, s[4:5]
	v_cmp_gt_u32_e32 vcc, 11, v0
	ds_write_b32 v108, v13
	s_waitcnt lgkmcnt(0)
	; wave barrier
	s_and_saveexec_b64 s[4:5], vcc
	s_cbranch_execz .LBB84_418
; %bb.409:
	s_and_b64 vcc, exec, s[0:1]
	s_cbranch_vccnz .LBB84_411
; %bb.410:
	v_cmp_eq_u32_e32 vcc, 1, v0
	v_cndmask_b32_e32 v23, v2, v3, vcc
	v_cmp_eq_u32_e32 vcc, 2, v0
	v_cndmask_b32_e32 v23, v23, v4, vcc
	;; [unrolled: 2-line block ×16, first 2 shown]
	v_cmp_eq_u32_e32 vcc, 17, v0
	ds_read_b32 v24, v108
	v_cndmask_b32_e32 v23, v23, v19, vcc
	v_cmp_eq_u32_e32 vcc, 18, v0
	v_cndmask_b32_e32 v23, v23, v20, vcc
	v_cmp_eq_u32_e32 vcc, 19, v0
	;; [unrolled: 2-line block ×3, first 2 shown]
	v_cndmask_b32_e32 v23, v23, v22, vcc
	s_waitcnt lgkmcnt(0)
	v_mul_f32_e32 v25, v23, v24
	s_cbranch_execz .LBB84_412
	s_branch .LBB84_413
.LBB84_411:
                                        ; implicit-def: $vgpr25
.LBB84_412:
	ds_read_b32 v25, v108
.LBB84_413:
	v_cmp_ne_u32_e32 vcc, 10, v0
	s_and_saveexec_b64 s[6:7], vcc
	s_cbranch_execz .LBB84_417
; %bb.414:
	v_mov_b32_e32 v23, 0x64
	v_lshl_add_u32 v26, v0, 2, v23
	v_mov_b32_e32 v24, v1
	s_mov_b64 s[8:9], 0
	v_mov_b32_e32 v23, v0
.LBB84_415:                             ; =>This Inner Loop Header: Depth=1
	v_add_co_u32_e32 v23, vcc, 1, v23
	v_addc_co_u32_e32 v24, vcc, 0, v24, vcc
	v_cmp_eq_u32_e32 vcc, 1, v23
	v_cndmask_b32_e32 v28, v2, v3, vcc
	v_cmp_lt_u32_e32 vcc, 9, v23
	v_cmp_eq_u32_e64 s[2:3], 2, v23
	v_cndmask_b32_e64 v28, v28, v4, s[2:3]
	s_or_b64 s[8:9], vcc, s[8:9]
	v_cmp_eq_u32_e32 vcc, 3, v23
	v_cndmask_b32_e32 v28, v28, v5, vcc
	v_cmp_eq_u32_e32 vcc, 4, v23
	v_cndmask_b32_e32 v28, v28, v6, vcc
	;; [unrolled: 2-line block ×13, first 2 shown]
	v_cmp_eq_u32_e32 vcc, 16, v23
	ds_read_b32 v27, v26
	v_cndmask_b32_e32 v28, v28, v18, vcc
	v_cmp_eq_u32_e32 vcc, 17, v23
	v_cndmask_b32_e32 v28, v28, v19, vcc
	v_cmp_eq_u32_e32 vcc, 18, v23
	;; [unrolled: 2-line block ×4, first 2 shown]
	v_cndmask_b32_e32 v28, v28, v22, vcc
	v_add_u32_e32 v26, 4, v26
	s_waitcnt lgkmcnt(0)
	v_fmac_f32_e32 v25, v28, v27
	s_andn2_b64 exec, exec, s[8:9]
	s_cbranch_execnz .LBB84_415
; %bb.416:
	s_or_b64 exec, exec, s[8:9]
.LBB84_417:
	s_or_b64 exec, exec, s[6:7]
	v_mov_b32_e32 v13, 0
	ds_read_b32 v13, v13 offset:44
	s_waitcnt lgkmcnt(0)
	v_mul_f32_e32 v13, v25, v13
.LBB84_418:
	s_or_b64 exec, exec, s[4:5]
	v_cmp_gt_u32_e32 vcc, 12, v0
	ds_write_b32 v108, v14
	s_waitcnt lgkmcnt(0)
	; wave barrier
	s_and_saveexec_b64 s[4:5], vcc
	s_cbranch_execz .LBB84_428
; %bb.419:
	s_and_b64 vcc, exec, s[0:1]
	s_cbranch_vccnz .LBB84_421
; %bb.420:
	v_cmp_eq_u32_e32 vcc, 1, v0
	v_cndmask_b32_e32 v23, v2, v3, vcc
	v_cmp_eq_u32_e32 vcc, 2, v0
	v_cndmask_b32_e32 v23, v23, v4, vcc
	;; [unrolled: 2-line block ×16, first 2 shown]
	v_cmp_eq_u32_e32 vcc, 17, v0
	ds_read_b32 v24, v108
	v_cndmask_b32_e32 v23, v23, v19, vcc
	v_cmp_eq_u32_e32 vcc, 18, v0
	v_cndmask_b32_e32 v23, v23, v20, vcc
	v_cmp_eq_u32_e32 vcc, 19, v0
	;; [unrolled: 2-line block ×3, first 2 shown]
	v_cndmask_b32_e32 v23, v23, v22, vcc
	s_waitcnt lgkmcnt(0)
	v_mul_f32_e32 v25, v23, v24
	s_cbranch_execz .LBB84_422
	s_branch .LBB84_423
.LBB84_421:
                                        ; implicit-def: $vgpr25
.LBB84_422:
	ds_read_b32 v25, v108
.LBB84_423:
	v_cmp_ne_u32_e32 vcc, 11, v0
	s_and_saveexec_b64 s[6:7], vcc
	s_cbranch_execz .LBB84_427
; %bb.424:
	v_mov_b32_e32 v23, 0x64
	v_lshl_add_u32 v26, v0, 2, v23
	v_mov_b32_e32 v24, v1
	s_mov_b64 s[8:9], 0
	v_mov_b32_e32 v23, v0
.LBB84_425:                             ; =>This Inner Loop Header: Depth=1
	v_add_co_u32_e32 v23, vcc, 1, v23
	v_addc_co_u32_e32 v24, vcc, 0, v24, vcc
	v_cmp_eq_u32_e32 vcc, 1, v23
	v_cndmask_b32_e32 v28, v2, v3, vcc
	v_cmp_lt_u32_e32 vcc, 10, v23
	v_cmp_eq_u32_e64 s[2:3], 2, v23
	v_cndmask_b32_e64 v28, v28, v4, s[2:3]
	s_or_b64 s[8:9], vcc, s[8:9]
	v_cmp_eq_u32_e32 vcc, 3, v23
	v_cndmask_b32_e32 v28, v28, v5, vcc
	v_cmp_eq_u32_e32 vcc, 4, v23
	v_cndmask_b32_e32 v28, v28, v6, vcc
	;; [unrolled: 2-line block ×13, first 2 shown]
	v_cmp_eq_u32_e32 vcc, 16, v23
	ds_read_b32 v27, v26
	v_cndmask_b32_e32 v28, v28, v18, vcc
	v_cmp_eq_u32_e32 vcc, 17, v23
	v_cndmask_b32_e32 v28, v28, v19, vcc
	v_cmp_eq_u32_e32 vcc, 18, v23
	;; [unrolled: 2-line block ×4, first 2 shown]
	v_cndmask_b32_e32 v28, v28, v22, vcc
	v_add_u32_e32 v26, 4, v26
	s_waitcnt lgkmcnt(0)
	v_fmac_f32_e32 v25, v28, v27
	s_andn2_b64 exec, exec, s[8:9]
	s_cbranch_execnz .LBB84_425
; %bb.426:
	s_or_b64 exec, exec, s[8:9]
.LBB84_427:
	s_or_b64 exec, exec, s[6:7]
	v_mov_b32_e32 v14, 0
	ds_read_b32 v14, v14 offset:48
	s_waitcnt lgkmcnt(0)
	v_mul_f32_e32 v14, v25, v14
.LBB84_428:
	s_or_b64 exec, exec, s[4:5]
	v_cmp_gt_u32_e32 vcc, 13, v0
	ds_write_b32 v108, v15
	s_waitcnt lgkmcnt(0)
	; wave barrier
	s_and_saveexec_b64 s[4:5], vcc
	s_cbranch_execz .LBB84_438
; %bb.429:
	s_and_b64 vcc, exec, s[0:1]
	s_cbranch_vccnz .LBB84_431
; %bb.430:
	v_cmp_eq_u32_e32 vcc, 1, v0
	v_cndmask_b32_e32 v23, v2, v3, vcc
	v_cmp_eq_u32_e32 vcc, 2, v0
	v_cndmask_b32_e32 v23, v23, v4, vcc
	v_cmp_eq_u32_e32 vcc, 3, v0
	v_cndmask_b32_e32 v23, v23, v5, vcc
	v_cmp_eq_u32_e32 vcc, 4, v0
	v_cndmask_b32_e32 v23, v23, v6, vcc
	v_cmp_eq_u32_e32 vcc, 5, v0
	v_cndmask_b32_e32 v23, v23, v7, vcc
	v_cmp_eq_u32_e32 vcc, 6, v0
	v_cndmask_b32_e32 v23, v23, v8, vcc
	v_cmp_eq_u32_e32 vcc, 7, v0
	v_cndmask_b32_e32 v23, v23, v9, vcc
	v_cmp_eq_u32_e32 vcc, 8, v0
	v_cndmask_b32_e32 v23, v23, v10, vcc
	v_cmp_eq_u32_e32 vcc, 9, v0
	v_cndmask_b32_e32 v23, v23, v11, vcc
	v_cmp_eq_u32_e32 vcc, 10, v0
	v_cndmask_b32_e32 v23, v23, v12, vcc
	v_cmp_eq_u32_e32 vcc, 11, v0
	v_cndmask_b32_e32 v23, v23, v13, vcc
	v_cmp_eq_u32_e32 vcc, 12, v0
	v_cndmask_b32_e32 v23, v23, v14, vcc
	v_cmp_eq_u32_e32 vcc, 13, v0
	v_cndmask_b32_e32 v23, v23, v15, vcc
	v_cmp_eq_u32_e32 vcc, 14, v0
	v_cndmask_b32_e32 v23, v23, v16, vcc
	v_cmp_eq_u32_e32 vcc, 15, v0
	v_cndmask_b32_e32 v23, v23, v17, vcc
	v_cmp_eq_u32_e32 vcc, 16, v0
	v_cndmask_b32_e32 v23, v23, v18, vcc
	v_cmp_eq_u32_e32 vcc, 17, v0
	ds_read_b32 v24, v108
	v_cndmask_b32_e32 v23, v23, v19, vcc
	v_cmp_eq_u32_e32 vcc, 18, v0
	v_cndmask_b32_e32 v23, v23, v20, vcc
	v_cmp_eq_u32_e32 vcc, 19, v0
	v_cndmask_b32_e32 v23, v23, v21, vcc
	v_cmp_eq_u32_e32 vcc, 20, v0
	v_cndmask_b32_e32 v23, v23, v22, vcc
	s_waitcnt lgkmcnt(0)
	v_mul_f32_e32 v25, v23, v24
	s_cbranch_execz .LBB84_432
	s_branch .LBB84_433
.LBB84_431:
                                        ; implicit-def: $vgpr25
.LBB84_432:
	ds_read_b32 v25, v108
.LBB84_433:
	v_cmp_ne_u32_e32 vcc, 12, v0
	s_and_saveexec_b64 s[6:7], vcc
	s_cbranch_execz .LBB84_437
; %bb.434:
	v_mov_b32_e32 v23, 0x64
	v_lshl_add_u32 v26, v0, 2, v23
	v_mov_b32_e32 v24, v1
	s_mov_b64 s[8:9], 0
	v_mov_b32_e32 v23, v0
.LBB84_435:                             ; =>This Inner Loop Header: Depth=1
	v_add_co_u32_e32 v23, vcc, 1, v23
	v_addc_co_u32_e32 v24, vcc, 0, v24, vcc
	v_cmp_eq_u32_e32 vcc, 1, v23
	v_cndmask_b32_e32 v28, v2, v3, vcc
	v_cmp_lt_u32_e32 vcc, 11, v23
	v_cmp_eq_u32_e64 s[2:3], 2, v23
	v_cndmask_b32_e64 v28, v28, v4, s[2:3]
	s_or_b64 s[8:9], vcc, s[8:9]
	v_cmp_eq_u32_e32 vcc, 3, v23
	v_cndmask_b32_e32 v28, v28, v5, vcc
	v_cmp_eq_u32_e32 vcc, 4, v23
	v_cndmask_b32_e32 v28, v28, v6, vcc
	;; [unrolled: 2-line block ×13, first 2 shown]
	v_cmp_eq_u32_e32 vcc, 16, v23
	ds_read_b32 v27, v26
	v_cndmask_b32_e32 v28, v28, v18, vcc
	v_cmp_eq_u32_e32 vcc, 17, v23
	v_cndmask_b32_e32 v28, v28, v19, vcc
	v_cmp_eq_u32_e32 vcc, 18, v23
	;; [unrolled: 2-line block ×4, first 2 shown]
	v_cndmask_b32_e32 v28, v28, v22, vcc
	v_add_u32_e32 v26, 4, v26
	s_waitcnt lgkmcnt(0)
	v_fmac_f32_e32 v25, v28, v27
	s_andn2_b64 exec, exec, s[8:9]
	s_cbranch_execnz .LBB84_435
; %bb.436:
	s_or_b64 exec, exec, s[8:9]
.LBB84_437:
	s_or_b64 exec, exec, s[6:7]
	v_mov_b32_e32 v15, 0
	ds_read_b32 v15, v15 offset:52
	s_waitcnt lgkmcnt(0)
	v_mul_f32_e32 v15, v25, v15
.LBB84_438:
	s_or_b64 exec, exec, s[4:5]
	v_cmp_gt_u32_e32 vcc, 14, v0
	ds_write_b32 v108, v16
	s_waitcnt lgkmcnt(0)
	; wave barrier
	s_and_saveexec_b64 s[4:5], vcc
	s_cbranch_execz .LBB84_448
; %bb.439:
	s_and_b64 vcc, exec, s[0:1]
	s_cbranch_vccnz .LBB84_441
; %bb.440:
	v_cmp_eq_u32_e32 vcc, 1, v0
	v_cndmask_b32_e32 v23, v2, v3, vcc
	v_cmp_eq_u32_e32 vcc, 2, v0
	v_cndmask_b32_e32 v23, v23, v4, vcc
	;; [unrolled: 2-line block ×16, first 2 shown]
	v_cmp_eq_u32_e32 vcc, 17, v0
	ds_read_b32 v24, v108
	v_cndmask_b32_e32 v23, v23, v19, vcc
	v_cmp_eq_u32_e32 vcc, 18, v0
	v_cndmask_b32_e32 v23, v23, v20, vcc
	v_cmp_eq_u32_e32 vcc, 19, v0
	v_cndmask_b32_e32 v23, v23, v21, vcc
	v_cmp_eq_u32_e32 vcc, 20, v0
	v_cndmask_b32_e32 v23, v23, v22, vcc
	s_waitcnt lgkmcnt(0)
	v_mul_f32_e32 v25, v23, v24
	s_cbranch_execz .LBB84_442
	s_branch .LBB84_443
.LBB84_441:
                                        ; implicit-def: $vgpr25
.LBB84_442:
	ds_read_b32 v25, v108
.LBB84_443:
	v_cmp_ne_u32_e32 vcc, 13, v0
	s_and_saveexec_b64 s[6:7], vcc
	s_cbranch_execz .LBB84_447
; %bb.444:
	v_mov_b32_e32 v23, 0x64
	v_lshl_add_u32 v26, v0, 2, v23
	v_mov_b32_e32 v24, v1
	s_mov_b64 s[8:9], 0
	v_mov_b32_e32 v23, v0
.LBB84_445:                             ; =>This Inner Loop Header: Depth=1
	v_add_co_u32_e32 v23, vcc, 1, v23
	v_addc_co_u32_e32 v24, vcc, 0, v24, vcc
	v_cmp_eq_u32_e32 vcc, 1, v23
	v_cndmask_b32_e32 v28, v2, v3, vcc
	v_cmp_lt_u32_e32 vcc, 12, v23
	v_cmp_eq_u32_e64 s[2:3], 2, v23
	v_cndmask_b32_e64 v28, v28, v4, s[2:3]
	s_or_b64 s[8:9], vcc, s[8:9]
	v_cmp_eq_u32_e32 vcc, 3, v23
	v_cndmask_b32_e32 v28, v28, v5, vcc
	v_cmp_eq_u32_e32 vcc, 4, v23
	v_cndmask_b32_e32 v28, v28, v6, vcc
	;; [unrolled: 2-line block ×13, first 2 shown]
	v_cmp_eq_u32_e32 vcc, 16, v23
	ds_read_b32 v27, v26
	v_cndmask_b32_e32 v28, v28, v18, vcc
	v_cmp_eq_u32_e32 vcc, 17, v23
	v_cndmask_b32_e32 v28, v28, v19, vcc
	v_cmp_eq_u32_e32 vcc, 18, v23
	;; [unrolled: 2-line block ×4, first 2 shown]
	v_cndmask_b32_e32 v28, v28, v22, vcc
	v_add_u32_e32 v26, 4, v26
	s_waitcnt lgkmcnt(0)
	v_fmac_f32_e32 v25, v28, v27
	s_andn2_b64 exec, exec, s[8:9]
	s_cbranch_execnz .LBB84_445
; %bb.446:
	s_or_b64 exec, exec, s[8:9]
.LBB84_447:
	s_or_b64 exec, exec, s[6:7]
	v_mov_b32_e32 v16, 0
	ds_read_b32 v16, v16 offset:56
	s_waitcnt lgkmcnt(0)
	v_mul_f32_e32 v16, v25, v16
.LBB84_448:
	s_or_b64 exec, exec, s[4:5]
	v_cmp_gt_u32_e32 vcc, 15, v0
	ds_write_b32 v108, v17
	s_waitcnt lgkmcnt(0)
	; wave barrier
	s_and_saveexec_b64 s[4:5], vcc
	s_cbranch_execz .LBB84_458
; %bb.449:
	s_and_b64 vcc, exec, s[0:1]
	s_cbranch_vccnz .LBB84_451
; %bb.450:
	v_cmp_eq_u32_e32 vcc, 1, v0
	v_cndmask_b32_e32 v23, v2, v3, vcc
	v_cmp_eq_u32_e32 vcc, 2, v0
	v_cndmask_b32_e32 v23, v23, v4, vcc
	;; [unrolled: 2-line block ×16, first 2 shown]
	v_cmp_eq_u32_e32 vcc, 17, v0
	ds_read_b32 v24, v108
	v_cndmask_b32_e32 v23, v23, v19, vcc
	v_cmp_eq_u32_e32 vcc, 18, v0
	v_cndmask_b32_e32 v23, v23, v20, vcc
	v_cmp_eq_u32_e32 vcc, 19, v0
	;; [unrolled: 2-line block ×3, first 2 shown]
	v_cndmask_b32_e32 v23, v23, v22, vcc
	s_waitcnt lgkmcnt(0)
	v_mul_f32_e32 v25, v23, v24
	s_cbranch_execz .LBB84_452
	s_branch .LBB84_453
.LBB84_451:
                                        ; implicit-def: $vgpr25
.LBB84_452:
	ds_read_b32 v25, v108
.LBB84_453:
	v_cmp_ne_u32_e32 vcc, 14, v0
	s_and_saveexec_b64 s[6:7], vcc
	s_cbranch_execz .LBB84_457
; %bb.454:
	v_mov_b32_e32 v23, 0x64
	v_lshl_add_u32 v26, v0, 2, v23
	v_mov_b32_e32 v24, v1
	s_mov_b64 s[8:9], 0
	v_mov_b32_e32 v23, v0
.LBB84_455:                             ; =>This Inner Loop Header: Depth=1
	v_add_co_u32_e32 v23, vcc, 1, v23
	v_addc_co_u32_e32 v24, vcc, 0, v24, vcc
	v_cmp_eq_u32_e32 vcc, 1, v23
	v_cndmask_b32_e32 v28, v2, v3, vcc
	v_cmp_lt_u32_e32 vcc, 13, v23
	v_cmp_eq_u32_e64 s[2:3], 2, v23
	v_cndmask_b32_e64 v28, v28, v4, s[2:3]
	s_or_b64 s[8:9], vcc, s[8:9]
	v_cmp_eq_u32_e32 vcc, 3, v23
	v_cndmask_b32_e32 v28, v28, v5, vcc
	v_cmp_eq_u32_e32 vcc, 4, v23
	v_cndmask_b32_e32 v28, v28, v6, vcc
	;; [unrolled: 2-line block ×13, first 2 shown]
	v_cmp_eq_u32_e32 vcc, 16, v23
	ds_read_b32 v27, v26
	v_cndmask_b32_e32 v28, v28, v18, vcc
	v_cmp_eq_u32_e32 vcc, 17, v23
	v_cndmask_b32_e32 v28, v28, v19, vcc
	v_cmp_eq_u32_e32 vcc, 18, v23
	;; [unrolled: 2-line block ×4, first 2 shown]
	v_cndmask_b32_e32 v28, v28, v22, vcc
	v_add_u32_e32 v26, 4, v26
	s_waitcnt lgkmcnt(0)
	v_fmac_f32_e32 v25, v28, v27
	s_andn2_b64 exec, exec, s[8:9]
	s_cbranch_execnz .LBB84_455
; %bb.456:
	s_or_b64 exec, exec, s[8:9]
.LBB84_457:
	s_or_b64 exec, exec, s[6:7]
	v_mov_b32_e32 v17, 0
	ds_read_b32 v17, v17 offset:60
	s_waitcnt lgkmcnt(0)
	v_mul_f32_e32 v17, v25, v17
.LBB84_458:
	s_or_b64 exec, exec, s[4:5]
	v_cmp_gt_u32_e32 vcc, 16, v0
	ds_write_b32 v108, v18
	s_waitcnt lgkmcnt(0)
	; wave barrier
	s_and_saveexec_b64 s[4:5], vcc
	s_cbranch_execz .LBB84_468
; %bb.459:
	s_and_b64 vcc, exec, s[0:1]
	s_cbranch_vccnz .LBB84_461
; %bb.460:
	v_cmp_eq_u32_e32 vcc, 1, v0
	v_cndmask_b32_e32 v23, v2, v3, vcc
	v_cmp_eq_u32_e32 vcc, 2, v0
	v_cndmask_b32_e32 v23, v23, v4, vcc
	;; [unrolled: 2-line block ×16, first 2 shown]
	v_cmp_eq_u32_e32 vcc, 17, v0
	ds_read_b32 v24, v108
	v_cndmask_b32_e32 v23, v23, v19, vcc
	v_cmp_eq_u32_e32 vcc, 18, v0
	v_cndmask_b32_e32 v23, v23, v20, vcc
	v_cmp_eq_u32_e32 vcc, 19, v0
	;; [unrolled: 2-line block ×3, first 2 shown]
	v_cndmask_b32_e32 v23, v23, v22, vcc
	s_waitcnt lgkmcnt(0)
	v_mul_f32_e32 v25, v23, v24
	s_cbranch_execz .LBB84_462
	s_branch .LBB84_463
.LBB84_461:
                                        ; implicit-def: $vgpr25
.LBB84_462:
	ds_read_b32 v25, v108
.LBB84_463:
	v_cmp_ne_u32_e32 vcc, 15, v0
	s_and_saveexec_b64 s[6:7], vcc
	s_cbranch_execz .LBB84_467
; %bb.464:
	v_mov_b32_e32 v23, 0x64
	v_lshl_add_u32 v26, v0, 2, v23
	v_mov_b32_e32 v24, v1
	s_mov_b64 s[8:9], 0
	v_mov_b32_e32 v23, v0
.LBB84_465:                             ; =>This Inner Loop Header: Depth=1
	v_add_co_u32_e32 v23, vcc, 1, v23
	v_addc_co_u32_e32 v24, vcc, 0, v24, vcc
	v_cmp_eq_u32_e32 vcc, 1, v23
	v_cndmask_b32_e32 v28, v2, v3, vcc
	v_cmp_lt_u32_e32 vcc, 14, v23
	v_cmp_eq_u32_e64 s[2:3], 2, v23
	v_cndmask_b32_e64 v28, v28, v4, s[2:3]
	s_or_b64 s[8:9], vcc, s[8:9]
	v_cmp_eq_u32_e32 vcc, 3, v23
	v_cndmask_b32_e32 v28, v28, v5, vcc
	v_cmp_eq_u32_e32 vcc, 4, v23
	v_cndmask_b32_e32 v28, v28, v6, vcc
	;; [unrolled: 2-line block ×13, first 2 shown]
	v_cmp_eq_u32_e32 vcc, 16, v23
	ds_read_b32 v27, v26
	v_cndmask_b32_e32 v28, v28, v18, vcc
	v_cmp_eq_u32_e32 vcc, 17, v23
	v_cndmask_b32_e32 v28, v28, v19, vcc
	v_cmp_eq_u32_e32 vcc, 18, v23
	;; [unrolled: 2-line block ×4, first 2 shown]
	v_cndmask_b32_e32 v28, v28, v22, vcc
	v_add_u32_e32 v26, 4, v26
	s_waitcnt lgkmcnt(0)
	v_fmac_f32_e32 v25, v28, v27
	s_andn2_b64 exec, exec, s[8:9]
	s_cbranch_execnz .LBB84_465
; %bb.466:
	s_or_b64 exec, exec, s[8:9]
.LBB84_467:
	s_or_b64 exec, exec, s[6:7]
	v_mov_b32_e32 v18, 0
	ds_read_b32 v18, v18 offset:64
	s_waitcnt lgkmcnt(0)
	v_mul_f32_e32 v18, v25, v18
.LBB84_468:
	s_or_b64 exec, exec, s[4:5]
	v_cmp_gt_u32_e32 vcc, 17, v0
	ds_write_b32 v108, v19
	s_waitcnt lgkmcnt(0)
	; wave barrier
	s_and_saveexec_b64 s[4:5], vcc
	s_cbranch_execz .LBB84_478
; %bb.469:
	s_and_b64 vcc, exec, s[0:1]
	s_cbranch_vccnz .LBB84_471
; %bb.470:
	v_cmp_eq_u32_e32 vcc, 1, v0
	v_cndmask_b32_e32 v23, v2, v3, vcc
	v_cmp_eq_u32_e32 vcc, 2, v0
	v_cndmask_b32_e32 v23, v23, v4, vcc
	;; [unrolled: 2-line block ×16, first 2 shown]
	v_cmp_eq_u32_e32 vcc, 17, v0
	ds_read_b32 v24, v108
	v_cndmask_b32_e32 v23, v23, v19, vcc
	v_cmp_eq_u32_e32 vcc, 18, v0
	v_cndmask_b32_e32 v23, v23, v20, vcc
	v_cmp_eq_u32_e32 vcc, 19, v0
	;; [unrolled: 2-line block ×3, first 2 shown]
	v_cndmask_b32_e32 v23, v23, v22, vcc
	s_waitcnt lgkmcnt(0)
	v_mul_f32_e32 v25, v23, v24
	s_cbranch_execz .LBB84_472
	s_branch .LBB84_473
.LBB84_471:
                                        ; implicit-def: $vgpr25
.LBB84_472:
	ds_read_b32 v25, v108
.LBB84_473:
	v_cmp_ne_u32_e32 vcc, 16, v0
	s_and_saveexec_b64 s[6:7], vcc
	s_cbranch_execz .LBB84_477
; %bb.474:
	v_mov_b32_e32 v23, 0x64
	v_lshl_add_u32 v26, v0, 2, v23
	v_mov_b32_e32 v24, v1
	s_mov_b64 s[8:9], 0
	v_mov_b32_e32 v23, v0
.LBB84_475:                             ; =>This Inner Loop Header: Depth=1
	v_add_co_u32_e32 v23, vcc, 1, v23
	v_addc_co_u32_e32 v24, vcc, 0, v24, vcc
	v_cmp_eq_u32_e32 vcc, 1, v23
	v_cndmask_b32_e32 v28, v2, v3, vcc
	v_cmp_lt_u32_e32 vcc, 15, v23
	v_cmp_eq_u32_e64 s[2:3], 2, v23
	v_cndmask_b32_e64 v28, v28, v4, s[2:3]
	s_or_b64 s[8:9], vcc, s[8:9]
	v_cmp_eq_u32_e32 vcc, 3, v23
	v_cndmask_b32_e32 v28, v28, v5, vcc
	v_cmp_eq_u32_e32 vcc, 4, v23
	v_cndmask_b32_e32 v28, v28, v6, vcc
	;; [unrolled: 2-line block ×13, first 2 shown]
	v_cmp_eq_u32_e32 vcc, 16, v23
	ds_read_b32 v27, v26
	v_cndmask_b32_e32 v28, v28, v18, vcc
	v_cmp_eq_u32_e32 vcc, 17, v23
	v_cndmask_b32_e32 v28, v28, v19, vcc
	v_cmp_eq_u32_e32 vcc, 18, v23
	;; [unrolled: 2-line block ×4, first 2 shown]
	v_cndmask_b32_e32 v28, v28, v22, vcc
	v_add_u32_e32 v26, 4, v26
	s_waitcnt lgkmcnt(0)
	v_fmac_f32_e32 v25, v28, v27
	s_andn2_b64 exec, exec, s[8:9]
	s_cbranch_execnz .LBB84_475
; %bb.476:
	s_or_b64 exec, exec, s[8:9]
.LBB84_477:
	s_or_b64 exec, exec, s[6:7]
	v_mov_b32_e32 v19, 0
	ds_read_b32 v19, v19 offset:68
	s_waitcnt lgkmcnt(0)
	v_mul_f32_e32 v19, v25, v19
.LBB84_478:
	s_or_b64 exec, exec, s[4:5]
	v_cmp_gt_u32_e32 vcc, 18, v0
	ds_write_b32 v108, v20
	s_waitcnt lgkmcnt(0)
	; wave barrier
	s_and_saveexec_b64 s[4:5], vcc
	s_cbranch_execz .LBB84_488
; %bb.479:
	s_and_b64 vcc, exec, s[0:1]
	s_cbranch_vccnz .LBB84_481
; %bb.480:
	v_cmp_eq_u32_e32 vcc, 1, v0
	v_cndmask_b32_e32 v23, v2, v3, vcc
	v_cmp_eq_u32_e32 vcc, 2, v0
	v_cndmask_b32_e32 v23, v23, v4, vcc
	;; [unrolled: 2-line block ×16, first 2 shown]
	v_cmp_eq_u32_e32 vcc, 17, v0
	ds_read_b32 v24, v108
	v_cndmask_b32_e32 v23, v23, v19, vcc
	v_cmp_eq_u32_e32 vcc, 18, v0
	v_cndmask_b32_e32 v23, v23, v20, vcc
	v_cmp_eq_u32_e32 vcc, 19, v0
	;; [unrolled: 2-line block ×3, first 2 shown]
	v_cndmask_b32_e32 v23, v23, v22, vcc
	s_waitcnt lgkmcnt(0)
	v_mul_f32_e32 v25, v23, v24
	s_cbranch_execz .LBB84_482
	s_branch .LBB84_483
.LBB84_481:
                                        ; implicit-def: $vgpr25
.LBB84_482:
	ds_read_b32 v25, v108
.LBB84_483:
	v_cmp_ne_u32_e32 vcc, 17, v0
	s_and_saveexec_b64 s[6:7], vcc
	s_cbranch_execz .LBB84_487
; %bb.484:
	v_mov_b32_e32 v23, 0x64
	v_lshl_add_u32 v26, v0, 2, v23
	v_mov_b32_e32 v24, v1
	s_mov_b64 s[8:9], 0
	v_mov_b32_e32 v23, v0
.LBB84_485:                             ; =>This Inner Loop Header: Depth=1
	v_add_co_u32_e32 v23, vcc, 1, v23
	v_addc_co_u32_e32 v24, vcc, 0, v24, vcc
	v_cmp_eq_u32_e32 vcc, 1, v23
	v_cndmask_b32_e32 v28, v2, v3, vcc
	v_cmp_lt_u32_e32 vcc, 16, v23
	v_cmp_eq_u32_e64 s[2:3], 2, v23
	v_cndmask_b32_e64 v28, v28, v4, s[2:3]
	s_or_b64 s[8:9], vcc, s[8:9]
	v_cmp_eq_u32_e32 vcc, 3, v23
	v_cndmask_b32_e32 v28, v28, v5, vcc
	v_cmp_eq_u32_e32 vcc, 4, v23
	v_cndmask_b32_e32 v28, v28, v6, vcc
	;; [unrolled: 2-line block ×13, first 2 shown]
	v_cmp_eq_u32_e32 vcc, 16, v23
	ds_read_b32 v27, v26
	v_cndmask_b32_e32 v28, v28, v18, vcc
	v_cmp_eq_u32_e32 vcc, 17, v23
	v_cndmask_b32_e32 v28, v28, v19, vcc
	v_cmp_eq_u32_e32 vcc, 18, v23
	v_cndmask_b32_e32 v28, v28, v20, vcc
	v_cmp_eq_u32_e32 vcc, 19, v23
	v_cndmask_b32_e32 v28, v28, v21, vcc
	v_cmp_eq_u32_e32 vcc, 20, v23
	v_cndmask_b32_e32 v28, v28, v22, vcc
	v_add_u32_e32 v26, 4, v26
	s_waitcnt lgkmcnt(0)
	v_fmac_f32_e32 v25, v28, v27
	s_andn2_b64 exec, exec, s[8:9]
	s_cbranch_execnz .LBB84_485
; %bb.486:
	s_or_b64 exec, exec, s[8:9]
.LBB84_487:
	s_or_b64 exec, exec, s[6:7]
	v_mov_b32_e32 v20, 0
	ds_read_b32 v20, v20 offset:72
	s_waitcnt lgkmcnt(0)
	v_mul_f32_e32 v20, v25, v20
.LBB84_488:
	s_or_b64 exec, exec, s[4:5]
	v_cmp_gt_u32_e64 s[2:3], 19, v0
	ds_write_b32 v108, v21
	s_waitcnt lgkmcnt(0)
	; wave barrier
	s_and_saveexec_b64 s[6:7], s[2:3]
	s_cbranch_execz .LBB84_498
; %bb.489:
	s_and_b64 vcc, exec, s[0:1]
	s_cbranch_vccnz .LBB84_491
; %bb.490:
	v_cmp_eq_u32_e32 vcc, 1, v0
	v_cndmask_b32_e32 v23, v2, v3, vcc
	v_cmp_eq_u32_e32 vcc, 2, v0
	v_cndmask_b32_e32 v23, v23, v4, vcc
	;; [unrolled: 2-line block ×16, first 2 shown]
	v_cmp_eq_u32_e32 vcc, 17, v0
	ds_read_b32 v24, v108
	v_cndmask_b32_e32 v23, v23, v19, vcc
	v_cmp_eq_u32_e32 vcc, 18, v0
	v_cndmask_b32_e32 v23, v23, v20, vcc
	v_cmp_eq_u32_e32 vcc, 19, v0
	;; [unrolled: 2-line block ×3, first 2 shown]
	v_cndmask_b32_e32 v23, v23, v22, vcc
	s_waitcnt lgkmcnt(0)
	v_mul_f32_e32 v25, v23, v24
	s_cbranch_execz .LBB84_492
	s_branch .LBB84_493
.LBB84_491:
                                        ; implicit-def: $vgpr25
.LBB84_492:
	ds_read_b32 v25, v108
.LBB84_493:
	v_cmp_ne_u32_e32 vcc, 18, v0
	s_and_saveexec_b64 s[8:9], vcc
	s_cbranch_execz .LBB84_497
; %bb.494:
	v_mov_b32_e32 v23, 0x64
	v_lshl_add_u32 v26, v0, 2, v23
	v_mov_b32_e32 v24, v1
	s_mov_b64 s[10:11], 0
	v_mov_b32_e32 v23, v0
.LBB84_495:                             ; =>This Inner Loop Header: Depth=1
	v_add_co_u32_e32 v23, vcc, 1, v23
	v_addc_co_u32_e32 v24, vcc, 0, v24, vcc
	v_cmp_eq_u32_e32 vcc, 1, v23
	v_cndmask_b32_e32 v28, v2, v3, vcc
	v_cmp_lt_u32_e32 vcc, 17, v23
	v_cmp_eq_u32_e64 s[4:5], 2, v23
	v_cndmask_b32_e64 v28, v28, v4, s[4:5]
	s_or_b64 s[10:11], vcc, s[10:11]
	v_cmp_eq_u32_e32 vcc, 3, v23
	v_cndmask_b32_e32 v28, v28, v5, vcc
	v_cmp_eq_u32_e32 vcc, 4, v23
	v_cndmask_b32_e32 v28, v28, v6, vcc
	v_cmp_eq_u32_e32 vcc, 5, v23
	v_cndmask_b32_e32 v28, v28, v7, vcc
	v_cmp_eq_u32_e32 vcc, 6, v23
	v_cndmask_b32_e32 v28, v28, v8, vcc
	v_cmp_eq_u32_e32 vcc, 7, v23
	v_cndmask_b32_e32 v28, v28, v9, vcc
	v_cmp_eq_u32_e32 vcc, 8, v23
	v_cndmask_b32_e32 v28, v28, v10, vcc
	v_cmp_eq_u32_e32 vcc, 9, v23
	v_cndmask_b32_e32 v28, v28, v11, vcc
	v_cmp_eq_u32_e32 vcc, 10, v23
	v_cndmask_b32_e32 v28, v28, v12, vcc
	v_cmp_eq_u32_e32 vcc, 11, v23
	v_cndmask_b32_e32 v28, v28, v13, vcc
	v_cmp_eq_u32_e32 vcc, 12, v23
	v_cndmask_b32_e32 v28, v28, v14, vcc
	v_cmp_eq_u32_e32 vcc, 13, v23
	v_cndmask_b32_e32 v28, v28, v15, vcc
	v_cmp_eq_u32_e32 vcc, 14, v23
	v_cndmask_b32_e32 v28, v28, v16, vcc
	v_cmp_eq_u32_e32 vcc, 15, v23
	v_cndmask_b32_e32 v28, v28, v17, vcc
	v_cmp_eq_u32_e32 vcc, 16, v23
	ds_read_b32 v27, v26
	v_cndmask_b32_e32 v28, v28, v18, vcc
	v_cmp_eq_u32_e32 vcc, 17, v23
	v_cndmask_b32_e32 v28, v28, v19, vcc
	v_cmp_eq_u32_e32 vcc, 18, v23
	v_cndmask_b32_e32 v28, v28, v20, vcc
	v_cmp_eq_u32_e32 vcc, 19, v23
	v_cndmask_b32_e32 v28, v28, v21, vcc
	v_cmp_eq_u32_e32 vcc, 20, v23
	v_cndmask_b32_e32 v28, v28, v22, vcc
	v_add_u32_e32 v26, 4, v26
	s_waitcnt lgkmcnt(0)
	v_fmac_f32_e32 v25, v28, v27
	s_andn2_b64 exec, exec, s[10:11]
	s_cbranch_execnz .LBB84_495
; %bb.496:
	s_or_b64 exec, exec, s[10:11]
.LBB84_497:
	s_or_b64 exec, exec, s[8:9]
	v_mov_b32_e32 v21, 0
	ds_read_b32 v21, v21 offset:76
	s_waitcnt lgkmcnt(0)
	v_mul_f32_e32 v21, v25, v21
.LBB84_498:
	s_or_b64 exec, exec, s[6:7]
	v_cmp_ne_u32_e32 vcc, 20, v0
	ds_write_b32 v108, v22
	s_waitcnt lgkmcnt(0)
	; wave barrier
	s_and_saveexec_b64 s[4:5], vcc
	s_cbranch_execz .LBB84_508
; %bb.499:
	s_and_b64 vcc, exec, s[0:1]
	s_cbranch_vccnz .LBB84_501
; %bb.500:
	v_cmp_eq_u32_e32 vcc, 1, v0
	v_cndmask_b32_e32 v23, v2, v3, vcc
	v_cmp_eq_u32_e32 vcc, 2, v0
	v_cndmask_b32_e32 v23, v23, v4, vcc
	;; [unrolled: 2-line block ×16, first 2 shown]
	v_cmp_eq_u32_e32 vcc, 17, v0
	ds_read_b32 v24, v108
	v_cndmask_b32_e32 v23, v23, v19, vcc
	v_cmp_eq_u32_e32 vcc, 18, v0
	v_cndmask_b32_e32 v23, v23, v20, vcc
	v_cmp_eq_u32_e32 vcc, 19, v0
	;; [unrolled: 2-line block ×3, first 2 shown]
	v_cndmask_b32_e32 v23, v23, v22, vcc
	s_waitcnt lgkmcnt(0)
	v_mul_f32_e32 v23, v23, v24
	s_cbranch_execz .LBB84_502
	s_branch .LBB84_503
.LBB84_501:
                                        ; implicit-def: $vgpr23
.LBB84_502:
	ds_read_b32 v23, v108
.LBB84_503:
	s_and_saveexec_b64 s[6:7], s[2:3]
	s_cbranch_execz .LBB84_507
; %bb.504:
	v_mov_b32_e32 v24, 0x64
	v_lshl_add_u32 v24, v0, 2, v24
	s_mov_b64 s[2:3], 0
.LBB84_505:                             ; =>This Inner Loop Header: Depth=1
	v_add_co_u32_e32 v0, vcc, 1, v0
	v_addc_co_u32_e32 v1, vcc, 0, v1, vcc
	v_cmp_eq_u32_e32 vcc, 1, v0
	v_cndmask_b32_e32 v26, v2, v3, vcc
	v_cmp_lt_u32_e32 vcc, 18, v0
	v_cmp_eq_u32_e64 s[0:1], 2, v0
	v_cndmask_b32_e64 v26, v26, v4, s[0:1]
	s_or_b64 s[2:3], vcc, s[2:3]
	v_cmp_eq_u32_e32 vcc, 3, v0
	v_cndmask_b32_e32 v26, v26, v5, vcc
	v_cmp_eq_u32_e32 vcc, 4, v0
	v_cndmask_b32_e32 v26, v26, v6, vcc
	;; [unrolled: 2-line block ×13, first 2 shown]
	v_cmp_eq_u32_e32 vcc, 16, v0
	ds_read_b32 v25, v24
	v_cndmask_b32_e32 v26, v26, v18, vcc
	v_cmp_eq_u32_e32 vcc, 17, v0
	v_cndmask_b32_e32 v26, v26, v19, vcc
	v_cmp_eq_u32_e32 vcc, 18, v0
	;; [unrolled: 2-line block ×4, first 2 shown]
	v_cndmask_b32_e32 v26, v26, v22, vcc
	v_add_u32_e32 v24, 4, v24
	s_waitcnt lgkmcnt(0)
	v_fmac_f32_e32 v23, v26, v25
	s_andn2_b64 exec, exec, s[2:3]
	s_cbranch_execnz .LBB84_505
; %bb.506:
	s_or_b64 exec, exec, s[2:3]
.LBB84_507:
	s_or_b64 exec, exec, s[6:7]
	v_mov_b32_e32 v0, 0
	ds_read_b32 v0, v0 offset:80
	s_waitcnt lgkmcnt(0)
	v_mul_f32_e32 v22, v23, v0
.LBB84_508:
	s_or_b64 exec, exec, s[4:5]
	v_mov_b32_e32 v65, v33
	v_mov_b32_e32 v64, v32
	;; [unrolled: 1-line block ×32, first 2 shown]
.LBB84_509:
	flat_store_dword v[104:105], v34
	flat_store_dword v[106:107], v35
	flat_store_dword v[66:67], v36
	flat_store_dword v[68:69], v37
	flat_store_dword v[70:71], v38
	flat_store_dword v[72:73], v39
	flat_store_dword v[74:75], v40
	flat_store_dword v[76:77], v41
	flat_store_dword v[78:79], v42
	flat_store_dword v[80:81], v43
	flat_store_dword v[82:83], v44
	flat_store_dword v[84:85], v45
	flat_store_dword v[86:87], v46
	flat_store_dword v[88:89], v47
	flat_store_dword v[90:91], v48
	flat_store_dword v[92:93], v49
	flat_store_dword v[94:95], v50
	flat_store_dword v[96:97], v51
	flat_store_dword v[98:99], v52
	flat_store_dword v[100:101], v53
	flat_store_dword v[102:103], v54
.LBB84_510:
	s_endpgm
	.section	.rodata,"a",@progbits
	.p2align	6, 0x0
	.amdhsa_kernel _ZN9rocsolver6v33100L18trti2_kernel_smallILi21EfPKPfEEv13rocblas_fill_17rocblas_diagonal_T1_iil
		.amdhsa_group_segment_fixed_size 180
		.amdhsa_private_segment_fixed_size 0
		.amdhsa_kernarg_size 32
		.amdhsa_user_sgpr_count 6
		.amdhsa_user_sgpr_private_segment_buffer 1
		.amdhsa_user_sgpr_dispatch_ptr 0
		.amdhsa_user_sgpr_queue_ptr 0
		.amdhsa_user_sgpr_kernarg_segment_ptr 1
		.amdhsa_user_sgpr_dispatch_id 0
		.amdhsa_user_sgpr_flat_scratch_init 0
		.amdhsa_user_sgpr_private_segment_size 0
		.amdhsa_uses_dynamic_stack 0
		.amdhsa_system_sgpr_private_segment_wavefront_offset 0
		.amdhsa_system_sgpr_workgroup_id_x 1
		.amdhsa_system_sgpr_workgroup_id_y 0
		.amdhsa_system_sgpr_workgroup_id_z 0
		.amdhsa_system_sgpr_workgroup_info 0
		.amdhsa_system_vgpr_workitem_id 0
		.amdhsa_next_free_vgpr 126
		.amdhsa_next_free_sgpr 50
		.amdhsa_reserve_vcc 1
		.amdhsa_reserve_flat_scratch 0
		.amdhsa_float_round_mode_32 0
		.amdhsa_float_round_mode_16_64 0
		.amdhsa_float_denorm_mode_32 3
		.amdhsa_float_denorm_mode_16_64 3
		.amdhsa_dx10_clamp 1
		.amdhsa_ieee_mode 1
		.amdhsa_fp16_overflow 0
		.amdhsa_exception_fp_ieee_invalid_op 0
		.amdhsa_exception_fp_denorm_src 0
		.amdhsa_exception_fp_ieee_div_zero 0
		.amdhsa_exception_fp_ieee_overflow 0
		.amdhsa_exception_fp_ieee_underflow 0
		.amdhsa_exception_fp_ieee_inexact 0
		.amdhsa_exception_int_div_zero 0
	.end_amdhsa_kernel
	.section	.text._ZN9rocsolver6v33100L18trti2_kernel_smallILi21EfPKPfEEv13rocblas_fill_17rocblas_diagonal_T1_iil,"axG",@progbits,_ZN9rocsolver6v33100L18trti2_kernel_smallILi21EfPKPfEEv13rocblas_fill_17rocblas_diagonal_T1_iil,comdat
.Lfunc_end84:
	.size	_ZN9rocsolver6v33100L18trti2_kernel_smallILi21EfPKPfEEv13rocblas_fill_17rocblas_diagonal_T1_iil, .Lfunc_end84-_ZN9rocsolver6v33100L18trti2_kernel_smallILi21EfPKPfEEv13rocblas_fill_17rocblas_diagonal_T1_iil
                                        ; -- End function
	.set _ZN9rocsolver6v33100L18trti2_kernel_smallILi21EfPKPfEEv13rocblas_fill_17rocblas_diagonal_T1_iil.num_vgpr, 126
	.set _ZN9rocsolver6v33100L18trti2_kernel_smallILi21EfPKPfEEv13rocblas_fill_17rocblas_diagonal_T1_iil.num_agpr, 0
	.set _ZN9rocsolver6v33100L18trti2_kernel_smallILi21EfPKPfEEv13rocblas_fill_17rocblas_diagonal_T1_iil.numbered_sgpr, 50
	.set _ZN9rocsolver6v33100L18trti2_kernel_smallILi21EfPKPfEEv13rocblas_fill_17rocblas_diagonal_T1_iil.num_named_barrier, 0
	.set _ZN9rocsolver6v33100L18trti2_kernel_smallILi21EfPKPfEEv13rocblas_fill_17rocblas_diagonal_T1_iil.private_seg_size, 0
	.set _ZN9rocsolver6v33100L18trti2_kernel_smallILi21EfPKPfEEv13rocblas_fill_17rocblas_diagonal_T1_iil.uses_vcc, 1
	.set _ZN9rocsolver6v33100L18trti2_kernel_smallILi21EfPKPfEEv13rocblas_fill_17rocblas_diagonal_T1_iil.uses_flat_scratch, 0
	.set _ZN9rocsolver6v33100L18trti2_kernel_smallILi21EfPKPfEEv13rocblas_fill_17rocblas_diagonal_T1_iil.has_dyn_sized_stack, 0
	.set _ZN9rocsolver6v33100L18trti2_kernel_smallILi21EfPKPfEEv13rocblas_fill_17rocblas_diagonal_T1_iil.has_recursion, 0
	.set _ZN9rocsolver6v33100L18trti2_kernel_smallILi21EfPKPfEEv13rocblas_fill_17rocblas_diagonal_T1_iil.has_indirect_call, 0
	.section	.AMDGPU.csdata,"",@progbits
; Kernel info:
; codeLenInByte = 28024
; TotalNumSgprs: 54
; NumVgprs: 126
; ScratchSize: 0
; MemoryBound: 0
; FloatMode: 240
; IeeeMode: 1
; LDSByteSize: 180 bytes/workgroup (compile time only)
; SGPRBlocks: 6
; VGPRBlocks: 31
; NumSGPRsForWavesPerEU: 54
; NumVGPRsForWavesPerEU: 126
; Occupancy: 2
; WaveLimiterHint : 1
; COMPUTE_PGM_RSRC2:SCRATCH_EN: 0
; COMPUTE_PGM_RSRC2:USER_SGPR: 6
; COMPUTE_PGM_RSRC2:TRAP_HANDLER: 0
; COMPUTE_PGM_RSRC2:TGID_X_EN: 1
; COMPUTE_PGM_RSRC2:TGID_Y_EN: 0
; COMPUTE_PGM_RSRC2:TGID_Z_EN: 0
; COMPUTE_PGM_RSRC2:TIDIG_COMP_CNT: 0
	.section	.text._ZN9rocsolver6v33100L18trti2_kernel_smallILi22EfPKPfEEv13rocblas_fill_17rocblas_diagonal_T1_iil,"axG",@progbits,_ZN9rocsolver6v33100L18trti2_kernel_smallILi22EfPKPfEEv13rocblas_fill_17rocblas_diagonal_T1_iil,comdat
	.globl	_ZN9rocsolver6v33100L18trti2_kernel_smallILi22EfPKPfEEv13rocblas_fill_17rocblas_diagonal_T1_iil ; -- Begin function _ZN9rocsolver6v33100L18trti2_kernel_smallILi22EfPKPfEEv13rocblas_fill_17rocblas_diagonal_T1_iil
	.p2align	8
	.type	_ZN9rocsolver6v33100L18trti2_kernel_smallILi22EfPKPfEEv13rocblas_fill_17rocblas_diagonal_T1_iil,@function
_ZN9rocsolver6v33100L18trti2_kernel_smallILi22EfPKPfEEv13rocblas_fill_17rocblas_diagonal_T1_iil: ; @_ZN9rocsolver6v33100L18trti2_kernel_smallILi22EfPKPfEEv13rocblas_fill_17rocblas_diagonal_T1_iil
; %bb.0:
	v_cmp_gt_u32_e32 vcc, 22, v0
	s_and_saveexec_b64 s[0:1], vcc
	s_cbranch_execz .LBB85_536
; %bb.1:
	s_load_dwordx2 s[0:1], s[4:5], 0x10
	s_load_dwordx4 s[48:51], s[4:5], 0x0
	s_ashr_i32 s7, s6, 31
	s_lshl_b64 s[2:3], s[6:7], 3
	v_lshlrev_b32_e32 v34, 2, v0
	s_waitcnt lgkmcnt(0)
	s_ashr_i32 s5, s0, 31
	s_add_u32 s2, s50, s2
	s_addc_u32 s3, s51, s3
	s_load_dwordx2 s[2:3], s[2:3], 0x0
	s_mov_b32 s4, s0
	s_lshl_b64 s[4:5], s[4:5], 2
	v_mov_b32_e32 v35, -1.0
	s_waitcnt lgkmcnt(0)
	s_add_u32 s0, s2, s4
	s_addc_u32 s2, s3, s5
	s_add_i32 s3, s1, s1
	v_add_u32_e32 v1, s3, v0
	v_ashrrev_i32_e32 v2, 31, v1
	v_lshlrev_b64 v[2:3], 2, v[1:2]
	v_add_u32_e32 v1, s1, v1
	v_mov_b32_e32 v4, s2
	v_add_co_u32_e32 v66, vcc, s0, v2
	v_ashrrev_i32_e32 v2, 31, v1
	v_addc_co_u32_e32 v67, vcc, v4, v3, vcc
	v_lshlrev_b64 v[2:3], 2, v[1:2]
	v_add_u32_e32 v1, s1, v1
	v_add_co_u32_e32 v68, vcc, s0, v2
	v_ashrrev_i32_e32 v2, 31, v1
	v_addc_co_u32_e32 v69, vcc, v4, v3, vcc
	v_lshlrev_b64 v[2:3], 2, v[1:2]
	v_add_u32_e32 v1, s1, v1
	;; [unrolled: 5-line block ×18, first 2 shown]
	v_add_co_u32_e32 v102, vcc, s0, v2
	v_ashrrev_i32_e32 v2, 31, v1
	v_lshlrev_b64 v[1:2], 2, v[1:2]
	v_addc_co_u32_e32 v103, vcc, v4, v3, vcc
	v_mov_b32_e32 v3, s2
	v_add_co_u32_e32 v104, vcc, s0, v1
	v_addc_co_u32_e32 v105, vcc, v3, v2, vcc
	v_mov_b32_e32 v1, s2
	v_add_co_u32_e32 v106, vcc, s0, v34
	s_ashr_i32 s3, s1, 31
	s_mov_b32 s2, s1
	v_addc_co_u32_e32 v107, vcc, 0, v1, vcc
	s_lshl_b64 s[0:1], s[2:3], 2
	v_mov_b32_e32 v1, s1
	v_add_co_u32_e32 v108, vcc, s0, v106
	v_addc_co_u32_e32 v109, vcc, v107, v1, vcc
	flat_load_dword v2, v[106:107]
	flat_load_dword v3, v[108:109]
	;; [unrolled: 1-line block ×22, first 2 shown]
	s_cmpk_lg_i32 s49, 0x84
	v_mov_b32_e32 v1, 0
	s_cselect_b64 s[46:47], -1, 0
	s_cmpk_eq_i32 s49, 0x84
	v_cmp_eq_u32_e64 s[0:1], 0, v0
	s_cbranch_scc1 .LBB85_3
; %bb.2:
	v_cmp_eq_u32_e64 s[2:3], 1, v0
	s_waitcnt vmcnt(0) lgkmcnt(0)
	v_cndmask_b32_e64 v24, v2, v3, s[2:3]
	v_cmp_eq_u32_e64 s[4:5], 2, v0
	v_cndmask_b32_e64 v24, v24, v4, s[4:5]
	v_cmp_eq_u32_e64 s[6:7], 3, v0
	;; [unrolled: 2-line block ×20, first 2 shown]
	v_cndmask_b32_e64 v24, v24, v23, s[44:45]
	v_div_scale_f32 v25, s[50:51], v24, v24, 1.0
	v_div_scale_f32 v26, vcc, 1.0, v24, 1.0
	v_rcp_f32_e32 v27, v25
	v_fma_f32 v28, -v25, v27, 1.0
	v_fmac_f32_e32 v27, v28, v27
	v_mul_f32_e32 v28, v26, v27
	v_fma_f32 v29, -v25, v28, v26
	v_fmac_f32_e32 v28, v29, v27
	v_fma_f32 v25, -v25, v28, v26
	v_div_fmas_f32 v25, v25, v27, v28
	v_div_fixup_f32 v24, v25, v24, 1.0
	v_cndmask_b32_e64 v23, v23, v24, s[44:45]
	v_cndmask_b32_e64 v22, v22, v24, s[42:43]
	v_cndmask_b32_e64 v21, v21, v24, s[40:41]
	v_cndmask_b32_e64 v20, v20, v24, s[38:39]
	v_cndmask_b32_e64 v19, v19, v24, s[36:37]
	v_cndmask_b32_e64 v18, v18, v24, s[34:35]
	v_cndmask_b32_e64 v17, v17, v24, s[30:31]
	v_cndmask_b32_e64 v16, v16, v24, s[28:29]
	v_cndmask_b32_e64 v15, v15, v24, s[26:27]
	v_cndmask_b32_e64 v14, v14, v24, s[24:25]
	v_cndmask_b32_e64 v13, v13, v24, s[22:23]
	v_cndmask_b32_e64 v12, v12, v24, s[20:21]
	v_cndmask_b32_e64 v11, v11, v24, s[18:19]
	v_cndmask_b32_e64 v10, v10, v24, s[16:17]
	v_cndmask_b32_e64 v9, v9, v24, s[14:15]
	v_cndmask_b32_e64 v8, v8, v24, s[12:13]
	v_cndmask_b32_e64 v7, v7, v24, s[10:11]
	v_cndmask_b32_e64 v6, v6, v24, s[8:9]
	v_cndmask_b32_e64 v5, v5, v24, s[6:7]
	v_cndmask_b32_e64 v4, v4, v24, s[4:5]
	v_cndmask_b32_e64 v3, v3, v24, s[2:3]
	v_cndmask_b32_e64 v2, v2, v24, s[0:1]
	v_xor_b32_e32 v35, 0x80000000, v24
.LBB85_3:
	s_cmpk_eq_i32 s48, 0x79
	v_add_u32_e32 v110, 0x60, v34
	ds_write_b32 v34, v35
	s_cbranch_scc1 .LBB85_7
; %bb.4:
	s_waitcnt vmcnt(0) lgkmcnt(0)
	v_mov_b32_e32 v65, v33
	v_mov_b32_e32 v64, v32
	;; [unrolled: 1-line block ×32, first 2 shown]
	v_cmp_eq_u32_e64 s[0:1], 21, v0
	ds_write_b32 v110, v22
	s_waitcnt lgkmcnt(0)
	; wave barrier
	s_and_saveexec_b64 s[2:3], s[0:1]
	s_cbranch_execz .LBB85_11
; %bb.5:
	s_and_b64 vcc, exec, s[46:47]
	s_cbranch_vccz .LBB85_8
; %bb.6:
	v_cmp_eq_u32_e32 vcc, 1, v0
	v_cndmask_b32_e32 v34, v2, v3, vcc
	v_cmp_eq_u32_e32 vcc, 2, v0
	v_cndmask_b32_e32 v34, v34, v4, vcc
	;; [unrolled: 2-line block ×17, first 2 shown]
	v_cmp_eq_u32_e32 vcc, 18, v0
	ds_read_b32 v35, v110
	v_cndmask_b32_e32 v34, v34, v20, vcc
	v_cmp_eq_u32_e32 vcc, 19, v0
	v_cndmask_b32_e32 v34, v34, v21, vcc
	v_cmp_eq_u32_e32 vcc, 20, v0
	;; [unrolled: 2-line block ×3, first 2 shown]
	v_cndmask_b32_e32 v34, v34, v23, vcc
	s_waitcnt lgkmcnt(0)
	v_mul_f32_e32 v38, v34, v35
	s_cbranch_execz .LBB85_9
	s_branch .LBB85_10
.LBB85_7:
                                        ; implicit-def: $vgpr34_vgpr35_vgpr36_vgpr37_vgpr38_vgpr39_vgpr40_vgpr41_vgpr42_vgpr43_vgpr44_vgpr45_vgpr46_vgpr47_vgpr48_vgpr49_vgpr50_vgpr51_vgpr52_vgpr53_vgpr54_vgpr55_vgpr56_vgpr57_vgpr58_vgpr59_vgpr60_vgpr61_vgpr62_vgpr63_vgpr64_vgpr65
	s_cbranch_execnz .LBB85_322
	s_branch .LBB85_535
.LBB85_8:
                                        ; implicit-def: $vgpr38
.LBB85_9:
	ds_read_b32 v38, v110
.LBB85_10:
	v_mov_b32_e32 v34, 0
	ds_read_b32 v39, v34 offset:80
	v_mov_b32_e32 v34, v2
	v_mov_b32_e32 v35, v3
	;; [unrolled: 1-line block ×4, first 2 shown]
	s_waitcnt lgkmcnt(0)
	v_mul_f32_e32 v54, v38, v39
	v_mov_b32_e32 v38, v6
	v_mov_b32_e32 v39, v7
	;; [unrolled: 1-line block ×17, first 2 shown]
.LBB85_11:
	s_or_b64 exec, exec, s[2:3]
	v_cmp_lt_u32_e64 s[2:3], 19, v0
	ds_write_b32 v110, v53
	s_waitcnt lgkmcnt(0)
	; wave barrier
	s_and_saveexec_b64 s[4:5], s[2:3]
	s_cbranch_execz .LBB85_17
; %bb.12:
	s_andn2_b64 vcc, exec, s[46:47]
	s_cbranch_vccnz .LBB85_14
; %bb.13:
	v_cmp_eq_u32_e32 vcc, 1, v0
	v_cndmask_b32_e32 v56, v34, v35, vcc
	v_cmp_eq_u32_e32 vcc, 2, v0
	v_cndmask_b32_e32 v56, v56, v36, vcc
	;; [unrolled: 2-line block ×19, first 2 shown]
	ds_read_b32 v56, v110
	v_cmp_eq_u32_e32 vcc, 20, v0
	v_cndmask_b32_e32 v53, v53, v54, vcc
	v_cmp_eq_u32_e32 vcc, 21, v0
	v_cndmask_b32_e32 v53, v53, v55, vcc
	s_waitcnt lgkmcnt(0)
	v_mul_f32_e32 v53, v53, v56
	s_cbranch_execz .LBB85_15
	s_branch .LBB85_16
.LBB85_14:
                                        ; implicit-def: $vgpr53
.LBB85_15:
	ds_read_b32 v53, v110
.LBB85_16:
	v_mov_b32_e32 v56, 0
	ds_read2_b32 v[56:57], v56 offset0:19 offset1:44
	s_waitcnt lgkmcnt(0)
	v_fma_f32 v57, v54, v57, v53
	v_cndmask_b32_e64 v53, v53, v57, s[0:1]
	v_mul_f32_e32 v53, v53, v56
.LBB85_17:
	s_or_b64 exec, exec, s[4:5]
	v_cmp_lt_u32_e64 s[0:1], 18, v0
	ds_write_b32 v110, v52
	s_waitcnt lgkmcnt(0)
	; wave barrier
	s_and_saveexec_b64 s[4:5], s[0:1]
	s_cbranch_execz .LBB85_33
; %bb.18:
	s_andn2_b64 vcc, exec, s[46:47]
	s_cbranch_vccnz .LBB85_20
; %bb.19:
	v_cmp_eq_u32_e32 vcc, 1, v0
	v_cndmask_b32_e32 v111, v34, v35, vcc
	v_cmp_eq_u32_e32 vcc, 2, v0
	v_cndmask_b32_e32 v111, v111, v36, vcc
	;; [unrolled: 2-line block ×17, first 2 shown]
	v_cmp_eq_u32_e32 vcc, 18, v0
	ds_read_b32 v112, v110
	v_cndmask_b32_e32 v111, v111, v52, vcc
	v_cmp_eq_u32_e32 vcc, 19, v0
	v_cndmask_b32_e32 v111, v111, v53, vcc
	v_cmp_eq_u32_e32 vcc, 20, v0
	;; [unrolled: 2-line block ×3, first 2 shown]
	v_cndmask_b32_e32 v111, v111, v55, vcc
	s_waitcnt lgkmcnt(0)
	v_mul_f32_e32 v111, v111, v112
	s_cbranch_execz .LBB85_21
	s_branch .LBB85_22
.LBB85_20:
                                        ; implicit-def: $vgpr111
.LBB85_21:
	ds_read_b32 v111, v110
.LBB85_22:
	s_and_saveexec_b64 s[6:7], s[2:3]
	s_cbranch_execz .LBB85_32
; %bb.23:
	v_subrev_u32_e32 v114, 20, v0
	v_mov_b32_e32 v112, 19
	v_subrev_u32_e32 v113, 19, v0
	v_cmp_lt_u32_e32 vcc, 6, v114
	s_and_saveexec_b64 s[2:3], vcc
	s_cbranch_execz .LBB85_27
; %bb.24:
	v_and_b32_e32 v112, -8, v113
	v_sub_u32_e32 v114, 0, v112
	s_mov_b64 s[8:9], 26
	s_movk_i32 s12, 0xac
	s_mov_b64 s[10:11], 0
.LBB85_25:                              ; =>This Inner Loop Header: Depth=1
	s_add_i32 s13, s8, -7
	v_mov_b32_e32 v112, s12
	s_add_i32 s14, s8, -6
	s_set_gpr_idx_on s13, gpr_idx(SRC0)
	v_mov_b32_e32 v121, v34
	s_set_gpr_idx_off
	ds_read2_b32 v[115:116], v112 offset1:1
	s_add_i32 s15, s8, -5
	s_set_gpr_idx_on s14, gpr_idx(SRC0)
	v_mov_b32_e32 v122, v34
	s_set_gpr_idx_off
	s_add_i32 s16, s8, -4
	s_set_gpr_idx_on s15, gpr_idx(SRC0)
	v_mov_b32_e32 v123, v34
	s_set_gpr_idx_off
	ds_read2_b32 v[117:118], v112 offset0:2 offset1:3
	s_add_i32 s17, s8, -3
	s_set_gpr_idx_on s16, gpr_idx(SRC0)
	v_mov_b32_e32 v124, v34
	s_set_gpr_idx_off
	s_add_i32 s18, s8, -2
	s_set_gpr_idx_on s17, gpr_idx(SRC0)
	v_mov_b32_e32 v125, v34
	s_set_gpr_idx_off
	ds_read2_b32 v[119:120], v112 offset0:4 offset1:5
	s_add_i32 s19, s8, -1
	s_waitcnt lgkmcnt(2)
	v_fmac_f32_e32 v111, v121, v115
	s_set_gpr_idx_on s18, gpr_idx(SRC0)
	v_mov_b32_e32 v121, v34
	s_set_gpr_idx_off
	v_fmac_f32_e32 v111, v122, v116
	s_set_gpr_idx_on s19, gpr_idx(SRC0)
	v_mov_b32_e32 v122, v34
	s_set_gpr_idx_off
	ds_read2_b32 v[115:116], v112 offset0:6 offset1:7
	s_waitcnt lgkmcnt(2)
	v_fmac_f32_e32 v111, v123, v117
	s_set_gpr_idx_on s8, gpr_idx(SRC0)
	v_mov_b32_e32 v117, v34
	s_set_gpr_idx_off
	v_fmac_f32_e32 v111, v124, v118
	s_add_u32 s8, s8, 8
	s_waitcnt lgkmcnt(1)
	v_fmac_f32_e32 v111, v125, v119
	v_add_u32_e32 v112, s8, v114
	v_fmac_f32_e32 v111, v121, v120
	s_addc_u32 s9, s9, 0
	s_add_i32 s12, s12, 32
	s_add_i32 s13, s8, -7
	v_cmp_eq_u32_e32 vcc, 26, v112
	s_waitcnt lgkmcnt(0)
	v_fmac_f32_e32 v111, v122, v115
	v_mov_b32_e32 v112, s13
	s_or_b64 s[10:11], vcc, s[10:11]
	v_fmac_f32_e32 v111, v117, v116
	s_andn2_b64 exec, exec, s[10:11]
	s_cbranch_execnz .LBB85_25
; %bb.26:
	s_or_b64 exec, exec, s[10:11]
.LBB85_27:
	s_or_b64 exec, exec, s[2:3]
	v_and_b32_e32 v56, 7, v113
	v_cmp_ne_u32_e32 vcc, 0, v56
	s_and_saveexec_b64 s[8:9], vcc
	s_cbranch_execz .LBB85_31
; %bb.28:
	v_mov_b32_e32 v57, 0x60
	v_lshl_add_u32 v57, v112, 2, v57
	v_mov_b32_e32 v58, 0
	s_mov_b64 s[10:11], 0
.LBB85_29:                              ; =>This Inner Loop Header: Depth=1
	v_cmp_eq_u32_e32 vcc, 1, v112
	v_cndmask_b32_e32 v59, v34, v35, vcc
	v_add_u32_e32 v56, -1, v56
	v_cmp_eq_u32_e32 vcc, 2, v112
	v_cndmask_b32_e32 v59, v59, v36, vcc
	v_cmp_eq_u32_e32 vcc, 0, v56
	v_cmp_eq_u32_e64 s[2:3], 3, v112
	v_cndmask_b32_e64 v59, v59, v37, s[2:3]
	s_or_b64 s[10:11], vcc, s[10:11]
	v_cmp_eq_u32_e32 vcc, 4, v112
	v_cndmask_b32_e32 v59, v59, v38, vcc
	v_cmp_eq_u32_e32 vcc, 5, v112
	v_cndmask_b32_e32 v59, v59, v39, vcc
	;; [unrolled: 2-line block ×13, first 2 shown]
	v_cmp_eq_u32_e32 vcc, 17, v112
	ds_read_b32 v60, v57
	v_cndmask_b32_e32 v59, v59, v51, vcc
	v_cmp_eq_u32_e32 vcc, 18, v112
	v_cndmask_b32_e32 v59, v59, v52, vcc
	v_cmp_eq_u32_e32 vcc, 19, v112
	v_cndmask_b32_e32 v59, v59, v53, vcc
	v_cmp_eq_u32_e32 vcc, 20, v112
	v_cndmask_b32_e32 v59, v59, v54, vcc
	v_cmp_eq_u32_e32 vcc, 21, v112
	v_add_co_u32_e64 v112, s[2:3], 1, v112
	v_cndmask_b32_e32 v59, v59, v55, vcc
	v_add_u32_e32 v57, 4, v57
	v_addc_co_u32_e64 v58, s[2:3], 0, v58, s[2:3]
	s_waitcnt lgkmcnt(0)
	v_fmac_f32_e32 v111, v59, v60
	s_andn2_b64 exec, exec, s[10:11]
	s_cbranch_execnz .LBB85_29
; %bb.30:
	s_or_b64 exec, exec, s[10:11]
.LBB85_31:
	s_or_b64 exec, exec, s[8:9]
.LBB85_32:
	s_or_b64 exec, exec, s[6:7]
	v_mov_b32_e32 v52, 0
	ds_read_b32 v52, v52 offset:72
	s_waitcnt lgkmcnt(0)
	v_mul_f32_e32 v52, v111, v52
.LBB85_33:
	s_or_b64 exec, exec, s[4:5]
	v_cmp_lt_u32_e64 s[2:3], 17, v0
	ds_write_b32 v110, v51
	s_waitcnt lgkmcnt(0)
	; wave barrier
	s_and_saveexec_b64 s[4:5], s[2:3]
	s_cbranch_execz .LBB85_49
; %bb.34:
	s_andn2_b64 vcc, exec, s[46:47]
	s_cbranch_vccnz .LBB85_36
; %bb.35:
	v_cmp_eq_u32_e32 vcc, 1, v0
	v_cndmask_b32_e32 v111, v34, v35, vcc
	v_cmp_eq_u32_e32 vcc, 2, v0
	v_cndmask_b32_e32 v111, v111, v36, vcc
	;; [unrolled: 2-line block ×17, first 2 shown]
	v_cmp_eq_u32_e32 vcc, 18, v0
	ds_read_b32 v112, v110
	v_cndmask_b32_e32 v111, v111, v52, vcc
	v_cmp_eq_u32_e32 vcc, 19, v0
	v_cndmask_b32_e32 v111, v111, v53, vcc
	v_cmp_eq_u32_e32 vcc, 20, v0
	;; [unrolled: 2-line block ×3, first 2 shown]
	v_cndmask_b32_e32 v111, v111, v55, vcc
	s_waitcnt lgkmcnt(0)
	v_mul_f32_e32 v111, v111, v112
	s_cbranch_execz .LBB85_37
	s_branch .LBB85_38
.LBB85_36:
                                        ; implicit-def: $vgpr111
.LBB85_37:
	ds_read_b32 v111, v110
.LBB85_38:
	s_and_saveexec_b64 s[6:7], s[0:1]
	s_cbranch_execz .LBB85_48
; %bb.39:
	v_subrev_u32_e32 v114, 19, v0
	v_mov_b32_e32 v112, 18
	v_subrev_u32_e32 v113, 18, v0
	v_cmp_lt_u32_e32 vcc, 6, v114
	s_and_saveexec_b64 s[0:1], vcc
	s_cbranch_execz .LBB85_43
; %bb.40:
	v_and_b32_e32 v112, -8, v113
	v_sub_u32_e32 v114, 0, v112
	s_mov_b64 s[8:9], 25
	s_movk_i32 s12, 0xa8
	s_mov_b64 s[10:11], 0
.LBB85_41:                              ; =>This Inner Loop Header: Depth=1
	s_add_i32 s13, s8, -7
	v_mov_b32_e32 v112, s12
	s_add_i32 s14, s8, -6
	s_set_gpr_idx_on s13, gpr_idx(SRC0)
	v_mov_b32_e32 v123, v34
	s_set_gpr_idx_off
	ds_read2_b64 v[115:118], v112 offset1:1
	s_add_i32 s15, s8, -5
	s_set_gpr_idx_on s14, gpr_idx(SRC0)
	v_mov_b32_e32 v124, v34
	s_set_gpr_idx_off
	s_add_i32 s16, s8, -4
	s_set_gpr_idx_on s15, gpr_idx(SRC0)
	v_mov_b32_e32 v125, v34
	s_set_gpr_idx_off
	;; [unrolled: 4-line block ×4, first 2 shown]
	ds_read2_b64 v[119:122], v112 offset0:2 offset1:3
	s_add_i32 s19, s8, -1
	s_waitcnt lgkmcnt(1)
	v_fmac_f32_e32 v111, v123, v115
	s_set_gpr_idx_on s18, gpr_idx(SRC0)
	v_mov_b32_e32 v115, v34
	s_set_gpr_idx_off
	v_fmac_f32_e32 v111, v124, v116
	s_set_gpr_idx_on s19, gpr_idx(SRC0)
	v_mov_b32_e32 v116, v34
	s_set_gpr_idx_off
	;; [unrolled: 4-line block ×3, first 2 shown]
	v_fmac_f32_e32 v111, v126, v118
	s_add_u32 s8, s8, 8
	s_waitcnt lgkmcnt(0)
	v_fmac_f32_e32 v111, v127, v119
	v_add_u32_e32 v112, s8, v114
	v_fmac_f32_e32 v111, v115, v120
	s_addc_u32 s9, s9, 0
	s_add_i32 s12, s12, 32
	s_add_i32 s13, s8, -7
	v_cmp_eq_u32_e32 vcc, 25, v112
	v_fmac_f32_e32 v111, v116, v121
	v_mov_b32_e32 v112, s13
	s_or_b64 s[10:11], vcc, s[10:11]
	v_fmac_f32_e32 v111, v117, v122
	s_andn2_b64 exec, exec, s[10:11]
	s_cbranch_execnz .LBB85_41
; %bb.42:
	s_or_b64 exec, exec, s[10:11]
.LBB85_43:
	s_or_b64 exec, exec, s[0:1]
	v_and_b32_e32 v56, 7, v113
	v_cmp_ne_u32_e32 vcc, 0, v56
	s_and_saveexec_b64 s[8:9], vcc
	s_cbranch_execz .LBB85_47
; %bb.44:
	v_mov_b32_e32 v57, 0x60
	v_lshl_add_u32 v57, v112, 2, v57
	v_mov_b32_e32 v58, 0
	s_mov_b64 s[10:11], 0
.LBB85_45:                              ; =>This Inner Loop Header: Depth=1
	v_cmp_eq_u32_e32 vcc, 1, v112
	v_cndmask_b32_e32 v59, v34, v35, vcc
	v_add_u32_e32 v56, -1, v56
	v_cmp_eq_u32_e32 vcc, 2, v112
	v_cndmask_b32_e32 v59, v59, v36, vcc
	v_cmp_eq_u32_e32 vcc, 0, v56
	v_cmp_eq_u32_e64 s[0:1], 3, v112
	v_cndmask_b32_e64 v59, v59, v37, s[0:1]
	s_or_b64 s[10:11], vcc, s[10:11]
	v_cmp_eq_u32_e32 vcc, 4, v112
	v_cndmask_b32_e32 v59, v59, v38, vcc
	v_cmp_eq_u32_e32 vcc, 5, v112
	v_cndmask_b32_e32 v59, v59, v39, vcc
	;; [unrolled: 2-line block ×13, first 2 shown]
	v_cmp_eq_u32_e32 vcc, 17, v112
	ds_read_b32 v60, v57
	v_cndmask_b32_e32 v59, v59, v51, vcc
	v_cmp_eq_u32_e32 vcc, 18, v112
	v_cndmask_b32_e32 v59, v59, v52, vcc
	v_cmp_eq_u32_e32 vcc, 19, v112
	;; [unrolled: 2-line block ×4, first 2 shown]
	v_add_co_u32_e64 v112, s[0:1], 1, v112
	v_cndmask_b32_e32 v59, v59, v55, vcc
	v_add_u32_e32 v57, 4, v57
	v_addc_co_u32_e64 v58, s[0:1], 0, v58, s[0:1]
	s_waitcnt lgkmcnt(0)
	v_fmac_f32_e32 v111, v59, v60
	s_andn2_b64 exec, exec, s[10:11]
	s_cbranch_execnz .LBB85_45
; %bb.46:
	s_or_b64 exec, exec, s[10:11]
.LBB85_47:
	s_or_b64 exec, exec, s[8:9]
.LBB85_48:
	s_or_b64 exec, exec, s[6:7]
	v_mov_b32_e32 v51, 0
	ds_read_b32 v51, v51 offset:68
	s_waitcnt lgkmcnt(0)
	v_mul_f32_e32 v51, v111, v51
.LBB85_49:
	s_or_b64 exec, exec, s[4:5]
	v_cmp_lt_u32_e64 s[0:1], 16, v0
	ds_write_b32 v110, v50
	s_waitcnt lgkmcnt(0)
	; wave barrier
	s_and_saveexec_b64 s[4:5], s[0:1]
	s_cbranch_execz .LBB85_65
; %bb.50:
	s_andn2_b64 vcc, exec, s[46:47]
	s_cbranch_vccnz .LBB85_52
; %bb.51:
	v_cmp_eq_u32_e32 vcc, 1, v0
	v_cndmask_b32_e32 v111, v34, v35, vcc
	v_cmp_eq_u32_e32 vcc, 2, v0
	v_cndmask_b32_e32 v111, v111, v36, vcc
	;; [unrolled: 2-line block ×17, first 2 shown]
	v_cmp_eq_u32_e32 vcc, 18, v0
	ds_read_b32 v112, v110
	v_cndmask_b32_e32 v111, v111, v52, vcc
	v_cmp_eq_u32_e32 vcc, 19, v0
	v_cndmask_b32_e32 v111, v111, v53, vcc
	v_cmp_eq_u32_e32 vcc, 20, v0
	;; [unrolled: 2-line block ×3, first 2 shown]
	v_cndmask_b32_e32 v111, v111, v55, vcc
	s_waitcnt lgkmcnt(0)
	v_mul_f32_e32 v111, v111, v112
	s_cbranch_execz .LBB85_53
	s_branch .LBB85_54
.LBB85_52:
                                        ; implicit-def: $vgpr111
.LBB85_53:
	ds_read_b32 v111, v110
.LBB85_54:
	s_and_saveexec_b64 s[6:7], s[2:3]
	s_cbranch_execz .LBB85_64
; %bb.55:
	v_subrev_u32_e32 v114, 18, v0
	v_mov_b32_e32 v112, 17
	v_subrev_u32_e32 v113, 17, v0
	v_cmp_lt_u32_e32 vcc, 6, v114
	s_and_saveexec_b64 s[2:3], vcc
	s_cbranch_execz .LBB85_59
; %bb.56:
	v_and_b32_e32 v112, -8, v113
	v_sub_u32_e32 v114, 0, v112
	s_mov_b64 s[8:9], 24
	s_movk_i32 s12, 0xa4
	s_mov_b64 s[10:11], 0
.LBB85_57:                              ; =>This Inner Loop Header: Depth=1
	s_add_i32 s13, s8, -7
	v_mov_b32_e32 v112, s12
	s_add_i32 s14, s8, -6
	s_set_gpr_idx_on s13, gpr_idx(SRC0)
	v_mov_b32_e32 v121, v34
	s_set_gpr_idx_off
	ds_read2_b32 v[115:116], v112 offset1:1
	s_add_i32 s15, s8, -5
	s_set_gpr_idx_on s14, gpr_idx(SRC0)
	v_mov_b32_e32 v122, v34
	s_set_gpr_idx_off
	s_add_i32 s16, s8, -4
	s_set_gpr_idx_on s15, gpr_idx(SRC0)
	v_mov_b32_e32 v123, v34
	s_set_gpr_idx_off
	ds_read2_b32 v[117:118], v112 offset0:2 offset1:3
	s_add_i32 s17, s8, -3
	s_set_gpr_idx_on s16, gpr_idx(SRC0)
	v_mov_b32_e32 v124, v34
	s_set_gpr_idx_off
	s_add_i32 s18, s8, -2
	s_set_gpr_idx_on s17, gpr_idx(SRC0)
	v_mov_b32_e32 v125, v34
	s_set_gpr_idx_off
	ds_read2_b32 v[119:120], v112 offset0:4 offset1:5
	s_add_i32 s19, s8, -1
	s_waitcnt lgkmcnt(2)
	v_fmac_f32_e32 v111, v121, v115
	s_set_gpr_idx_on s18, gpr_idx(SRC0)
	v_mov_b32_e32 v121, v34
	s_set_gpr_idx_off
	v_fmac_f32_e32 v111, v122, v116
	s_set_gpr_idx_on s19, gpr_idx(SRC0)
	v_mov_b32_e32 v122, v34
	s_set_gpr_idx_off
	ds_read2_b32 v[115:116], v112 offset0:6 offset1:7
	s_waitcnt lgkmcnt(2)
	v_fmac_f32_e32 v111, v123, v117
	s_set_gpr_idx_on s8, gpr_idx(SRC0)
	v_mov_b32_e32 v117, v34
	s_set_gpr_idx_off
	v_fmac_f32_e32 v111, v124, v118
	s_add_u32 s8, s8, 8
	s_waitcnt lgkmcnt(1)
	v_fmac_f32_e32 v111, v125, v119
	v_add_u32_e32 v112, s8, v114
	v_fmac_f32_e32 v111, v121, v120
	s_addc_u32 s9, s9, 0
	s_add_i32 s12, s12, 32
	s_add_i32 s13, s8, -7
	v_cmp_eq_u32_e32 vcc, 24, v112
	s_waitcnt lgkmcnt(0)
	v_fmac_f32_e32 v111, v122, v115
	v_mov_b32_e32 v112, s13
	s_or_b64 s[10:11], vcc, s[10:11]
	v_fmac_f32_e32 v111, v117, v116
	s_andn2_b64 exec, exec, s[10:11]
	s_cbranch_execnz .LBB85_57
; %bb.58:
	s_or_b64 exec, exec, s[10:11]
.LBB85_59:
	s_or_b64 exec, exec, s[2:3]
	v_and_b32_e32 v56, 7, v113
	v_cmp_ne_u32_e32 vcc, 0, v56
	s_and_saveexec_b64 s[8:9], vcc
	s_cbranch_execz .LBB85_63
; %bb.60:
	v_mov_b32_e32 v57, 0x60
	v_lshl_add_u32 v57, v112, 2, v57
	v_mov_b32_e32 v58, 0
	s_mov_b64 s[10:11], 0
.LBB85_61:                              ; =>This Inner Loop Header: Depth=1
	v_cmp_eq_u32_e32 vcc, 1, v112
	v_cndmask_b32_e32 v59, v34, v35, vcc
	v_add_u32_e32 v56, -1, v56
	v_cmp_eq_u32_e32 vcc, 2, v112
	v_cndmask_b32_e32 v59, v59, v36, vcc
	v_cmp_eq_u32_e32 vcc, 0, v56
	v_cmp_eq_u32_e64 s[2:3], 3, v112
	v_cndmask_b32_e64 v59, v59, v37, s[2:3]
	s_or_b64 s[10:11], vcc, s[10:11]
	v_cmp_eq_u32_e32 vcc, 4, v112
	v_cndmask_b32_e32 v59, v59, v38, vcc
	v_cmp_eq_u32_e32 vcc, 5, v112
	v_cndmask_b32_e32 v59, v59, v39, vcc
	;; [unrolled: 2-line block ×13, first 2 shown]
	v_cmp_eq_u32_e32 vcc, 17, v112
	ds_read_b32 v60, v57
	v_cndmask_b32_e32 v59, v59, v51, vcc
	v_cmp_eq_u32_e32 vcc, 18, v112
	v_cndmask_b32_e32 v59, v59, v52, vcc
	v_cmp_eq_u32_e32 vcc, 19, v112
	;; [unrolled: 2-line block ×4, first 2 shown]
	v_add_co_u32_e64 v112, s[2:3], 1, v112
	v_cndmask_b32_e32 v59, v59, v55, vcc
	v_add_u32_e32 v57, 4, v57
	v_addc_co_u32_e64 v58, s[2:3], 0, v58, s[2:3]
	s_waitcnt lgkmcnt(0)
	v_fmac_f32_e32 v111, v59, v60
	s_andn2_b64 exec, exec, s[10:11]
	s_cbranch_execnz .LBB85_61
; %bb.62:
	s_or_b64 exec, exec, s[10:11]
.LBB85_63:
	s_or_b64 exec, exec, s[8:9]
.LBB85_64:
	s_or_b64 exec, exec, s[6:7]
	v_mov_b32_e32 v50, 0
	ds_read_b32 v50, v50 offset:64
	s_waitcnt lgkmcnt(0)
	v_mul_f32_e32 v50, v111, v50
.LBB85_65:
	s_or_b64 exec, exec, s[4:5]
	v_cmp_lt_u32_e64 s[2:3], 15, v0
	ds_write_b32 v110, v49
	s_waitcnt lgkmcnt(0)
	; wave barrier
	s_and_saveexec_b64 s[4:5], s[2:3]
	s_cbranch_execz .LBB85_81
; %bb.66:
	s_andn2_b64 vcc, exec, s[46:47]
	s_cbranch_vccnz .LBB85_68
; %bb.67:
	v_cmp_eq_u32_e32 vcc, 1, v0
	v_cndmask_b32_e32 v111, v34, v35, vcc
	v_cmp_eq_u32_e32 vcc, 2, v0
	v_cndmask_b32_e32 v111, v111, v36, vcc
	;; [unrolled: 2-line block ×17, first 2 shown]
	v_cmp_eq_u32_e32 vcc, 18, v0
	ds_read_b32 v112, v110
	v_cndmask_b32_e32 v111, v111, v52, vcc
	v_cmp_eq_u32_e32 vcc, 19, v0
	v_cndmask_b32_e32 v111, v111, v53, vcc
	v_cmp_eq_u32_e32 vcc, 20, v0
	;; [unrolled: 2-line block ×3, first 2 shown]
	v_cndmask_b32_e32 v111, v111, v55, vcc
	s_waitcnt lgkmcnt(0)
	v_mul_f32_e32 v111, v111, v112
	s_cbranch_execz .LBB85_69
	s_branch .LBB85_70
.LBB85_68:
                                        ; implicit-def: $vgpr111
.LBB85_69:
	ds_read_b32 v111, v110
.LBB85_70:
	s_and_saveexec_b64 s[6:7], s[0:1]
	s_cbranch_execz .LBB85_80
; %bb.71:
	v_subrev_u32_e32 v112, 17, v0
	v_cmp_lt_u32_e32 vcc, 6, v112
	v_mov_b32_e32 v112, 16
	s_and_saveexec_b64 s[0:1], vcc
	s_cbranch_execz .LBB85_75
; %bb.72:
	v_and_b32_e32 v112, 24, v0
	v_sub_u32_e32 v113, 0, v112
	s_mov_b64 s[8:9], 23
	s_movk_i32 s12, 0xa0
	s_mov_b64 s[10:11], 0
.LBB85_73:                              ; =>This Inner Loop Header: Depth=1
	s_add_i32 s13, s8, -7
	v_mov_b32_e32 v112, s12
	s_add_i32 s14, s8, -6
	s_set_gpr_idx_on s13, gpr_idx(SRC0)
	v_mov_b32_e32 v122, v34
	s_set_gpr_idx_off
	s_add_i32 s15, s8, -5
	ds_read_b128 v[114:117], v112
	ds_read_b128 v[118:121], v112 offset:16
	s_set_gpr_idx_on s14, gpr_idx(SRC0)
	v_mov_b32_e32 v112, v34
	s_set_gpr_idx_off
	s_add_i32 s16, s8, -4
	s_set_gpr_idx_on s15, gpr_idx(SRC0)
	v_mov_b32_e32 v123, v34
	s_set_gpr_idx_off
	s_add_i32 s17, s8, -3
	s_set_gpr_idx_on s16, gpr_idx(SRC0)
	v_mov_b32_e32 v124, v34
	s_set_gpr_idx_off
	s_add_i32 s18, s8, -2
	s_set_gpr_idx_on s17, gpr_idx(SRC0)
	v_mov_b32_e32 v125, v34
	s_set_gpr_idx_off
	s_add_i32 s19, s8, -1
	s_waitcnt lgkmcnt(1)
	v_fmac_f32_e32 v111, v122, v114
	s_set_gpr_idx_on s18, gpr_idx(SRC0)
	v_mov_b32_e32 v114, v34
	s_set_gpr_idx_off
	v_fmac_f32_e32 v111, v112, v115
	s_set_gpr_idx_on s19, gpr_idx(SRC0)
	v_mov_b32_e32 v115, v34
	s_set_gpr_idx_off
	;; [unrolled: 4-line block ×3, first 2 shown]
	v_fmac_f32_e32 v111, v124, v117
	s_add_u32 s8, s8, 8
	s_waitcnt lgkmcnt(0)
	v_fmac_f32_e32 v111, v125, v118
	v_add_u32_e32 v112, s8, v113
	v_fmac_f32_e32 v111, v114, v119
	s_addc_u32 s9, s9, 0
	s_add_i32 s12, s12, 32
	s_add_i32 s13, s8, -7
	v_cmp_eq_u32_e32 vcc, 7, v112
	v_fmac_f32_e32 v111, v115, v120
	v_mov_b32_e32 v112, s13
	s_or_b64 s[10:11], vcc, s[10:11]
	v_fmac_f32_e32 v111, v116, v121
	s_andn2_b64 exec, exec, s[10:11]
	s_cbranch_execnz .LBB85_73
; %bb.74:
	s_or_b64 exec, exec, s[10:11]
.LBB85_75:
	s_or_b64 exec, exec, s[0:1]
	v_and_b32_e32 v56, 7, v0
	v_cmp_ne_u32_e32 vcc, 0, v56
	s_and_saveexec_b64 s[8:9], vcc
	s_cbranch_execz .LBB85_79
; %bb.76:
	v_mov_b32_e32 v57, 0x60
	v_lshl_add_u32 v57, v112, 2, v57
	v_mov_b32_e32 v58, 0
	s_mov_b64 s[10:11], 0
.LBB85_77:                              ; =>This Inner Loop Header: Depth=1
	v_cmp_eq_u32_e32 vcc, 1, v112
	v_cndmask_b32_e32 v59, v34, v35, vcc
	v_add_u32_e32 v56, -1, v56
	v_cmp_eq_u32_e32 vcc, 2, v112
	v_cndmask_b32_e32 v59, v59, v36, vcc
	v_cmp_eq_u32_e32 vcc, 0, v56
	v_cmp_eq_u32_e64 s[0:1], 3, v112
	v_cndmask_b32_e64 v59, v59, v37, s[0:1]
	s_or_b64 s[10:11], vcc, s[10:11]
	v_cmp_eq_u32_e32 vcc, 4, v112
	v_cndmask_b32_e32 v59, v59, v38, vcc
	v_cmp_eq_u32_e32 vcc, 5, v112
	v_cndmask_b32_e32 v59, v59, v39, vcc
	;; [unrolled: 2-line block ×13, first 2 shown]
	v_cmp_eq_u32_e32 vcc, 17, v112
	ds_read_b32 v60, v57
	v_cndmask_b32_e32 v59, v59, v51, vcc
	v_cmp_eq_u32_e32 vcc, 18, v112
	v_cndmask_b32_e32 v59, v59, v52, vcc
	v_cmp_eq_u32_e32 vcc, 19, v112
	;; [unrolled: 2-line block ×4, first 2 shown]
	v_add_co_u32_e64 v112, s[0:1], 1, v112
	v_cndmask_b32_e32 v59, v59, v55, vcc
	v_add_u32_e32 v57, 4, v57
	v_addc_co_u32_e64 v58, s[0:1], 0, v58, s[0:1]
	s_waitcnt lgkmcnt(0)
	v_fmac_f32_e32 v111, v59, v60
	s_andn2_b64 exec, exec, s[10:11]
	s_cbranch_execnz .LBB85_77
; %bb.78:
	s_or_b64 exec, exec, s[10:11]
.LBB85_79:
	s_or_b64 exec, exec, s[8:9]
.LBB85_80:
	s_or_b64 exec, exec, s[6:7]
	v_mov_b32_e32 v49, 0
	ds_read_b32 v49, v49 offset:60
	s_waitcnt lgkmcnt(0)
	v_mul_f32_e32 v49, v111, v49
.LBB85_81:
	s_or_b64 exec, exec, s[4:5]
	v_cmp_lt_u32_e64 s[0:1], 14, v0
	ds_write_b32 v110, v48
	s_waitcnt lgkmcnt(0)
	; wave barrier
	s_and_saveexec_b64 s[4:5], s[0:1]
	s_cbranch_execz .LBB85_97
; %bb.82:
	s_andn2_b64 vcc, exec, s[46:47]
	s_cbranch_vccnz .LBB85_84
; %bb.83:
	v_cmp_eq_u32_e32 vcc, 1, v0
	v_cndmask_b32_e32 v111, v34, v35, vcc
	v_cmp_eq_u32_e32 vcc, 2, v0
	v_cndmask_b32_e32 v111, v111, v36, vcc
	;; [unrolled: 2-line block ×17, first 2 shown]
	v_cmp_eq_u32_e32 vcc, 18, v0
	ds_read_b32 v112, v110
	v_cndmask_b32_e32 v111, v111, v52, vcc
	v_cmp_eq_u32_e32 vcc, 19, v0
	v_cndmask_b32_e32 v111, v111, v53, vcc
	v_cmp_eq_u32_e32 vcc, 20, v0
	;; [unrolled: 2-line block ×3, first 2 shown]
	v_cndmask_b32_e32 v111, v111, v55, vcc
	s_waitcnt lgkmcnt(0)
	v_mul_f32_e32 v111, v111, v112
	s_cbranch_execz .LBB85_85
	s_branch .LBB85_86
.LBB85_84:
                                        ; implicit-def: $vgpr111
.LBB85_85:
	ds_read_b32 v111, v110
.LBB85_86:
	s_and_saveexec_b64 s[6:7], s[2:3]
	s_cbranch_execz .LBB85_96
; %bb.87:
	v_add_u32_e32 v112, -16, v0
	v_add_u32_e32 v113, -15, v0
	v_cmp_lt_u32_e32 vcc, 6, v112
	v_mov_b32_e32 v112, 15
	s_and_saveexec_b64 s[2:3], vcc
	s_cbranch_execz .LBB85_91
; %bb.88:
	v_and_b32_e32 v112, -8, v113
	v_sub_u32_e32 v114, 0, v112
	s_mov_b64 s[8:9], 22
	s_movk_i32 s12, 0x9c
	s_mov_b64 s[10:11], 0
.LBB85_89:                              ; =>This Inner Loop Header: Depth=1
	s_add_i32 s13, s8, -7
	v_mov_b32_e32 v112, s12
	s_add_i32 s14, s8, -6
	s_set_gpr_idx_on s13, gpr_idx(SRC0)
	v_mov_b32_e32 v121, v34
	s_set_gpr_idx_off
	ds_read2_b32 v[115:116], v112 offset1:1
	s_add_i32 s15, s8, -5
	s_set_gpr_idx_on s14, gpr_idx(SRC0)
	v_mov_b32_e32 v122, v34
	s_set_gpr_idx_off
	s_add_i32 s16, s8, -4
	s_set_gpr_idx_on s15, gpr_idx(SRC0)
	v_mov_b32_e32 v123, v34
	s_set_gpr_idx_off
	ds_read2_b32 v[117:118], v112 offset0:2 offset1:3
	s_add_i32 s17, s8, -3
	s_set_gpr_idx_on s16, gpr_idx(SRC0)
	v_mov_b32_e32 v124, v34
	s_set_gpr_idx_off
	s_add_i32 s18, s8, -2
	s_set_gpr_idx_on s17, gpr_idx(SRC0)
	v_mov_b32_e32 v125, v34
	s_set_gpr_idx_off
	ds_read2_b32 v[119:120], v112 offset0:4 offset1:5
	s_add_i32 s19, s8, -1
	s_waitcnt lgkmcnt(2)
	v_fmac_f32_e32 v111, v121, v115
	s_set_gpr_idx_on s18, gpr_idx(SRC0)
	v_mov_b32_e32 v121, v34
	s_set_gpr_idx_off
	v_fmac_f32_e32 v111, v122, v116
	s_set_gpr_idx_on s19, gpr_idx(SRC0)
	v_mov_b32_e32 v122, v34
	s_set_gpr_idx_off
	ds_read2_b32 v[115:116], v112 offset0:6 offset1:7
	s_waitcnt lgkmcnt(2)
	v_fmac_f32_e32 v111, v123, v117
	s_set_gpr_idx_on s8, gpr_idx(SRC0)
	v_mov_b32_e32 v117, v34
	s_set_gpr_idx_off
	v_fmac_f32_e32 v111, v124, v118
	s_add_u32 s8, s8, 8
	s_waitcnt lgkmcnt(1)
	v_fmac_f32_e32 v111, v125, v119
	v_add_u32_e32 v112, s8, v114
	v_fmac_f32_e32 v111, v121, v120
	s_addc_u32 s9, s9, 0
	s_add_i32 s12, s12, 32
	s_add_i32 s13, s8, -7
	v_cmp_eq_u32_e32 vcc, 22, v112
	s_waitcnt lgkmcnt(0)
	v_fmac_f32_e32 v111, v122, v115
	v_mov_b32_e32 v112, s13
	s_or_b64 s[10:11], vcc, s[10:11]
	v_fmac_f32_e32 v111, v117, v116
	s_andn2_b64 exec, exec, s[10:11]
	s_cbranch_execnz .LBB85_89
; %bb.90:
	s_or_b64 exec, exec, s[10:11]
.LBB85_91:
	s_or_b64 exec, exec, s[2:3]
	v_and_b32_e32 v56, 7, v113
	v_cmp_ne_u32_e32 vcc, 0, v56
	s_and_saveexec_b64 s[8:9], vcc
	s_cbranch_execz .LBB85_95
; %bb.92:
	v_mov_b32_e32 v57, 0x60
	v_lshl_add_u32 v57, v112, 2, v57
	v_mov_b32_e32 v58, 0
	s_mov_b64 s[10:11], 0
.LBB85_93:                              ; =>This Inner Loop Header: Depth=1
	v_cmp_eq_u32_e32 vcc, 1, v112
	v_cndmask_b32_e32 v59, v34, v35, vcc
	v_add_u32_e32 v56, -1, v56
	v_cmp_eq_u32_e32 vcc, 2, v112
	v_cndmask_b32_e32 v59, v59, v36, vcc
	v_cmp_eq_u32_e32 vcc, 0, v56
	v_cmp_eq_u32_e64 s[2:3], 3, v112
	v_cndmask_b32_e64 v59, v59, v37, s[2:3]
	s_or_b64 s[10:11], vcc, s[10:11]
	v_cmp_eq_u32_e32 vcc, 4, v112
	v_cndmask_b32_e32 v59, v59, v38, vcc
	v_cmp_eq_u32_e32 vcc, 5, v112
	v_cndmask_b32_e32 v59, v59, v39, vcc
	;; [unrolled: 2-line block ×13, first 2 shown]
	v_cmp_eq_u32_e32 vcc, 17, v112
	ds_read_b32 v60, v57
	v_cndmask_b32_e32 v59, v59, v51, vcc
	v_cmp_eq_u32_e32 vcc, 18, v112
	v_cndmask_b32_e32 v59, v59, v52, vcc
	v_cmp_eq_u32_e32 vcc, 19, v112
	;; [unrolled: 2-line block ×4, first 2 shown]
	v_add_co_u32_e64 v112, s[2:3], 1, v112
	v_cndmask_b32_e32 v59, v59, v55, vcc
	v_add_u32_e32 v57, 4, v57
	v_addc_co_u32_e64 v58, s[2:3], 0, v58, s[2:3]
	s_waitcnt lgkmcnt(0)
	v_fmac_f32_e32 v111, v59, v60
	s_andn2_b64 exec, exec, s[10:11]
	s_cbranch_execnz .LBB85_93
; %bb.94:
	s_or_b64 exec, exec, s[10:11]
.LBB85_95:
	s_or_b64 exec, exec, s[8:9]
.LBB85_96:
	s_or_b64 exec, exec, s[6:7]
	v_mov_b32_e32 v48, 0
	ds_read_b32 v48, v48 offset:56
	s_waitcnt lgkmcnt(0)
	v_mul_f32_e32 v48, v111, v48
.LBB85_97:
	s_or_b64 exec, exec, s[4:5]
	v_cmp_lt_u32_e64 s[2:3], 13, v0
	ds_write_b32 v110, v47
	s_waitcnt lgkmcnt(0)
	; wave barrier
	s_and_saveexec_b64 s[4:5], s[2:3]
	s_cbranch_execz .LBB85_113
; %bb.98:
	s_andn2_b64 vcc, exec, s[46:47]
	s_cbranch_vccnz .LBB85_100
; %bb.99:
	v_cmp_eq_u32_e32 vcc, 1, v0
	v_cndmask_b32_e32 v111, v34, v35, vcc
	v_cmp_eq_u32_e32 vcc, 2, v0
	v_cndmask_b32_e32 v111, v111, v36, vcc
	;; [unrolled: 2-line block ×17, first 2 shown]
	v_cmp_eq_u32_e32 vcc, 18, v0
	ds_read_b32 v112, v110
	v_cndmask_b32_e32 v111, v111, v52, vcc
	v_cmp_eq_u32_e32 vcc, 19, v0
	v_cndmask_b32_e32 v111, v111, v53, vcc
	v_cmp_eq_u32_e32 vcc, 20, v0
	;; [unrolled: 2-line block ×3, first 2 shown]
	v_cndmask_b32_e32 v111, v111, v55, vcc
	s_waitcnt lgkmcnt(0)
	v_mul_f32_e32 v111, v111, v112
	s_cbranch_execz .LBB85_101
	s_branch .LBB85_102
.LBB85_100:
                                        ; implicit-def: $vgpr111
.LBB85_101:
	ds_read_b32 v111, v110
.LBB85_102:
	s_and_saveexec_b64 s[6:7], s[0:1]
	s_cbranch_execz .LBB85_112
; %bb.103:
	v_add_u32_e32 v112, -15, v0
	v_add_u32_e32 v113, -14, v0
	v_cmp_lt_u32_e32 vcc, 6, v112
	v_mov_b32_e32 v112, 14
	s_and_saveexec_b64 s[0:1], vcc
	s_cbranch_execz .LBB85_107
; %bb.104:
	v_and_b32_e32 v112, -8, v113
	v_sub_u32_e32 v114, 0, v112
	s_mov_b64 s[8:9], 21
	s_movk_i32 s12, 0x98
	s_mov_b64 s[10:11], 0
.LBB85_105:                             ; =>This Inner Loop Header: Depth=1
	s_add_i32 s13, s8, -7
	v_mov_b32_e32 v112, s12
	s_add_i32 s14, s8, -6
	s_set_gpr_idx_on s13, gpr_idx(SRC0)
	v_mov_b32_e32 v123, v34
	s_set_gpr_idx_off
	ds_read2_b64 v[115:118], v112 offset1:1
	s_add_i32 s15, s8, -5
	s_set_gpr_idx_on s14, gpr_idx(SRC0)
	v_mov_b32_e32 v124, v34
	s_set_gpr_idx_off
	s_add_i32 s16, s8, -4
	s_set_gpr_idx_on s15, gpr_idx(SRC0)
	v_mov_b32_e32 v125, v34
	s_set_gpr_idx_off
	;; [unrolled: 4-line block ×4, first 2 shown]
	ds_read2_b64 v[119:122], v112 offset0:2 offset1:3
	s_add_i32 s19, s8, -1
	s_waitcnt lgkmcnt(1)
	v_fmac_f32_e32 v111, v123, v115
	s_set_gpr_idx_on s18, gpr_idx(SRC0)
	v_mov_b32_e32 v115, v34
	s_set_gpr_idx_off
	v_fmac_f32_e32 v111, v124, v116
	s_set_gpr_idx_on s19, gpr_idx(SRC0)
	v_mov_b32_e32 v116, v34
	s_set_gpr_idx_off
	;; [unrolled: 4-line block ×3, first 2 shown]
	v_fmac_f32_e32 v111, v126, v118
	s_add_u32 s8, s8, 8
	s_waitcnt lgkmcnt(0)
	v_fmac_f32_e32 v111, v127, v119
	v_add_u32_e32 v112, s8, v114
	v_fmac_f32_e32 v111, v115, v120
	s_addc_u32 s9, s9, 0
	s_add_i32 s12, s12, 32
	s_add_i32 s13, s8, -7
	v_cmp_eq_u32_e32 vcc, 21, v112
	v_fmac_f32_e32 v111, v116, v121
	v_mov_b32_e32 v112, s13
	s_or_b64 s[10:11], vcc, s[10:11]
	v_fmac_f32_e32 v111, v117, v122
	s_andn2_b64 exec, exec, s[10:11]
	s_cbranch_execnz .LBB85_105
; %bb.106:
	s_or_b64 exec, exec, s[10:11]
.LBB85_107:
	s_or_b64 exec, exec, s[0:1]
	v_and_b32_e32 v56, 7, v113
	v_cmp_ne_u32_e32 vcc, 0, v56
	s_and_saveexec_b64 s[8:9], vcc
	s_cbranch_execz .LBB85_111
; %bb.108:
	v_mov_b32_e32 v57, 0x60
	v_lshl_add_u32 v57, v112, 2, v57
	v_mov_b32_e32 v58, 0
	s_mov_b64 s[10:11], 0
.LBB85_109:                             ; =>This Inner Loop Header: Depth=1
	v_cmp_eq_u32_e32 vcc, 1, v112
	v_cndmask_b32_e32 v59, v34, v35, vcc
	v_add_u32_e32 v56, -1, v56
	v_cmp_eq_u32_e32 vcc, 2, v112
	v_cndmask_b32_e32 v59, v59, v36, vcc
	v_cmp_eq_u32_e32 vcc, 0, v56
	v_cmp_eq_u32_e64 s[0:1], 3, v112
	v_cndmask_b32_e64 v59, v59, v37, s[0:1]
	s_or_b64 s[10:11], vcc, s[10:11]
	v_cmp_eq_u32_e32 vcc, 4, v112
	v_cndmask_b32_e32 v59, v59, v38, vcc
	v_cmp_eq_u32_e32 vcc, 5, v112
	v_cndmask_b32_e32 v59, v59, v39, vcc
	;; [unrolled: 2-line block ×13, first 2 shown]
	v_cmp_eq_u32_e32 vcc, 17, v112
	ds_read_b32 v60, v57
	v_cndmask_b32_e32 v59, v59, v51, vcc
	v_cmp_eq_u32_e32 vcc, 18, v112
	v_cndmask_b32_e32 v59, v59, v52, vcc
	v_cmp_eq_u32_e32 vcc, 19, v112
	;; [unrolled: 2-line block ×4, first 2 shown]
	v_add_co_u32_e64 v112, s[0:1], 1, v112
	v_cndmask_b32_e32 v59, v59, v55, vcc
	v_add_u32_e32 v57, 4, v57
	v_addc_co_u32_e64 v58, s[0:1], 0, v58, s[0:1]
	s_waitcnt lgkmcnt(0)
	v_fmac_f32_e32 v111, v59, v60
	s_andn2_b64 exec, exec, s[10:11]
	s_cbranch_execnz .LBB85_109
; %bb.110:
	s_or_b64 exec, exec, s[10:11]
.LBB85_111:
	s_or_b64 exec, exec, s[8:9]
.LBB85_112:
	s_or_b64 exec, exec, s[6:7]
	v_mov_b32_e32 v47, 0
	ds_read_b32 v47, v47 offset:52
	s_waitcnt lgkmcnt(0)
	v_mul_f32_e32 v47, v111, v47
.LBB85_113:
	s_or_b64 exec, exec, s[4:5]
	v_cmp_lt_u32_e64 s[0:1], 12, v0
	ds_write_b32 v110, v46
	s_waitcnt lgkmcnt(0)
	; wave barrier
	s_and_saveexec_b64 s[4:5], s[0:1]
	s_cbranch_execz .LBB85_129
; %bb.114:
	s_andn2_b64 vcc, exec, s[46:47]
	s_cbranch_vccnz .LBB85_116
; %bb.115:
	v_cmp_eq_u32_e32 vcc, 1, v0
	v_cndmask_b32_e32 v111, v34, v35, vcc
	v_cmp_eq_u32_e32 vcc, 2, v0
	v_cndmask_b32_e32 v111, v111, v36, vcc
	;; [unrolled: 2-line block ×17, first 2 shown]
	v_cmp_eq_u32_e32 vcc, 18, v0
	ds_read_b32 v112, v110
	v_cndmask_b32_e32 v111, v111, v52, vcc
	v_cmp_eq_u32_e32 vcc, 19, v0
	v_cndmask_b32_e32 v111, v111, v53, vcc
	v_cmp_eq_u32_e32 vcc, 20, v0
	;; [unrolled: 2-line block ×3, first 2 shown]
	v_cndmask_b32_e32 v111, v111, v55, vcc
	s_waitcnt lgkmcnt(0)
	v_mul_f32_e32 v111, v111, v112
	s_cbranch_execz .LBB85_117
	s_branch .LBB85_118
.LBB85_116:
                                        ; implicit-def: $vgpr111
.LBB85_117:
	ds_read_b32 v111, v110
.LBB85_118:
	s_and_saveexec_b64 s[6:7], s[2:3]
	s_cbranch_execz .LBB85_128
; %bb.119:
	v_add_u32_e32 v112, -14, v0
	v_add_u32_e32 v113, -13, v0
	v_cmp_lt_u32_e32 vcc, 6, v112
	v_mov_b32_e32 v112, 13
	s_and_saveexec_b64 s[2:3], vcc
	s_cbranch_execz .LBB85_123
; %bb.120:
	v_and_b32_e32 v112, -8, v113
	v_sub_u32_e32 v114, 0, v112
	s_mov_b64 s[8:9], 20
	s_movk_i32 s12, 0x94
	s_mov_b64 s[10:11], 0
.LBB85_121:                             ; =>This Inner Loop Header: Depth=1
	s_add_i32 s13, s8, -7
	v_mov_b32_e32 v112, s12
	s_add_i32 s14, s8, -6
	s_set_gpr_idx_on s13, gpr_idx(SRC0)
	v_mov_b32_e32 v121, v34
	s_set_gpr_idx_off
	ds_read2_b32 v[115:116], v112 offset1:1
	s_add_i32 s15, s8, -5
	s_set_gpr_idx_on s14, gpr_idx(SRC0)
	v_mov_b32_e32 v122, v34
	s_set_gpr_idx_off
	s_add_i32 s16, s8, -4
	s_set_gpr_idx_on s15, gpr_idx(SRC0)
	v_mov_b32_e32 v123, v34
	s_set_gpr_idx_off
	ds_read2_b32 v[117:118], v112 offset0:2 offset1:3
	s_add_i32 s17, s8, -3
	s_set_gpr_idx_on s16, gpr_idx(SRC0)
	v_mov_b32_e32 v124, v34
	s_set_gpr_idx_off
	s_add_i32 s18, s8, -2
	s_set_gpr_idx_on s17, gpr_idx(SRC0)
	v_mov_b32_e32 v125, v34
	s_set_gpr_idx_off
	ds_read2_b32 v[119:120], v112 offset0:4 offset1:5
	s_add_i32 s19, s8, -1
	s_waitcnt lgkmcnt(2)
	v_fmac_f32_e32 v111, v121, v115
	s_set_gpr_idx_on s18, gpr_idx(SRC0)
	v_mov_b32_e32 v121, v34
	s_set_gpr_idx_off
	v_fmac_f32_e32 v111, v122, v116
	s_set_gpr_idx_on s19, gpr_idx(SRC0)
	v_mov_b32_e32 v122, v34
	s_set_gpr_idx_off
	ds_read2_b32 v[115:116], v112 offset0:6 offset1:7
	s_waitcnt lgkmcnt(2)
	v_fmac_f32_e32 v111, v123, v117
	s_set_gpr_idx_on s8, gpr_idx(SRC0)
	v_mov_b32_e32 v117, v34
	s_set_gpr_idx_off
	v_fmac_f32_e32 v111, v124, v118
	s_add_u32 s8, s8, 8
	s_waitcnt lgkmcnt(1)
	v_fmac_f32_e32 v111, v125, v119
	v_add_u32_e32 v112, s8, v114
	v_fmac_f32_e32 v111, v121, v120
	s_addc_u32 s9, s9, 0
	s_add_i32 s12, s12, 32
	s_add_i32 s13, s8, -7
	v_cmp_eq_u32_e32 vcc, 20, v112
	s_waitcnt lgkmcnt(0)
	v_fmac_f32_e32 v111, v122, v115
	v_mov_b32_e32 v112, s13
	s_or_b64 s[10:11], vcc, s[10:11]
	v_fmac_f32_e32 v111, v117, v116
	s_andn2_b64 exec, exec, s[10:11]
	s_cbranch_execnz .LBB85_121
; %bb.122:
	s_or_b64 exec, exec, s[10:11]
.LBB85_123:
	s_or_b64 exec, exec, s[2:3]
	v_and_b32_e32 v56, 7, v113
	v_cmp_ne_u32_e32 vcc, 0, v56
	s_and_saveexec_b64 s[8:9], vcc
	s_cbranch_execz .LBB85_127
; %bb.124:
	v_mov_b32_e32 v57, 0x60
	v_lshl_add_u32 v57, v112, 2, v57
	v_mov_b32_e32 v58, 0
	s_mov_b64 s[10:11], 0
.LBB85_125:                             ; =>This Inner Loop Header: Depth=1
	v_cmp_eq_u32_e32 vcc, 1, v112
	v_cndmask_b32_e32 v59, v34, v35, vcc
	v_add_u32_e32 v56, -1, v56
	v_cmp_eq_u32_e32 vcc, 2, v112
	v_cndmask_b32_e32 v59, v59, v36, vcc
	v_cmp_eq_u32_e32 vcc, 0, v56
	v_cmp_eq_u32_e64 s[2:3], 3, v112
	v_cndmask_b32_e64 v59, v59, v37, s[2:3]
	s_or_b64 s[10:11], vcc, s[10:11]
	v_cmp_eq_u32_e32 vcc, 4, v112
	v_cndmask_b32_e32 v59, v59, v38, vcc
	v_cmp_eq_u32_e32 vcc, 5, v112
	v_cndmask_b32_e32 v59, v59, v39, vcc
	;; [unrolled: 2-line block ×13, first 2 shown]
	v_cmp_eq_u32_e32 vcc, 17, v112
	ds_read_b32 v60, v57
	v_cndmask_b32_e32 v59, v59, v51, vcc
	v_cmp_eq_u32_e32 vcc, 18, v112
	v_cndmask_b32_e32 v59, v59, v52, vcc
	v_cmp_eq_u32_e32 vcc, 19, v112
	;; [unrolled: 2-line block ×4, first 2 shown]
	v_add_co_u32_e64 v112, s[2:3], 1, v112
	v_cndmask_b32_e32 v59, v59, v55, vcc
	v_add_u32_e32 v57, 4, v57
	v_addc_co_u32_e64 v58, s[2:3], 0, v58, s[2:3]
	s_waitcnt lgkmcnt(0)
	v_fmac_f32_e32 v111, v59, v60
	s_andn2_b64 exec, exec, s[10:11]
	s_cbranch_execnz .LBB85_125
; %bb.126:
	s_or_b64 exec, exec, s[10:11]
.LBB85_127:
	s_or_b64 exec, exec, s[8:9]
.LBB85_128:
	s_or_b64 exec, exec, s[6:7]
	v_mov_b32_e32 v46, 0
	ds_read_b32 v46, v46 offset:48
	s_waitcnt lgkmcnt(0)
	v_mul_f32_e32 v46, v111, v46
.LBB85_129:
	s_or_b64 exec, exec, s[4:5]
	v_cmp_lt_u32_e64 s[2:3], 11, v0
	ds_write_b32 v110, v45
	s_waitcnt lgkmcnt(0)
	; wave barrier
	s_and_saveexec_b64 s[4:5], s[2:3]
	s_cbranch_execz .LBB85_145
; %bb.130:
	s_andn2_b64 vcc, exec, s[46:47]
	s_cbranch_vccnz .LBB85_132
; %bb.131:
	v_cmp_eq_u32_e32 vcc, 1, v0
	v_cndmask_b32_e32 v111, v34, v35, vcc
	v_cmp_eq_u32_e32 vcc, 2, v0
	v_cndmask_b32_e32 v111, v111, v36, vcc
	;; [unrolled: 2-line block ×17, first 2 shown]
	v_cmp_eq_u32_e32 vcc, 18, v0
	ds_read_b32 v112, v110
	v_cndmask_b32_e32 v111, v111, v52, vcc
	v_cmp_eq_u32_e32 vcc, 19, v0
	v_cndmask_b32_e32 v111, v111, v53, vcc
	v_cmp_eq_u32_e32 vcc, 20, v0
	;; [unrolled: 2-line block ×3, first 2 shown]
	v_cndmask_b32_e32 v111, v111, v55, vcc
	s_waitcnt lgkmcnt(0)
	v_mul_f32_e32 v111, v111, v112
	s_cbranch_execz .LBB85_133
	s_branch .LBB85_134
.LBB85_132:
                                        ; implicit-def: $vgpr111
.LBB85_133:
	ds_read_b32 v111, v110
.LBB85_134:
	s_and_saveexec_b64 s[6:7], s[0:1]
	s_cbranch_execz .LBB85_144
; %bb.135:
	v_add_u32_e32 v112, -13, v0
	v_add_u32_e32 v113, -12, v0
	v_cmp_lt_u32_e32 vcc, 6, v112
	v_mov_b32_e32 v112, 12
	s_and_saveexec_b64 s[0:1], vcc
	s_cbranch_execz .LBB85_139
; %bb.136:
	v_and_b32_e32 v112, -8, v113
	v_sub_u32_e32 v114, 0, v112
	s_mov_b64 s[8:9], 19
	s_movk_i32 s12, 0x90
	s_mov_b64 s[10:11], 0
.LBB85_137:                             ; =>This Inner Loop Header: Depth=1
	s_add_i32 s13, s8, -7
	v_mov_b32_e32 v112, s12
	s_add_i32 s14, s8, -6
	s_set_gpr_idx_on s13, gpr_idx(SRC0)
	v_mov_b32_e32 v123, v34
	s_set_gpr_idx_off
	s_add_i32 s15, s8, -5
	ds_read_b128 v[115:118], v112
	ds_read_b128 v[119:122], v112 offset:16
	s_set_gpr_idx_on s14, gpr_idx(SRC0)
	v_mov_b32_e32 v112, v34
	s_set_gpr_idx_off
	s_add_i32 s16, s8, -4
	s_set_gpr_idx_on s15, gpr_idx(SRC0)
	v_mov_b32_e32 v124, v34
	s_set_gpr_idx_off
	s_add_i32 s17, s8, -3
	;; [unrolled: 4-line block ×4, first 2 shown]
	s_waitcnt lgkmcnt(1)
	v_fmac_f32_e32 v111, v123, v115
	s_set_gpr_idx_on s18, gpr_idx(SRC0)
	v_mov_b32_e32 v115, v34
	s_set_gpr_idx_off
	v_fmac_f32_e32 v111, v112, v116
	s_set_gpr_idx_on s19, gpr_idx(SRC0)
	v_mov_b32_e32 v116, v34
	s_set_gpr_idx_off
	;; [unrolled: 4-line block ×3, first 2 shown]
	v_fmac_f32_e32 v111, v125, v118
	s_add_u32 s8, s8, 8
	s_waitcnt lgkmcnt(0)
	v_fmac_f32_e32 v111, v126, v119
	v_add_u32_e32 v112, s8, v114
	v_fmac_f32_e32 v111, v115, v120
	s_addc_u32 s9, s9, 0
	s_add_i32 s12, s12, 32
	s_add_i32 s13, s8, -7
	v_cmp_eq_u32_e32 vcc, 19, v112
	v_fmac_f32_e32 v111, v116, v121
	v_mov_b32_e32 v112, s13
	s_or_b64 s[10:11], vcc, s[10:11]
	v_fmac_f32_e32 v111, v117, v122
	s_andn2_b64 exec, exec, s[10:11]
	s_cbranch_execnz .LBB85_137
; %bb.138:
	s_or_b64 exec, exec, s[10:11]
.LBB85_139:
	s_or_b64 exec, exec, s[0:1]
	v_and_b32_e32 v56, 7, v113
	v_cmp_ne_u32_e32 vcc, 0, v56
	s_and_saveexec_b64 s[8:9], vcc
	s_cbranch_execz .LBB85_143
; %bb.140:
	v_mov_b32_e32 v57, 0x60
	v_lshl_add_u32 v57, v112, 2, v57
	v_mov_b32_e32 v58, 0
	s_mov_b64 s[10:11], 0
.LBB85_141:                             ; =>This Inner Loop Header: Depth=1
	v_cmp_eq_u32_e32 vcc, 1, v112
	v_cndmask_b32_e32 v59, v34, v35, vcc
	v_add_u32_e32 v56, -1, v56
	v_cmp_eq_u32_e32 vcc, 2, v112
	v_cndmask_b32_e32 v59, v59, v36, vcc
	v_cmp_eq_u32_e32 vcc, 0, v56
	v_cmp_eq_u32_e64 s[0:1], 3, v112
	v_cndmask_b32_e64 v59, v59, v37, s[0:1]
	s_or_b64 s[10:11], vcc, s[10:11]
	v_cmp_eq_u32_e32 vcc, 4, v112
	v_cndmask_b32_e32 v59, v59, v38, vcc
	v_cmp_eq_u32_e32 vcc, 5, v112
	v_cndmask_b32_e32 v59, v59, v39, vcc
	;; [unrolled: 2-line block ×13, first 2 shown]
	v_cmp_eq_u32_e32 vcc, 17, v112
	ds_read_b32 v60, v57
	v_cndmask_b32_e32 v59, v59, v51, vcc
	v_cmp_eq_u32_e32 vcc, 18, v112
	v_cndmask_b32_e32 v59, v59, v52, vcc
	v_cmp_eq_u32_e32 vcc, 19, v112
	;; [unrolled: 2-line block ×4, first 2 shown]
	v_add_co_u32_e64 v112, s[0:1], 1, v112
	v_cndmask_b32_e32 v59, v59, v55, vcc
	v_add_u32_e32 v57, 4, v57
	v_addc_co_u32_e64 v58, s[0:1], 0, v58, s[0:1]
	s_waitcnt lgkmcnt(0)
	v_fmac_f32_e32 v111, v59, v60
	s_andn2_b64 exec, exec, s[10:11]
	s_cbranch_execnz .LBB85_141
; %bb.142:
	s_or_b64 exec, exec, s[10:11]
.LBB85_143:
	s_or_b64 exec, exec, s[8:9]
.LBB85_144:
	s_or_b64 exec, exec, s[6:7]
	v_mov_b32_e32 v45, 0
	ds_read_b32 v45, v45 offset:44
	s_waitcnt lgkmcnt(0)
	v_mul_f32_e32 v45, v111, v45
.LBB85_145:
	s_or_b64 exec, exec, s[4:5]
	v_cmp_lt_u32_e64 s[0:1], 10, v0
	ds_write_b32 v110, v44
	s_waitcnt lgkmcnt(0)
	; wave barrier
	s_and_saveexec_b64 s[4:5], s[0:1]
	s_cbranch_execz .LBB85_161
; %bb.146:
	s_andn2_b64 vcc, exec, s[46:47]
	s_cbranch_vccnz .LBB85_148
; %bb.147:
	v_cmp_eq_u32_e32 vcc, 1, v0
	v_cndmask_b32_e32 v111, v34, v35, vcc
	v_cmp_eq_u32_e32 vcc, 2, v0
	v_cndmask_b32_e32 v111, v111, v36, vcc
	;; [unrolled: 2-line block ×17, first 2 shown]
	v_cmp_eq_u32_e32 vcc, 18, v0
	ds_read_b32 v112, v110
	v_cndmask_b32_e32 v111, v111, v52, vcc
	v_cmp_eq_u32_e32 vcc, 19, v0
	v_cndmask_b32_e32 v111, v111, v53, vcc
	v_cmp_eq_u32_e32 vcc, 20, v0
	;; [unrolled: 2-line block ×3, first 2 shown]
	v_cndmask_b32_e32 v111, v111, v55, vcc
	s_waitcnt lgkmcnt(0)
	v_mul_f32_e32 v111, v111, v112
	s_cbranch_execz .LBB85_149
	s_branch .LBB85_150
.LBB85_148:
                                        ; implicit-def: $vgpr111
.LBB85_149:
	ds_read_b32 v111, v110
.LBB85_150:
	s_and_saveexec_b64 s[6:7], s[2:3]
	s_cbranch_execz .LBB85_160
; %bb.151:
	v_add_u32_e32 v112, -12, v0
	v_add_u32_e32 v113, -11, v0
	v_cmp_lt_u32_e32 vcc, 6, v112
	v_mov_b32_e32 v112, 11
	s_and_saveexec_b64 s[2:3], vcc
	s_cbranch_execz .LBB85_155
; %bb.152:
	v_and_b32_e32 v112, -8, v113
	v_sub_u32_e32 v114, 0, v112
	s_mov_b64 s[8:9], 18
	s_movk_i32 s12, 0x8c
	s_mov_b64 s[10:11], 0
.LBB85_153:                             ; =>This Inner Loop Header: Depth=1
	s_add_i32 s13, s8, -7
	v_mov_b32_e32 v112, s12
	s_add_i32 s14, s8, -6
	s_set_gpr_idx_on s13, gpr_idx(SRC0)
	v_mov_b32_e32 v121, v34
	s_set_gpr_idx_off
	ds_read2_b32 v[115:116], v112 offset1:1
	s_add_i32 s15, s8, -5
	s_set_gpr_idx_on s14, gpr_idx(SRC0)
	v_mov_b32_e32 v122, v34
	s_set_gpr_idx_off
	s_add_i32 s16, s8, -4
	s_set_gpr_idx_on s15, gpr_idx(SRC0)
	v_mov_b32_e32 v123, v34
	s_set_gpr_idx_off
	ds_read2_b32 v[117:118], v112 offset0:2 offset1:3
	s_add_i32 s17, s8, -3
	s_set_gpr_idx_on s16, gpr_idx(SRC0)
	v_mov_b32_e32 v124, v34
	s_set_gpr_idx_off
	s_add_i32 s18, s8, -2
	s_set_gpr_idx_on s17, gpr_idx(SRC0)
	v_mov_b32_e32 v125, v34
	s_set_gpr_idx_off
	ds_read2_b32 v[119:120], v112 offset0:4 offset1:5
	s_add_i32 s19, s8, -1
	s_waitcnt lgkmcnt(2)
	v_fmac_f32_e32 v111, v121, v115
	s_set_gpr_idx_on s18, gpr_idx(SRC0)
	v_mov_b32_e32 v121, v34
	s_set_gpr_idx_off
	v_fmac_f32_e32 v111, v122, v116
	s_set_gpr_idx_on s19, gpr_idx(SRC0)
	v_mov_b32_e32 v122, v34
	s_set_gpr_idx_off
	ds_read2_b32 v[115:116], v112 offset0:6 offset1:7
	s_waitcnt lgkmcnt(2)
	v_fmac_f32_e32 v111, v123, v117
	s_set_gpr_idx_on s8, gpr_idx(SRC0)
	v_mov_b32_e32 v117, v34
	s_set_gpr_idx_off
	v_fmac_f32_e32 v111, v124, v118
	s_add_u32 s8, s8, 8
	s_waitcnt lgkmcnt(1)
	v_fmac_f32_e32 v111, v125, v119
	v_add_u32_e32 v112, s8, v114
	v_fmac_f32_e32 v111, v121, v120
	s_addc_u32 s9, s9, 0
	s_add_i32 s12, s12, 32
	s_add_i32 s13, s8, -7
	v_cmp_eq_u32_e32 vcc, 18, v112
	s_waitcnt lgkmcnt(0)
	v_fmac_f32_e32 v111, v122, v115
	v_mov_b32_e32 v112, s13
	s_or_b64 s[10:11], vcc, s[10:11]
	v_fmac_f32_e32 v111, v117, v116
	s_andn2_b64 exec, exec, s[10:11]
	s_cbranch_execnz .LBB85_153
; %bb.154:
	s_or_b64 exec, exec, s[10:11]
.LBB85_155:
	s_or_b64 exec, exec, s[2:3]
	v_and_b32_e32 v56, 7, v113
	v_cmp_ne_u32_e32 vcc, 0, v56
	s_and_saveexec_b64 s[8:9], vcc
	s_cbranch_execz .LBB85_159
; %bb.156:
	v_mov_b32_e32 v57, 0x60
	v_lshl_add_u32 v57, v112, 2, v57
	v_mov_b32_e32 v58, 0
	s_mov_b64 s[10:11], 0
.LBB85_157:                             ; =>This Inner Loop Header: Depth=1
	v_cmp_eq_u32_e32 vcc, 1, v112
	v_cndmask_b32_e32 v59, v34, v35, vcc
	v_add_u32_e32 v56, -1, v56
	v_cmp_eq_u32_e32 vcc, 2, v112
	v_cndmask_b32_e32 v59, v59, v36, vcc
	v_cmp_eq_u32_e32 vcc, 0, v56
	v_cmp_eq_u32_e64 s[2:3], 3, v112
	v_cndmask_b32_e64 v59, v59, v37, s[2:3]
	s_or_b64 s[10:11], vcc, s[10:11]
	v_cmp_eq_u32_e32 vcc, 4, v112
	v_cndmask_b32_e32 v59, v59, v38, vcc
	v_cmp_eq_u32_e32 vcc, 5, v112
	v_cndmask_b32_e32 v59, v59, v39, vcc
	;; [unrolled: 2-line block ×13, first 2 shown]
	v_cmp_eq_u32_e32 vcc, 17, v112
	ds_read_b32 v60, v57
	v_cndmask_b32_e32 v59, v59, v51, vcc
	v_cmp_eq_u32_e32 vcc, 18, v112
	v_cndmask_b32_e32 v59, v59, v52, vcc
	v_cmp_eq_u32_e32 vcc, 19, v112
	;; [unrolled: 2-line block ×4, first 2 shown]
	v_add_co_u32_e64 v112, s[2:3], 1, v112
	v_cndmask_b32_e32 v59, v59, v55, vcc
	v_add_u32_e32 v57, 4, v57
	v_addc_co_u32_e64 v58, s[2:3], 0, v58, s[2:3]
	s_waitcnt lgkmcnt(0)
	v_fmac_f32_e32 v111, v59, v60
	s_andn2_b64 exec, exec, s[10:11]
	s_cbranch_execnz .LBB85_157
; %bb.158:
	s_or_b64 exec, exec, s[10:11]
.LBB85_159:
	s_or_b64 exec, exec, s[8:9]
.LBB85_160:
	s_or_b64 exec, exec, s[6:7]
	v_mov_b32_e32 v44, 0
	ds_read_b32 v44, v44 offset:40
	s_waitcnt lgkmcnt(0)
	v_mul_f32_e32 v44, v111, v44
.LBB85_161:
	s_or_b64 exec, exec, s[4:5]
	v_cmp_lt_u32_e64 s[2:3], 9, v0
	ds_write_b32 v110, v43
	s_waitcnt lgkmcnt(0)
	; wave barrier
	s_and_saveexec_b64 s[4:5], s[2:3]
	s_cbranch_execz .LBB85_177
; %bb.162:
	s_andn2_b64 vcc, exec, s[46:47]
	s_cbranch_vccnz .LBB85_164
; %bb.163:
	v_cmp_eq_u32_e32 vcc, 1, v0
	v_cndmask_b32_e32 v111, v34, v35, vcc
	v_cmp_eq_u32_e32 vcc, 2, v0
	v_cndmask_b32_e32 v111, v111, v36, vcc
	;; [unrolled: 2-line block ×17, first 2 shown]
	v_cmp_eq_u32_e32 vcc, 18, v0
	ds_read_b32 v112, v110
	v_cndmask_b32_e32 v111, v111, v52, vcc
	v_cmp_eq_u32_e32 vcc, 19, v0
	v_cndmask_b32_e32 v111, v111, v53, vcc
	v_cmp_eq_u32_e32 vcc, 20, v0
	;; [unrolled: 2-line block ×3, first 2 shown]
	v_cndmask_b32_e32 v111, v111, v55, vcc
	s_waitcnt lgkmcnt(0)
	v_mul_f32_e32 v111, v111, v112
	s_cbranch_execz .LBB85_165
	s_branch .LBB85_166
.LBB85_164:
                                        ; implicit-def: $vgpr111
.LBB85_165:
	ds_read_b32 v111, v110
.LBB85_166:
	s_and_saveexec_b64 s[6:7], s[0:1]
	s_cbranch_execz .LBB85_176
; %bb.167:
	v_add_u32_e32 v112, -11, v0
	v_add_u32_e32 v113, -10, v0
	v_cmp_lt_u32_e32 vcc, 6, v112
	v_mov_b32_e32 v112, 10
	s_and_saveexec_b64 s[0:1], vcc
	s_cbranch_execz .LBB85_171
; %bb.168:
	v_and_b32_e32 v112, -8, v113
	v_sub_u32_e32 v114, 0, v112
	s_mov_b64 s[8:9], 17
	s_movk_i32 s12, 0x88
	s_mov_b64 s[10:11], 0
.LBB85_169:                             ; =>This Inner Loop Header: Depth=1
	s_add_i32 s13, s8, -7
	v_mov_b32_e32 v112, s12
	s_add_i32 s14, s8, -6
	s_set_gpr_idx_on s13, gpr_idx(SRC0)
	v_mov_b32_e32 v123, v34
	s_set_gpr_idx_off
	ds_read2_b64 v[115:118], v112 offset1:1
	s_add_i32 s15, s8, -5
	s_set_gpr_idx_on s14, gpr_idx(SRC0)
	v_mov_b32_e32 v124, v34
	s_set_gpr_idx_off
	s_add_i32 s16, s8, -4
	s_set_gpr_idx_on s15, gpr_idx(SRC0)
	v_mov_b32_e32 v125, v34
	s_set_gpr_idx_off
	;; [unrolled: 4-line block ×4, first 2 shown]
	ds_read2_b64 v[119:122], v112 offset0:2 offset1:3
	s_add_i32 s19, s8, -1
	s_waitcnt lgkmcnt(1)
	v_fmac_f32_e32 v111, v123, v115
	s_set_gpr_idx_on s18, gpr_idx(SRC0)
	v_mov_b32_e32 v115, v34
	s_set_gpr_idx_off
	v_fmac_f32_e32 v111, v124, v116
	s_set_gpr_idx_on s19, gpr_idx(SRC0)
	v_mov_b32_e32 v116, v34
	s_set_gpr_idx_off
	;; [unrolled: 4-line block ×3, first 2 shown]
	v_fmac_f32_e32 v111, v126, v118
	s_add_u32 s8, s8, 8
	s_waitcnt lgkmcnt(0)
	v_fmac_f32_e32 v111, v127, v119
	v_add_u32_e32 v112, s8, v114
	v_fmac_f32_e32 v111, v115, v120
	s_addc_u32 s9, s9, 0
	s_add_i32 s12, s12, 32
	s_add_i32 s13, s8, -7
	v_cmp_eq_u32_e32 vcc, 17, v112
	v_fmac_f32_e32 v111, v116, v121
	v_mov_b32_e32 v112, s13
	s_or_b64 s[10:11], vcc, s[10:11]
	v_fmac_f32_e32 v111, v117, v122
	s_andn2_b64 exec, exec, s[10:11]
	s_cbranch_execnz .LBB85_169
; %bb.170:
	s_or_b64 exec, exec, s[10:11]
.LBB85_171:
	s_or_b64 exec, exec, s[0:1]
	v_and_b32_e32 v56, 7, v113
	v_cmp_ne_u32_e32 vcc, 0, v56
	s_and_saveexec_b64 s[8:9], vcc
	s_cbranch_execz .LBB85_175
; %bb.172:
	v_mov_b32_e32 v57, 0x60
	v_lshl_add_u32 v57, v112, 2, v57
	v_mov_b32_e32 v58, 0
	s_mov_b64 s[10:11], 0
.LBB85_173:                             ; =>This Inner Loop Header: Depth=1
	v_cmp_eq_u32_e32 vcc, 1, v112
	v_cndmask_b32_e32 v59, v34, v35, vcc
	v_add_u32_e32 v56, -1, v56
	v_cmp_eq_u32_e32 vcc, 2, v112
	v_cndmask_b32_e32 v59, v59, v36, vcc
	v_cmp_eq_u32_e32 vcc, 0, v56
	v_cmp_eq_u32_e64 s[0:1], 3, v112
	v_cndmask_b32_e64 v59, v59, v37, s[0:1]
	s_or_b64 s[10:11], vcc, s[10:11]
	v_cmp_eq_u32_e32 vcc, 4, v112
	v_cndmask_b32_e32 v59, v59, v38, vcc
	v_cmp_eq_u32_e32 vcc, 5, v112
	v_cndmask_b32_e32 v59, v59, v39, vcc
	;; [unrolled: 2-line block ×13, first 2 shown]
	v_cmp_eq_u32_e32 vcc, 17, v112
	ds_read_b32 v60, v57
	v_cndmask_b32_e32 v59, v59, v51, vcc
	v_cmp_eq_u32_e32 vcc, 18, v112
	v_cndmask_b32_e32 v59, v59, v52, vcc
	v_cmp_eq_u32_e32 vcc, 19, v112
	;; [unrolled: 2-line block ×4, first 2 shown]
	v_add_co_u32_e64 v112, s[0:1], 1, v112
	v_cndmask_b32_e32 v59, v59, v55, vcc
	v_add_u32_e32 v57, 4, v57
	v_addc_co_u32_e64 v58, s[0:1], 0, v58, s[0:1]
	s_waitcnt lgkmcnt(0)
	v_fmac_f32_e32 v111, v59, v60
	s_andn2_b64 exec, exec, s[10:11]
	s_cbranch_execnz .LBB85_173
; %bb.174:
	s_or_b64 exec, exec, s[10:11]
.LBB85_175:
	s_or_b64 exec, exec, s[8:9]
.LBB85_176:
	s_or_b64 exec, exec, s[6:7]
	v_mov_b32_e32 v43, 0
	ds_read_b32 v43, v43 offset:36
	s_waitcnt lgkmcnt(0)
	v_mul_f32_e32 v43, v111, v43
.LBB85_177:
	s_or_b64 exec, exec, s[4:5]
	v_cmp_lt_u32_e64 s[0:1], 8, v0
	ds_write_b32 v110, v42
	s_waitcnt lgkmcnt(0)
	; wave barrier
	s_and_saveexec_b64 s[4:5], s[0:1]
	s_cbranch_execz .LBB85_193
; %bb.178:
	s_andn2_b64 vcc, exec, s[46:47]
	s_cbranch_vccnz .LBB85_180
; %bb.179:
	v_cmp_eq_u32_e32 vcc, 1, v0
	v_cndmask_b32_e32 v111, v34, v35, vcc
	v_cmp_eq_u32_e32 vcc, 2, v0
	v_cndmask_b32_e32 v111, v111, v36, vcc
	;; [unrolled: 2-line block ×17, first 2 shown]
	v_cmp_eq_u32_e32 vcc, 18, v0
	ds_read_b32 v112, v110
	v_cndmask_b32_e32 v111, v111, v52, vcc
	v_cmp_eq_u32_e32 vcc, 19, v0
	v_cndmask_b32_e32 v111, v111, v53, vcc
	v_cmp_eq_u32_e32 vcc, 20, v0
	v_cndmask_b32_e32 v111, v111, v54, vcc
	v_cmp_eq_u32_e32 vcc, 21, v0
	v_cndmask_b32_e32 v111, v111, v55, vcc
	s_waitcnt lgkmcnt(0)
	v_mul_f32_e32 v111, v111, v112
	s_cbranch_execz .LBB85_181
	s_branch .LBB85_182
.LBB85_180:
                                        ; implicit-def: $vgpr111
.LBB85_181:
	ds_read_b32 v111, v110
.LBB85_182:
	s_and_saveexec_b64 s[6:7], s[2:3]
	s_cbranch_execz .LBB85_192
; %bb.183:
	v_add_u32_e32 v112, -10, v0
	v_add_u32_e32 v113, -9, v0
	v_cmp_lt_u32_e32 vcc, 6, v112
	v_mov_b32_e32 v112, 9
	s_and_saveexec_b64 s[2:3], vcc
	s_cbranch_execz .LBB85_187
; %bb.184:
	v_and_b32_e32 v112, -8, v113
	v_sub_u32_e32 v114, 0, v112
	s_mov_b64 s[8:9], 16
	s_movk_i32 s12, 0x84
	s_mov_b64 s[10:11], 0
.LBB85_185:                             ; =>This Inner Loop Header: Depth=1
	s_add_i32 s13, s8, -7
	v_mov_b32_e32 v112, s12
	s_add_i32 s14, s8, -6
	s_set_gpr_idx_on s13, gpr_idx(SRC0)
	v_mov_b32_e32 v121, v34
	s_set_gpr_idx_off
	ds_read2_b32 v[115:116], v112 offset1:1
	s_add_i32 s15, s8, -5
	s_set_gpr_idx_on s14, gpr_idx(SRC0)
	v_mov_b32_e32 v122, v34
	s_set_gpr_idx_off
	s_add_i32 s16, s8, -4
	s_set_gpr_idx_on s15, gpr_idx(SRC0)
	v_mov_b32_e32 v123, v34
	s_set_gpr_idx_off
	ds_read2_b32 v[117:118], v112 offset0:2 offset1:3
	s_add_i32 s17, s8, -3
	s_set_gpr_idx_on s16, gpr_idx(SRC0)
	v_mov_b32_e32 v124, v34
	s_set_gpr_idx_off
	s_add_i32 s18, s8, -2
	s_set_gpr_idx_on s17, gpr_idx(SRC0)
	v_mov_b32_e32 v125, v34
	s_set_gpr_idx_off
	ds_read2_b32 v[119:120], v112 offset0:4 offset1:5
	s_add_i32 s19, s8, -1
	s_waitcnt lgkmcnt(2)
	v_fmac_f32_e32 v111, v121, v115
	s_set_gpr_idx_on s18, gpr_idx(SRC0)
	v_mov_b32_e32 v121, v34
	s_set_gpr_idx_off
	v_fmac_f32_e32 v111, v122, v116
	s_set_gpr_idx_on s19, gpr_idx(SRC0)
	v_mov_b32_e32 v122, v34
	s_set_gpr_idx_off
	ds_read2_b32 v[115:116], v112 offset0:6 offset1:7
	s_waitcnt lgkmcnt(2)
	v_fmac_f32_e32 v111, v123, v117
	s_set_gpr_idx_on s8, gpr_idx(SRC0)
	v_mov_b32_e32 v117, v34
	s_set_gpr_idx_off
	v_fmac_f32_e32 v111, v124, v118
	s_add_u32 s8, s8, 8
	s_waitcnt lgkmcnt(1)
	v_fmac_f32_e32 v111, v125, v119
	v_add_u32_e32 v112, s8, v114
	v_fmac_f32_e32 v111, v121, v120
	s_addc_u32 s9, s9, 0
	s_add_i32 s12, s12, 32
	s_add_i32 s13, s8, -7
	v_cmp_eq_u32_e32 vcc, 16, v112
	s_waitcnt lgkmcnt(0)
	v_fmac_f32_e32 v111, v122, v115
	v_mov_b32_e32 v112, s13
	s_or_b64 s[10:11], vcc, s[10:11]
	v_fmac_f32_e32 v111, v117, v116
	s_andn2_b64 exec, exec, s[10:11]
	s_cbranch_execnz .LBB85_185
; %bb.186:
	s_or_b64 exec, exec, s[10:11]
.LBB85_187:
	s_or_b64 exec, exec, s[2:3]
	v_and_b32_e32 v56, 7, v113
	v_cmp_ne_u32_e32 vcc, 0, v56
	s_and_saveexec_b64 s[8:9], vcc
	s_cbranch_execz .LBB85_191
; %bb.188:
	v_mov_b32_e32 v57, 0x60
	v_lshl_add_u32 v57, v112, 2, v57
	v_mov_b32_e32 v58, 0
	s_mov_b64 s[10:11], 0
.LBB85_189:                             ; =>This Inner Loop Header: Depth=1
	v_cmp_eq_u32_e32 vcc, 1, v112
	v_cndmask_b32_e32 v59, v34, v35, vcc
	v_add_u32_e32 v56, -1, v56
	v_cmp_eq_u32_e32 vcc, 2, v112
	v_cndmask_b32_e32 v59, v59, v36, vcc
	v_cmp_eq_u32_e32 vcc, 0, v56
	v_cmp_eq_u32_e64 s[2:3], 3, v112
	v_cndmask_b32_e64 v59, v59, v37, s[2:3]
	s_or_b64 s[10:11], vcc, s[10:11]
	v_cmp_eq_u32_e32 vcc, 4, v112
	v_cndmask_b32_e32 v59, v59, v38, vcc
	v_cmp_eq_u32_e32 vcc, 5, v112
	v_cndmask_b32_e32 v59, v59, v39, vcc
	;; [unrolled: 2-line block ×13, first 2 shown]
	v_cmp_eq_u32_e32 vcc, 17, v112
	ds_read_b32 v60, v57
	v_cndmask_b32_e32 v59, v59, v51, vcc
	v_cmp_eq_u32_e32 vcc, 18, v112
	v_cndmask_b32_e32 v59, v59, v52, vcc
	v_cmp_eq_u32_e32 vcc, 19, v112
	;; [unrolled: 2-line block ×4, first 2 shown]
	v_add_co_u32_e64 v112, s[2:3], 1, v112
	v_cndmask_b32_e32 v59, v59, v55, vcc
	v_add_u32_e32 v57, 4, v57
	v_addc_co_u32_e64 v58, s[2:3], 0, v58, s[2:3]
	s_waitcnt lgkmcnt(0)
	v_fmac_f32_e32 v111, v59, v60
	s_andn2_b64 exec, exec, s[10:11]
	s_cbranch_execnz .LBB85_189
; %bb.190:
	s_or_b64 exec, exec, s[10:11]
.LBB85_191:
	s_or_b64 exec, exec, s[8:9]
.LBB85_192:
	s_or_b64 exec, exec, s[6:7]
	v_mov_b32_e32 v42, 0
	ds_read_b32 v42, v42 offset:32
	s_waitcnt lgkmcnt(0)
	v_mul_f32_e32 v42, v111, v42
.LBB85_193:
	s_or_b64 exec, exec, s[4:5]
	v_cmp_lt_u32_e64 s[2:3], 7, v0
	ds_write_b32 v110, v41
	s_waitcnt lgkmcnt(0)
	; wave barrier
	s_and_saveexec_b64 s[4:5], s[2:3]
	s_cbranch_execz .LBB85_209
; %bb.194:
	s_andn2_b64 vcc, exec, s[46:47]
	s_cbranch_vccnz .LBB85_196
; %bb.195:
	v_cmp_eq_u32_e32 vcc, 1, v0
	v_cndmask_b32_e32 v111, v34, v35, vcc
	v_cmp_eq_u32_e32 vcc, 2, v0
	v_cndmask_b32_e32 v111, v111, v36, vcc
	;; [unrolled: 2-line block ×17, first 2 shown]
	v_cmp_eq_u32_e32 vcc, 18, v0
	ds_read_b32 v112, v110
	v_cndmask_b32_e32 v111, v111, v52, vcc
	v_cmp_eq_u32_e32 vcc, 19, v0
	v_cndmask_b32_e32 v111, v111, v53, vcc
	v_cmp_eq_u32_e32 vcc, 20, v0
	;; [unrolled: 2-line block ×3, first 2 shown]
	v_cndmask_b32_e32 v111, v111, v55, vcc
	s_waitcnt lgkmcnt(0)
	v_mul_f32_e32 v111, v111, v112
	s_cbranch_execz .LBB85_197
	s_branch .LBB85_198
.LBB85_196:
                                        ; implicit-def: $vgpr111
.LBB85_197:
	ds_read_b32 v111, v110
.LBB85_198:
	s_and_saveexec_b64 s[6:7], s[0:1]
	s_cbranch_execz .LBB85_208
; %bb.199:
	v_add_u32_e32 v112, -9, v0
	v_cmp_lt_u32_e32 vcc, 6, v112
	v_mov_b32_e32 v112, 8
	s_and_saveexec_b64 s[0:1], vcc
	s_cbranch_execz .LBB85_203
; %bb.200:
	v_and_b32_e32 v112, 24, v0
	v_sub_u32_e32 v113, 0, v112
	s_mov_b64 s[8:9], 15
	s_movk_i32 s12, 0x80
	s_mov_b64 s[10:11], 0
.LBB85_201:                             ; =>This Inner Loop Header: Depth=1
	s_add_i32 s13, s8, -7
	v_mov_b32_e32 v112, s12
	s_add_i32 s14, s8, -6
	s_set_gpr_idx_on s13, gpr_idx(SRC0)
	v_mov_b32_e32 v122, v34
	s_set_gpr_idx_off
	s_add_i32 s15, s8, -5
	ds_read_b128 v[114:117], v112
	ds_read_b128 v[118:121], v112 offset:16
	s_set_gpr_idx_on s14, gpr_idx(SRC0)
	v_mov_b32_e32 v112, v34
	s_set_gpr_idx_off
	s_add_i32 s16, s8, -4
	s_set_gpr_idx_on s15, gpr_idx(SRC0)
	v_mov_b32_e32 v123, v34
	s_set_gpr_idx_off
	s_add_i32 s17, s8, -3
	;; [unrolled: 4-line block ×4, first 2 shown]
	s_waitcnt lgkmcnt(1)
	v_fmac_f32_e32 v111, v122, v114
	s_set_gpr_idx_on s18, gpr_idx(SRC0)
	v_mov_b32_e32 v114, v34
	s_set_gpr_idx_off
	v_fmac_f32_e32 v111, v112, v115
	s_set_gpr_idx_on s19, gpr_idx(SRC0)
	v_mov_b32_e32 v115, v34
	s_set_gpr_idx_off
	;; [unrolled: 4-line block ×3, first 2 shown]
	v_fmac_f32_e32 v111, v124, v117
	s_add_u32 s8, s8, 8
	s_waitcnt lgkmcnt(0)
	v_fmac_f32_e32 v111, v125, v118
	v_add_u32_e32 v112, s8, v113
	v_fmac_f32_e32 v111, v114, v119
	s_addc_u32 s9, s9, 0
	s_add_i32 s12, s12, 32
	s_add_i32 s13, s8, -7
	v_cmp_eq_u32_e32 vcc, 7, v112
	v_fmac_f32_e32 v111, v115, v120
	v_mov_b32_e32 v112, s13
	s_or_b64 s[10:11], vcc, s[10:11]
	v_fmac_f32_e32 v111, v116, v121
	s_andn2_b64 exec, exec, s[10:11]
	s_cbranch_execnz .LBB85_201
; %bb.202:
	s_or_b64 exec, exec, s[10:11]
.LBB85_203:
	s_or_b64 exec, exec, s[0:1]
	v_and_b32_e32 v56, 7, v0
	v_cmp_ne_u32_e32 vcc, 0, v56
	s_and_saveexec_b64 s[8:9], vcc
	s_cbranch_execz .LBB85_207
; %bb.204:
	v_mov_b32_e32 v57, 0x60
	v_lshl_add_u32 v57, v112, 2, v57
	v_mov_b32_e32 v58, 0
	s_mov_b64 s[10:11], 0
.LBB85_205:                             ; =>This Inner Loop Header: Depth=1
	v_cmp_eq_u32_e32 vcc, 1, v112
	v_cndmask_b32_e32 v59, v34, v35, vcc
	v_add_u32_e32 v56, -1, v56
	v_cmp_eq_u32_e32 vcc, 2, v112
	v_cndmask_b32_e32 v59, v59, v36, vcc
	v_cmp_eq_u32_e32 vcc, 0, v56
	v_cmp_eq_u32_e64 s[0:1], 3, v112
	v_cndmask_b32_e64 v59, v59, v37, s[0:1]
	s_or_b64 s[10:11], vcc, s[10:11]
	v_cmp_eq_u32_e32 vcc, 4, v112
	v_cndmask_b32_e32 v59, v59, v38, vcc
	v_cmp_eq_u32_e32 vcc, 5, v112
	v_cndmask_b32_e32 v59, v59, v39, vcc
	;; [unrolled: 2-line block ×13, first 2 shown]
	v_cmp_eq_u32_e32 vcc, 17, v112
	ds_read_b32 v60, v57
	v_cndmask_b32_e32 v59, v59, v51, vcc
	v_cmp_eq_u32_e32 vcc, 18, v112
	v_cndmask_b32_e32 v59, v59, v52, vcc
	v_cmp_eq_u32_e32 vcc, 19, v112
	;; [unrolled: 2-line block ×4, first 2 shown]
	v_add_co_u32_e64 v112, s[0:1], 1, v112
	v_cndmask_b32_e32 v59, v59, v55, vcc
	v_add_u32_e32 v57, 4, v57
	v_addc_co_u32_e64 v58, s[0:1], 0, v58, s[0:1]
	s_waitcnt lgkmcnt(0)
	v_fmac_f32_e32 v111, v59, v60
	s_andn2_b64 exec, exec, s[10:11]
	s_cbranch_execnz .LBB85_205
; %bb.206:
	s_or_b64 exec, exec, s[10:11]
.LBB85_207:
	s_or_b64 exec, exec, s[8:9]
.LBB85_208:
	s_or_b64 exec, exec, s[6:7]
	v_mov_b32_e32 v41, 0
	ds_read_b32 v41, v41 offset:28
	s_waitcnt lgkmcnt(0)
	v_mul_f32_e32 v41, v111, v41
.LBB85_209:
	s_or_b64 exec, exec, s[4:5]
	v_cmp_lt_u32_e64 s[0:1], 6, v0
	ds_write_b32 v110, v40
	s_waitcnt lgkmcnt(0)
	; wave barrier
	s_and_saveexec_b64 s[4:5], s[0:1]
	s_cbranch_execz .LBB85_225
; %bb.210:
	s_andn2_b64 vcc, exec, s[46:47]
	s_cbranch_vccnz .LBB85_212
; %bb.211:
	v_cmp_eq_u32_e32 vcc, 1, v0
	v_cndmask_b32_e32 v111, v34, v35, vcc
	v_cmp_eq_u32_e32 vcc, 2, v0
	v_cndmask_b32_e32 v111, v111, v36, vcc
	;; [unrolled: 2-line block ×17, first 2 shown]
	v_cmp_eq_u32_e32 vcc, 18, v0
	ds_read_b32 v112, v110
	v_cndmask_b32_e32 v111, v111, v52, vcc
	v_cmp_eq_u32_e32 vcc, 19, v0
	v_cndmask_b32_e32 v111, v111, v53, vcc
	v_cmp_eq_u32_e32 vcc, 20, v0
	;; [unrolled: 2-line block ×3, first 2 shown]
	v_cndmask_b32_e32 v111, v111, v55, vcc
	s_waitcnt lgkmcnt(0)
	v_mul_f32_e32 v111, v111, v112
	s_cbranch_execz .LBB85_213
	s_branch .LBB85_214
.LBB85_212:
                                        ; implicit-def: $vgpr111
.LBB85_213:
	ds_read_b32 v111, v110
.LBB85_214:
	s_and_saveexec_b64 s[6:7], s[2:3]
	s_cbranch_execz .LBB85_224
; %bb.215:
	v_add_u32_e32 v112, -8, v0
	v_add_u32_e32 v113, -7, v0
	v_cmp_lt_u32_e32 vcc, 6, v112
	v_mov_b32_e32 v112, 7
	s_and_saveexec_b64 s[2:3], vcc
	s_cbranch_execz .LBB85_219
; %bb.216:
	v_and_b32_e32 v112, -8, v113
	v_sub_u32_e32 v114, 0, v112
	s_mov_b64 s[8:9], 14
	s_movk_i32 s12, 0x7c
	s_mov_b64 s[10:11], 0
.LBB85_217:                             ; =>This Inner Loop Header: Depth=1
	s_add_i32 s13, s8, -7
	v_mov_b32_e32 v112, s12
	s_add_i32 s14, s8, -6
	s_set_gpr_idx_on s13, gpr_idx(SRC0)
	v_mov_b32_e32 v121, v34
	s_set_gpr_idx_off
	ds_read2_b32 v[115:116], v112 offset1:1
	s_add_i32 s15, s8, -5
	s_set_gpr_idx_on s14, gpr_idx(SRC0)
	v_mov_b32_e32 v122, v34
	s_set_gpr_idx_off
	s_add_i32 s16, s8, -4
	s_set_gpr_idx_on s15, gpr_idx(SRC0)
	v_mov_b32_e32 v123, v34
	s_set_gpr_idx_off
	ds_read2_b32 v[117:118], v112 offset0:2 offset1:3
	s_add_i32 s17, s8, -3
	s_set_gpr_idx_on s16, gpr_idx(SRC0)
	v_mov_b32_e32 v124, v34
	s_set_gpr_idx_off
	s_add_i32 s18, s8, -2
	s_set_gpr_idx_on s17, gpr_idx(SRC0)
	v_mov_b32_e32 v125, v34
	s_set_gpr_idx_off
	ds_read2_b32 v[119:120], v112 offset0:4 offset1:5
	s_add_i32 s19, s8, -1
	s_waitcnt lgkmcnt(2)
	v_fmac_f32_e32 v111, v121, v115
	s_set_gpr_idx_on s18, gpr_idx(SRC0)
	v_mov_b32_e32 v121, v34
	s_set_gpr_idx_off
	v_fmac_f32_e32 v111, v122, v116
	s_set_gpr_idx_on s19, gpr_idx(SRC0)
	v_mov_b32_e32 v122, v34
	s_set_gpr_idx_off
	ds_read2_b32 v[115:116], v112 offset0:6 offset1:7
	s_waitcnt lgkmcnt(2)
	v_fmac_f32_e32 v111, v123, v117
	s_set_gpr_idx_on s8, gpr_idx(SRC0)
	v_mov_b32_e32 v117, v34
	s_set_gpr_idx_off
	v_fmac_f32_e32 v111, v124, v118
	s_add_u32 s8, s8, 8
	s_waitcnt lgkmcnt(1)
	v_fmac_f32_e32 v111, v125, v119
	v_add_u32_e32 v112, s8, v114
	v_fmac_f32_e32 v111, v121, v120
	s_addc_u32 s9, s9, 0
	s_add_i32 s12, s12, 32
	s_add_i32 s13, s8, -7
	v_cmp_eq_u32_e32 vcc, 14, v112
	s_waitcnt lgkmcnt(0)
	v_fmac_f32_e32 v111, v122, v115
	v_mov_b32_e32 v112, s13
	s_or_b64 s[10:11], vcc, s[10:11]
	v_fmac_f32_e32 v111, v117, v116
	s_andn2_b64 exec, exec, s[10:11]
	s_cbranch_execnz .LBB85_217
; %bb.218:
	s_or_b64 exec, exec, s[10:11]
.LBB85_219:
	s_or_b64 exec, exec, s[2:3]
	v_and_b32_e32 v56, 7, v113
	v_cmp_ne_u32_e32 vcc, 0, v56
	s_and_saveexec_b64 s[8:9], vcc
	s_cbranch_execz .LBB85_223
; %bb.220:
	v_mov_b32_e32 v57, 0x60
	v_lshl_add_u32 v57, v112, 2, v57
	v_mov_b32_e32 v58, 0
	s_mov_b64 s[10:11], 0
.LBB85_221:                             ; =>This Inner Loop Header: Depth=1
	v_cmp_eq_u32_e32 vcc, 1, v112
	v_cndmask_b32_e32 v59, v34, v35, vcc
	v_add_u32_e32 v56, -1, v56
	v_cmp_eq_u32_e32 vcc, 2, v112
	v_cndmask_b32_e32 v59, v59, v36, vcc
	v_cmp_eq_u32_e32 vcc, 0, v56
	v_cmp_eq_u32_e64 s[2:3], 3, v112
	v_cndmask_b32_e64 v59, v59, v37, s[2:3]
	s_or_b64 s[10:11], vcc, s[10:11]
	v_cmp_eq_u32_e32 vcc, 4, v112
	v_cndmask_b32_e32 v59, v59, v38, vcc
	v_cmp_eq_u32_e32 vcc, 5, v112
	v_cndmask_b32_e32 v59, v59, v39, vcc
	;; [unrolled: 2-line block ×13, first 2 shown]
	v_cmp_eq_u32_e32 vcc, 17, v112
	ds_read_b32 v60, v57
	v_cndmask_b32_e32 v59, v59, v51, vcc
	v_cmp_eq_u32_e32 vcc, 18, v112
	v_cndmask_b32_e32 v59, v59, v52, vcc
	v_cmp_eq_u32_e32 vcc, 19, v112
	;; [unrolled: 2-line block ×4, first 2 shown]
	v_add_co_u32_e64 v112, s[2:3], 1, v112
	v_cndmask_b32_e32 v59, v59, v55, vcc
	v_add_u32_e32 v57, 4, v57
	v_addc_co_u32_e64 v58, s[2:3], 0, v58, s[2:3]
	s_waitcnt lgkmcnt(0)
	v_fmac_f32_e32 v111, v59, v60
	s_andn2_b64 exec, exec, s[10:11]
	s_cbranch_execnz .LBB85_221
; %bb.222:
	s_or_b64 exec, exec, s[10:11]
.LBB85_223:
	s_or_b64 exec, exec, s[8:9]
.LBB85_224:
	s_or_b64 exec, exec, s[6:7]
	v_mov_b32_e32 v40, 0
	ds_read_b32 v40, v40 offset:24
	s_waitcnt lgkmcnt(0)
	v_mul_f32_e32 v40, v111, v40
.LBB85_225:
	s_or_b64 exec, exec, s[4:5]
	v_cmp_lt_u32_e64 s[2:3], 5, v0
	ds_write_b32 v110, v39
	s_waitcnt lgkmcnt(0)
	; wave barrier
	s_and_saveexec_b64 s[4:5], s[2:3]
	s_cbranch_execz .LBB85_241
; %bb.226:
	s_andn2_b64 vcc, exec, s[46:47]
	s_cbranch_vccnz .LBB85_228
; %bb.227:
	v_cmp_eq_u32_e32 vcc, 1, v0
	v_cndmask_b32_e32 v111, v34, v35, vcc
	v_cmp_eq_u32_e32 vcc, 2, v0
	v_cndmask_b32_e32 v111, v111, v36, vcc
	;; [unrolled: 2-line block ×17, first 2 shown]
	v_cmp_eq_u32_e32 vcc, 18, v0
	ds_read_b32 v112, v110
	v_cndmask_b32_e32 v111, v111, v52, vcc
	v_cmp_eq_u32_e32 vcc, 19, v0
	v_cndmask_b32_e32 v111, v111, v53, vcc
	v_cmp_eq_u32_e32 vcc, 20, v0
	;; [unrolled: 2-line block ×3, first 2 shown]
	v_cndmask_b32_e32 v111, v111, v55, vcc
	s_waitcnt lgkmcnt(0)
	v_mul_f32_e32 v111, v111, v112
	s_cbranch_execz .LBB85_229
	s_branch .LBB85_230
.LBB85_228:
                                        ; implicit-def: $vgpr111
.LBB85_229:
	ds_read_b32 v111, v110
.LBB85_230:
	s_and_saveexec_b64 s[6:7], s[0:1]
	s_cbranch_execz .LBB85_240
; %bb.231:
	v_add_u32_e32 v114, -7, v0
	v_add_u32_e32 v113, -6, v0
	v_mov_b32_e32 v112, 6
	v_cmp_lt_u32_e32 vcc, 6, v114
	s_and_saveexec_b64 s[0:1], vcc
	s_cbranch_execz .LBB85_235
; %bb.232:
	v_and_b32_e32 v112, -8, v113
	v_sub_u32_e32 v114, 0, v112
	s_mov_b64 s[8:9], 13
	s_movk_i32 s12, 0x78
	s_mov_b64 s[10:11], 0
.LBB85_233:                             ; =>This Inner Loop Header: Depth=1
	s_add_i32 s13, s8, -7
	v_mov_b32_e32 v112, s12
	s_add_i32 s14, s8, -6
	s_set_gpr_idx_on s13, gpr_idx(SRC0)
	v_mov_b32_e32 v123, v34
	s_set_gpr_idx_off
	ds_read2_b64 v[115:118], v112 offset1:1
	s_add_i32 s15, s8, -5
	s_set_gpr_idx_on s14, gpr_idx(SRC0)
	v_mov_b32_e32 v124, v34
	s_set_gpr_idx_off
	s_add_i32 s16, s8, -4
	s_set_gpr_idx_on s15, gpr_idx(SRC0)
	v_mov_b32_e32 v125, v34
	s_set_gpr_idx_off
	;; [unrolled: 4-line block ×4, first 2 shown]
	ds_read2_b64 v[119:122], v112 offset0:2 offset1:3
	s_add_i32 s19, s8, -1
	s_waitcnt lgkmcnt(1)
	v_fmac_f32_e32 v111, v123, v115
	s_set_gpr_idx_on s18, gpr_idx(SRC0)
	v_mov_b32_e32 v115, v34
	s_set_gpr_idx_off
	v_fmac_f32_e32 v111, v124, v116
	s_set_gpr_idx_on s19, gpr_idx(SRC0)
	v_mov_b32_e32 v116, v34
	s_set_gpr_idx_off
	;; [unrolled: 4-line block ×3, first 2 shown]
	v_fmac_f32_e32 v111, v126, v118
	s_add_u32 s8, s8, 8
	s_waitcnt lgkmcnt(0)
	v_fmac_f32_e32 v111, v127, v119
	v_add_u32_e32 v112, s8, v114
	v_fmac_f32_e32 v111, v115, v120
	s_addc_u32 s9, s9, 0
	s_add_i32 s12, s12, 32
	s_add_i32 s13, s8, -7
	v_cmp_eq_u32_e32 vcc, 13, v112
	v_fmac_f32_e32 v111, v116, v121
	v_mov_b32_e32 v112, s13
	s_or_b64 s[10:11], vcc, s[10:11]
	v_fmac_f32_e32 v111, v117, v122
	s_andn2_b64 exec, exec, s[10:11]
	s_cbranch_execnz .LBB85_233
; %bb.234:
	s_or_b64 exec, exec, s[10:11]
.LBB85_235:
	s_or_b64 exec, exec, s[0:1]
	v_and_b32_e32 v56, 7, v113
	v_cmp_ne_u32_e32 vcc, 0, v56
	s_and_saveexec_b64 s[8:9], vcc
	s_cbranch_execz .LBB85_239
; %bb.236:
	v_mov_b32_e32 v57, 0x60
	v_lshl_add_u32 v57, v112, 2, v57
	v_mov_b32_e32 v58, 0
	s_mov_b64 s[10:11], 0
.LBB85_237:                             ; =>This Inner Loop Header: Depth=1
	v_cmp_eq_u32_e32 vcc, 1, v112
	v_cndmask_b32_e32 v59, v34, v35, vcc
	v_add_u32_e32 v56, -1, v56
	v_cmp_eq_u32_e32 vcc, 2, v112
	v_cndmask_b32_e32 v59, v59, v36, vcc
	v_cmp_eq_u32_e32 vcc, 0, v56
	v_cmp_eq_u32_e64 s[0:1], 3, v112
	v_cndmask_b32_e64 v59, v59, v37, s[0:1]
	s_or_b64 s[10:11], vcc, s[10:11]
	v_cmp_eq_u32_e32 vcc, 4, v112
	v_cndmask_b32_e32 v59, v59, v38, vcc
	v_cmp_eq_u32_e32 vcc, 5, v112
	v_cndmask_b32_e32 v59, v59, v39, vcc
	;; [unrolled: 2-line block ×13, first 2 shown]
	v_cmp_eq_u32_e32 vcc, 17, v112
	ds_read_b32 v60, v57
	v_cndmask_b32_e32 v59, v59, v51, vcc
	v_cmp_eq_u32_e32 vcc, 18, v112
	v_cndmask_b32_e32 v59, v59, v52, vcc
	v_cmp_eq_u32_e32 vcc, 19, v112
	v_cndmask_b32_e32 v59, v59, v53, vcc
	v_cmp_eq_u32_e32 vcc, 20, v112
	v_cndmask_b32_e32 v59, v59, v54, vcc
	v_cmp_eq_u32_e32 vcc, 21, v112
	v_add_co_u32_e64 v112, s[0:1], 1, v112
	v_cndmask_b32_e32 v59, v59, v55, vcc
	v_add_u32_e32 v57, 4, v57
	v_addc_co_u32_e64 v58, s[0:1], 0, v58, s[0:1]
	s_waitcnt lgkmcnt(0)
	v_fmac_f32_e32 v111, v59, v60
	s_andn2_b64 exec, exec, s[10:11]
	s_cbranch_execnz .LBB85_237
; %bb.238:
	s_or_b64 exec, exec, s[10:11]
.LBB85_239:
	s_or_b64 exec, exec, s[8:9]
.LBB85_240:
	s_or_b64 exec, exec, s[6:7]
	v_mov_b32_e32 v39, 0
	ds_read_b32 v39, v39 offset:20
	s_waitcnt lgkmcnt(0)
	v_mul_f32_e32 v39, v111, v39
.LBB85_241:
	s_or_b64 exec, exec, s[4:5]
	v_cmp_lt_u32_e64 s[0:1], 4, v0
	ds_write_b32 v110, v38
	s_waitcnt lgkmcnt(0)
	; wave barrier
	s_and_saveexec_b64 s[4:5], s[0:1]
	s_cbranch_execz .LBB85_257
; %bb.242:
	s_andn2_b64 vcc, exec, s[46:47]
	s_cbranch_vccnz .LBB85_244
; %bb.243:
	v_cmp_eq_u32_e32 vcc, 1, v0
	v_cndmask_b32_e32 v111, v34, v35, vcc
	v_cmp_eq_u32_e32 vcc, 2, v0
	v_cndmask_b32_e32 v111, v111, v36, vcc
	;; [unrolled: 2-line block ×17, first 2 shown]
	v_cmp_eq_u32_e32 vcc, 18, v0
	ds_read_b32 v112, v110
	v_cndmask_b32_e32 v111, v111, v52, vcc
	v_cmp_eq_u32_e32 vcc, 19, v0
	v_cndmask_b32_e32 v111, v111, v53, vcc
	v_cmp_eq_u32_e32 vcc, 20, v0
	;; [unrolled: 2-line block ×3, first 2 shown]
	v_cndmask_b32_e32 v111, v111, v55, vcc
	s_waitcnt lgkmcnt(0)
	v_mul_f32_e32 v111, v111, v112
	s_cbranch_execz .LBB85_245
	s_branch .LBB85_246
.LBB85_244:
                                        ; implicit-def: $vgpr111
.LBB85_245:
	ds_read_b32 v111, v110
.LBB85_246:
	s_and_saveexec_b64 s[6:7], s[2:3]
	s_cbranch_execz .LBB85_256
; %bb.247:
	v_add_u32_e32 v112, -6, v0
	v_add_u32_e32 v113, -5, v0
	v_cmp_lt_u32_e32 vcc, 6, v112
	v_mov_b32_e32 v112, 5
	s_and_saveexec_b64 s[2:3], vcc
	s_cbranch_execz .LBB85_251
; %bb.248:
	v_and_b32_e32 v112, -8, v113
	v_sub_u32_e32 v114, 0, v112
	s_mov_b64 s[8:9], 12
	s_movk_i32 s12, 0x74
	s_mov_b64 s[10:11], 0
.LBB85_249:                             ; =>This Inner Loop Header: Depth=1
	s_add_i32 s13, s8, -7
	v_mov_b32_e32 v112, s12
	s_add_i32 s14, s8, -6
	s_set_gpr_idx_on s13, gpr_idx(SRC0)
	v_mov_b32_e32 v121, v34
	s_set_gpr_idx_off
	ds_read2_b32 v[115:116], v112 offset1:1
	s_add_i32 s15, s8, -5
	s_set_gpr_idx_on s14, gpr_idx(SRC0)
	v_mov_b32_e32 v122, v34
	s_set_gpr_idx_off
	s_add_i32 s16, s8, -4
	s_set_gpr_idx_on s15, gpr_idx(SRC0)
	v_mov_b32_e32 v123, v34
	s_set_gpr_idx_off
	ds_read2_b32 v[117:118], v112 offset0:2 offset1:3
	s_add_i32 s17, s8, -3
	s_set_gpr_idx_on s16, gpr_idx(SRC0)
	v_mov_b32_e32 v124, v34
	s_set_gpr_idx_off
	s_add_i32 s18, s8, -2
	s_set_gpr_idx_on s17, gpr_idx(SRC0)
	v_mov_b32_e32 v125, v34
	s_set_gpr_idx_off
	ds_read2_b32 v[119:120], v112 offset0:4 offset1:5
	s_add_i32 s19, s8, -1
	s_waitcnt lgkmcnt(2)
	v_fmac_f32_e32 v111, v121, v115
	s_set_gpr_idx_on s18, gpr_idx(SRC0)
	v_mov_b32_e32 v121, v34
	s_set_gpr_idx_off
	v_fmac_f32_e32 v111, v122, v116
	s_set_gpr_idx_on s19, gpr_idx(SRC0)
	v_mov_b32_e32 v122, v34
	s_set_gpr_idx_off
	ds_read2_b32 v[115:116], v112 offset0:6 offset1:7
	s_waitcnt lgkmcnt(2)
	v_fmac_f32_e32 v111, v123, v117
	s_set_gpr_idx_on s8, gpr_idx(SRC0)
	v_mov_b32_e32 v117, v34
	s_set_gpr_idx_off
	v_fmac_f32_e32 v111, v124, v118
	s_add_u32 s8, s8, 8
	s_waitcnt lgkmcnt(1)
	v_fmac_f32_e32 v111, v125, v119
	v_add_u32_e32 v112, s8, v114
	v_fmac_f32_e32 v111, v121, v120
	s_addc_u32 s9, s9, 0
	s_add_i32 s12, s12, 32
	s_add_i32 s13, s8, -7
	v_cmp_eq_u32_e32 vcc, 12, v112
	s_waitcnt lgkmcnt(0)
	v_fmac_f32_e32 v111, v122, v115
	v_mov_b32_e32 v112, s13
	s_or_b64 s[10:11], vcc, s[10:11]
	v_fmac_f32_e32 v111, v117, v116
	s_andn2_b64 exec, exec, s[10:11]
	s_cbranch_execnz .LBB85_249
; %bb.250:
	s_or_b64 exec, exec, s[10:11]
.LBB85_251:
	s_or_b64 exec, exec, s[2:3]
	v_and_b32_e32 v56, 7, v113
	v_cmp_ne_u32_e32 vcc, 0, v56
	s_and_saveexec_b64 s[8:9], vcc
	s_cbranch_execz .LBB85_255
; %bb.252:
	v_mov_b32_e32 v57, 0x60
	v_lshl_add_u32 v57, v112, 2, v57
	v_mov_b32_e32 v58, 0
	s_mov_b64 s[10:11], 0
.LBB85_253:                             ; =>This Inner Loop Header: Depth=1
	v_cmp_eq_u32_e32 vcc, 1, v112
	v_cndmask_b32_e32 v59, v34, v35, vcc
	v_add_u32_e32 v56, -1, v56
	v_cmp_eq_u32_e32 vcc, 2, v112
	v_cndmask_b32_e32 v59, v59, v36, vcc
	v_cmp_eq_u32_e32 vcc, 0, v56
	v_cmp_eq_u32_e64 s[2:3], 3, v112
	v_cndmask_b32_e64 v59, v59, v37, s[2:3]
	s_or_b64 s[10:11], vcc, s[10:11]
	v_cmp_eq_u32_e32 vcc, 4, v112
	v_cndmask_b32_e32 v59, v59, v38, vcc
	v_cmp_eq_u32_e32 vcc, 5, v112
	v_cndmask_b32_e32 v59, v59, v39, vcc
	;; [unrolled: 2-line block ×13, first 2 shown]
	v_cmp_eq_u32_e32 vcc, 17, v112
	ds_read_b32 v60, v57
	v_cndmask_b32_e32 v59, v59, v51, vcc
	v_cmp_eq_u32_e32 vcc, 18, v112
	v_cndmask_b32_e32 v59, v59, v52, vcc
	v_cmp_eq_u32_e32 vcc, 19, v112
	;; [unrolled: 2-line block ×4, first 2 shown]
	v_add_co_u32_e64 v112, s[2:3], 1, v112
	v_cndmask_b32_e32 v59, v59, v55, vcc
	v_add_u32_e32 v57, 4, v57
	v_addc_co_u32_e64 v58, s[2:3], 0, v58, s[2:3]
	s_waitcnt lgkmcnt(0)
	v_fmac_f32_e32 v111, v59, v60
	s_andn2_b64 exec, exec, s[10:11]
	s_cbranch_execnz .LBB85_253
; %bb.254:
	s_or_b64 exec, exec, s[10:11]
.LBB85_255:
	s_or_b64 exec, exec, s[8:9]
.LBB85_256:
	s_or_b64 exec, exec, s[6:7]
	v_mov_b32_e32 v38, 0
	ds_read_b32 v38, v38 offset:16
	s_waitcnt lgkmcnt(0)
	v_mul_f32_e32 v38, v111, v38
.LBB85_257:
	s_or_b64 exec, exec, s[4:5]
	v_cmp_lt_u32_e64 s[2:3], 3, v0
	ds_write_b32 v110, v37
	s_waitcnt lgkmcnt(0)
	; wave barrier
	s_and_saveexec_b64 s[4:5], s[2:3]
	s_cbranch_execz .LBB85_273
; %bb.258:
	s_andn2_b64 vcc, exec, s[46:47]
	s_cbranch_vccnz .LBB85_260
; %bb.259:
	v_cmp_eq_u32_e32 vcc, 1, v0
	v_cndmask_b32_e32 v111, v34, v35, vcc
	v_cmp_eq_u32_e32 vcc, 2, v0
	v_cndmask_b32_e32 v111, v111, v36, vcc
	;; [unrolled: 2-line block ×17, first 2 shown]
	v_cmp_eq_u32_e32 vcc, 18, v0
	ds_read_b32 v112, v110
	v_cndmask_b32_e32 v111, v111, v52, vcc
	v_cmp_eq_u32_e32 vcc, 19, v0
	v_cndmask_b32_e32 v111, v111, v53, vcc
	v_cmp_eq_u32_e32 vcc, 20, v0
	;; [unrolled: 2-line block ×3, first 2 shown]
	v_cndmask_b32_e32 v111, v111, v55, vcc
	s_waitcnt lgkmcnt(0)
	v_mul_f32_e32 v111, v111, v112
	s_cbranch_execz .LBB85_261
	s_branch .LBB85_262
.LBB85_260:
                                        ; implicit-def: $vgpr111
.LBB85_261:
	ds_read_b32 v111, v110
.LBB85_262:
	s_and_saveexec_b64 s[6:7], s[0:1]
	s_cbranch_execz .LBB85_272
; %bb.263:
	v_add_u32_e32 v112, -5, v0
	v_add_u32_e32 v113, -4, v0
	v_cmp_lt_u32_e32 vcc, 6, v112
	v_mov_b32_e32 v112, 4
	s_and_saveexec_b64 s[0:1], vcc
	s_cbranch_execz .LBB85_267
; %bb.264:
	v_and_b32_e32 v112, -8, v113
	v_sub_u32_e32 v114, 0, v112
	s_mov_b64 s[8:9], 5
	s_movk_i32 s12, 0x70
	s_mov_b64 s[10:11], 0
.LBB85_265:                             ; =>This Inner Loop Header: Depth=1
	s_add_i32 s13, s8, -1
	v_mov_b32_e32 v112, s12
	s_set_gpr_idx_on s13, gpr_idx(SRC0)
	v_mov_b32_e32 v123, v34
	s_set_gpr_idx_off
	s_add_i32 s14, s8, 1
	ds_read_b128 v[115:118], v112
	ds_read_b128 v[119:122], v112 offset:16
	s_set_gpr_idx_on s8, gpr_idx(SRC0)
	v_mov_b32_e32 v124, v34
	s_set_gpr_idx_off
	s_add_i32 s15, s8, 2
	s_set_gpr_idx_on s14, gpr_idx(SRC0)
	v_mov_b32_e32 v125, v34
	s_set_gpr_idx_off
	s_add_i32 s16, s8, 3
	;; [unrolled: 4-line block ×4, first 2 shown]
	s_waitcnt lgkmcnt(1)
	v_fmac_f32_e32 v111, v123, v115
	s_set_gpr_idx_on s17, gpr_idx(SRC0)
	v_mov_b32_e32 v115, v34
	s_set_gpr_idx_off
	s_add_i32 s19, s8, 6
	v_fmac_f32_e32 v111, v124, v116
	s_set_gpr_idx_on s18, gpr_idx(SRC0)
	v_mov_b32_e32 v116, v34
	s_set_gpr_idx_off
	v_fmac_f32_e32 v111, v125, v117
	s_set_gpr_idx_on s19, gpr_idx(SRC0)
	v_mov_b32_e32 v117, v34
	s_set_gpr_idx_off
	v_fmac_f32_e32 v111, v126, v118
	s_add_u32 s8, s8, 8
	s_waitcnt lgkmcnt(0)
	v_fmac_f32_e32 v111, v127, v119
	v_add_u32_e32 v112, s8, v114
	v_fmac_f32_e32 v111, v115, v120
	s_addc_u32 s9, s9, 0
	s_add_i32 s12, s12, 32
	s_add_i32 s13, s8, -1
	v_cmp_eq_u32_e32 vcc, 5, v112
	v_fmac_f32_e32 v111, v116, v121
	v_mov_b32_e32 v112, s13
	s_or_b64 s[10:11], vcc, s[10:11]
	v_fmac_f32_e32 v111, v117, v122
	s_andn2_b64 exec, exec, s[10:11]
	s_cbranch_execnz .LBB85_265
; %bb.266:
	s_or_b64 exec, exec, s[10:11]
.LBB85_267:
	s_or_b64 exec, exec, s[0:1]
	v_and_b32_e32 v56, 7, v113
	v_cmp_ne_u32_e32 vcc, 0, v56
	s_and_saveexec_b64 s[8:9], vcc
	s_cbranch_execz .LBB85_271
; %bb.268:
	v_mov_b32_e32 v57, 0x60
	v_lshl_add_u32 v57, v112, 2, v57
	v_mov_b32_e32 v58, 0
	s_mov_b64 s[10:11], 0
.LBB85_269:                             ; =>This Inner Loop Header: Depth=1
	v_cmp_eq_u32_e32 vcc, 1, v112
	v_cndmask_b32_e32 v59, v34, v35, vcc
	v_add_u32_e32 v56, -1, v56
	v_cmp_eq_u32_e32 vcc, 2, v112
	v_cndmask_b32_e32 v59, v59, v36, vcc
	v_cmp_eq_u32_e32 vcc, 0, v56
	v_cmp_eq_u32_e64 s[0:1], 3, v112
	v_cndmask_b32_e64 v59, v59, v37, s[0:1]
	s_or_b64 s[10:11], vcc, s[10:11]
	v_cmp_eq_u32_e32 vcc, 4, v112
	v_cndmask_b32_e32 v59, v59, v38, vcc
	v_cmp_eq_u32_e32 vcc, 5, v112
	v_cndmask_b32_e32 v59, v59, v39, vcc
	;; [unrolled: 2-line block ×13, first 2 shown]
	v_cmp_eq_u32_e32 vcc, 17, v112
	ds_read_b32 v60, v57
	v_cndmask_b32_e32 v59, v59, v51, vcc
	v_cmp_eq_u32_e32 vcc, 18, v112
	v_cndmask_b32_e32 v59, v59, v52, vcc
	v_cmp_eq_u32_e32 vcc, 19, v112
	v_cndmask_b32_e32 v59, v59, v53, vcc
	v_cmp_eq_u32_e32 vcc, 20, v112
	v_cndmask_b32_e32 v59, v59, v54, vcc
	v_cmp_eq_u32_e32 vcc, 21, v112
	v_add_co_u32_e64 v112, s[0:1], 1, v112
	v_cndmask_b32_e32 v59, v59, v55, vcc
	v_add_u32_e32 v57, 4, v57
	v_addc_co_u32_e64 v58, s[0:1], 0, v58, s[0:1]
	s_waitcnt lgkmcnt(0)
	v_fmac_f32_e32 v111, v59, v60
	s_andn2_b64 exec, exec, s[10:11]
	s_cbranch_execnz .LBB85_269
; %bb.270:
	s_or_b64 exec, exec, s[10:11]
.LBB85_271:
	s_or_b64 exec, exec, s[8:9]
.LBB85_272:
	s_or_b64 exec, exec, s[6:7]
	v_mov_b32_e32 v37, 0
	ds_read_b32 v37, v37 offset:12
	s_waitcnt lgkmcnt(0)
	v_mul_f32_e32 v37, v111, v37
.LBB85_273:
	s_or_b64 exec, exec, s[4:5]
	v_cmp_lt_u32_e64 s[0:1], 2, v0
	ds_write_b32 v110, v36
	s_waitcnt lgkmcnt(0)
	; wave barrier
	s_and_saveexec_b64 s[4:5], s[0:1]
	s_cbranch_execz .LBB85_289
; %bb.274:
	s_andn2_b64 vcc, exec, s[46:47]
	s_cbranch_vccnz .LBB85_276
; %bb.275:
	v_cmp_eq_u32_e32 vcc, 1, v0
	v_cndmask_b32_e32 v111, v34, v35, vcc
	v_cmp_eq_u32_e32 vcc, 2, v0
	v_cndmask_b32_e32 v111, v111, v36, vcc
	;; [unrolled: 2-line block ×17, first 2 shown]
	v_cmp_eq_u32_e32 vcc, 18, v0
	ds_read_b32 v112, v110
	v_cndmask_b32_e32 v111, v111, v52, vcc
	v_cmp_eq_u32_e32 vcc, 19, v0
	v_cndmask_b32_e32 v111, v111, v53, vcc
	v_cmp_eq_u32_e32 vcc, 20, v0
	;; [unrolled: 2-line block ×3, first 2 shown]
	v_cndmask_b32_e32 v111, v111, v55, vcc
	s_waitcnt lgkmcnt(0)
	v_mul_f32_e32 v111, v111, v112
	s_cbranch_execz .LBB85_277
	s_branch .LBB85_278
.LBB85_276:
                                        ; implicit-def: $vgpr111
.LBB85_277:
	ds_read_b32 v111, v110
.LBB85_278:
	s_and_saveexec_b64 s[6:7], s[2:3]
	s_cbranch_execz .LBB85_288
; %bb.279:
	v_add_u32_e32 v112, -4, v0
	v_add_u32_e32 v113, -3, v0
	v_cmp_lt_u32_e32 vcc, 6, v112
	v_mov_b32_e32 v112, 3
	s_and_saveexec_b64 s[2:3], vcc
	s_cbranch_execz .LBB85_283
; %bb.280:
	v_and_b32_e32 v112, -8, v113
	v_sub_u32_e32 v114, 0, v112
	s_mov_b64 s[8:9], 10
	s_movk_i32 s12, 0x6c
	s_mov_b64 s[10:11], 0
.LBB85_281:                             ; =>This Inner Loop Header: Depth=1
	s_add_i32 s13, s8, -7
	v_mov_b32_e32 v112, s12
	s_add_i32 s14, s8, -6
	s_set_gpr_idx_on s13, gpr_idx(SRC0)
	v_mov_b32_e32 v121, v34
	s_set_gpr_idx_off
	ds_read2_b32 v[115:116], v112 offset1:1
	s_add_i32 s15, s8, -5
	s_set_gpr_idx_on s14, gpr_idx(SRC0)
	v_mov_b32_e32 v122, v34
	s_set_gpr_idx_off
	s_add_i32 s16, s8, -4
	s_set_gpr_idx_on s15, gpr_idx(SRC0)
	v_mov_b32_e32 v123, v34
	s_set_gpr_idx_off
	ds_read2_b32 v[117:118], v112 offset0:2 offset1:3
	s_add_i32 s17, s8, -3
	s_set_gpr_idx_on s16, gpr_idx(SRC0)
	v_mov_b32_e32 v124, v34
	s_set_gpr_idx_off
	s_add_i32 s18, s8, -2
	s_set_gpr_idx_on s17, gpr_idx(SRC0)
	v_mov_b32_e32 v125, v34
	s_set_gpr_idx_off
	ds_read2_b32 v[119:120], v112 offset0:4 offset1:5
	s_add_i32 s19, s8, -1
	s_waitcnt lgkmcnt(2)
	v_fmac_f32_e32 v111, v121, v115
	s_set_gpr_idx_on s18, gpr_idx(SRC0)
	v_mov_b32_e32 v121, v34
	s_set_gpr_idx_off
	v_fmac_f32_e32 v111, v122, v116
	s_set_gpr_idx_on s19, gpr_idx(SRC0)
	v_mov_b32_e32 v122, v34
	s_set_gpr_idx_off
	ds_read2_b32 v[115:116], v112 offset0:6 offset1:7
	s_waitcnt lgkmcnt(2)
	v_fmac_f32_e32 v111, v123, v117
	s_set_gpr_idx_on s8, gpr_idx(SRC0)
	v_mov_b32_e32 v117, v34
	s_set_gpr_idx_off
	v_fmac_f32_e32 v111, v124, v118
	s_add_u32 s8, s8, 8
	s_waitcnt lgkmcnt(1)
	v_fmac_f32_e32 v111, v125, v119
	v_add_u32_e32 v112, s8, v114
	v_fmac_f32_e32 v111, v121, v120
	s_addc_u32 s9, s9, 0
	s_add_i32 s12, s12, 32
	s_add_i32 s13, s8, -7
	v_cmp_eq_u32_e32 vcc, 10, v112
	s_waitcnt lgkmcnt(0)
	v_fmac_f32_e32 v111, v122, v115
	v_mov_b32_e32 v112, s13
	s_or_b64 s[10:11], vcc, s[10:11]
	v_fmac_f32_e32 v111, v117, v116
	s_andn2_b64 exec, exec, s[10:11]
	s_cbranch_execnz .LBB85_281
; %bb.282:
	s_or_b64 exec, exec, s[10:11]
.LBB85_283:
	s_or_b64 exec, exec, s[2:3]
	v_and_b32_e32 v56, 7, v113
	v_cmp_ne_u32_e32 vcc, 0, v56
	s_and_saveexec_b64 s[8:9], vcc
	s_cbranch_execz .LBB85_287
; %bb.284:
	v_mov_b32_e32 v57, 0x60
	v_lshl_add_u32 v57, v112, 2, v57
	v_mov_b32_e32 v58, 0
	s_mov_b64 s[10:11], 0
.LBB85_285:                             ; =>This Inner Loop Header: Depth=1
	v_cmp_eq_u32_e32 vcc, 1, v112
	v_cndmask_b32_e32 v59, v34, v35, vcc
	v_add_u32_e32 v56, -1, v56
	v_cmp_eq_u32_e32 vcc, 2, v112
	v_cndmask_b32_e32 v59, v59, v36, vcc
	v_cmp_eq_u32_e32 vcc, 0, v56
	v_cmp_eq_u32_e64 s[2:3], 3, v112
	v_cndmask_b32_e64 v59, v59, v37, s[2:3]
	s_or_b64 s[10:11], vcc, s[10:11]
	v_cmp_eq_u32_e32 vcc, 4, v112
	v_cndmask_b32_e32 v59, v59, v38, vcc
	v_cmp_eq_u32_e32 vcc, 5, v112
	v_cndmask_b32_e32 v59, v59, v39, vcc
	;; [unrolled: 2-line block ×13, first 2 shown]
	v_cmp_eq_u32_e32 vcc, 17, v112
	ds_read_b32 v60, v57
	v_cndmask_b32_e32 v59, v59, v51, vcc
	v_cmp_eq_u32_e32 vcc, 18, v112
	v_cndmask_b32_e32 v59, v59, v52, vcc
	v_cmp_eq_u32_e32 vcc, 19, v112
	;; [unrolled: 2-line block ×4, first 2 shown]
	v_add_co_u32_e64 v112, s[2:3], 1, v112
	v_cndmask_b32_e32 v59, v59, v55, vcc
	v_add_u32_e32 v57, 4, v57
	v_addc_co_u32_e64 v58, s[2:3], 0, v58, s[2:3]
	s_waitcnt lgkmcnt(0)
	v_fmac_f32_e32 v111, v59, v60
	s_andn2_b64 exec, exec, s[10:11]
	s_cbranch_execnz .LBB85_285
; %bb.286:
	s_or_b64 exec, exec, s[10:11]
.LBB85_287:
	s_or_b64 exec, exec, s[8:9]
.LBB85_288:
	s_or_b64 exec, exec, s[6:7]
	v_mov_b32_e32 v36, 0
	ds_read_b32 v36, v36 offset:8
	s_waitcnt lgkmcnt(0)
	v_mul_f32_e32 v36, v111, v36
.LBB85_289:
	s_or_b64 exec, exec, s[4:5]
	v_cmp_lt_u32_e64 s[2:3], 1, v0
	ds_write_b32 v110, v35
	s_waitcnt lgkmcnt(0)
	; wave barrier
	s_and_saveexec_b64 s[4:5], s[2:3]
	s_cbranch_execz .LBB85_305
; %bb.290:
	s_andn2_b64 vcc, exec, s[46:47]
	s_cbranch_vccnz .LBB85_292
; %bb.291:
	v_cmp_eq_u32_e32 vcc, 1, v0
	v_cndmask_b32_e32 v111, v34, v35, vcc
	v_cmp_eq_u32_e32 vcc, 2, v0
	v_cndmask_b32_e32 v111, v111, v36, vcc
	;; [unrolled: 2-line block ×17, first 2 shown]
	v_cmp_eq_u32_e32 vcc, 18, v0
	ds_read_b32 v112, v110
	v_cndmask_b32_e32 v111, v111, v52, vcc
	v_cmp_eq_u32_e32 vcc, 19, v0
	v_cndmask_b32_e32 v111, v111, v53, vcc
	v_cmp_eq_u32_e32 vcc, 20, v0
	;; [unrolled: 2-line block ×3, first 2 shown]
	v_cndmask_b32_e32 v111, v111, v55, vcc
	s_waitcnt lgkmcnt(0)
	v_mul_f32_e32 v111, v111, v112
	s_cbranch_execz .LBB85_293
	s_branch .LBB85_294
.LBB85_292:
                                        ; implicit-def: $vgpr111
.LBB85_293:
	ds_read_b32 v111, v110
.LBB85_294:
	s_and_saveexec_b64 s[6:7], s[0:1]
	s_cbranch_execz .LBB85_304
; %bb.295:
	v_add_u32_e32 v112, -3, v0
	v_add_u32_e32 v113, -2, v0
	v_cmp_lt_u32_e32 vcc, 6, v112
	v_mov_b32_e32 v112, 2
	s_and_saveexec_b64 s[0:1], vcc
	s_cbranch_execz .LBB85_299
; %bb.296:
	v_and_b32_e32 v112, -8, v113
	v_sub_u32_e32 v114, 0, v112
	s_mov_b64 s[8:9], 9
	s_movk_i32 s12, 0x68
	s_mov_b64 s[10:11], 0
.LBB85_297:                             ; =>This Inner Loop Header: Depth=1
	s_add_i32 s13, s8, -7
	v_mov_b32_e32 v112, s12
	s_add_i32 s14, s8, -6
	s_set_gpr_idx_on s13, gpr_idx(SRC0)
	v_mov_b32_e32 v123, v34
	s_set_gpr_idx_off
	ds_read2_b64 v[115:118], v112 offset1:1
	s_add_i32 s15, s8, -5
	s_set_gpr_idx_on s14, gpr_idx(SRC0)
	v_mov_b32_e32 v124, v34
	s_set_gpr_idx_off
	s_add_i32 s16, s8, -4
	s_set_gpr_idx_on s15, gpr_idx(SRC0)
	v_mov_b32_e32 v125, v34
	s_set_gpr_idx_off
	s_add_i32 s17, s8, -3
	s_set_gpr_idx_on s16, gpr_idx(SRC0)
	v_mov_b32_e32 v126, v34
	s_set_gpr_idx_off
	s_add_i32 s18, s8, -2
	s_set_gpr_idx_on s17, gpr_idx(SRC0)
	v_mov_b32_e32 v127, v34
	s_set_gpr_idx_off
	ds_read2_b64 v[119:122], v112 offset0:2 offset1:3
	s_add_i32 s19, s8, -1
	s_waitcnt lgkmcnt(1)
	v_fmac_f32_e32 v111, v123, v115
	s_set_gpr_idx_on s18, gpr_idx(SRC0)
	v_mov_b32_e32 v115, v34
	s_set_gpr_idx_off
	v_fmac_f32_e32 v111, v124, v116
	s_set_gpr_idx_on s19, gpr_idx(SRC0)
	v_mov_b32_e32 v116, v34
	s_set_gpr_idx_off
	;; [unrolled: 4-line block ×3, first 2 shown]
	v_fmac_f32_e32 v111, v126, v118
	s_add_u32 s8, s8, 8
	s_waitcnt lgkmcnt(0)
	v_fmac_f32_e32 v111, v127, v119
	v_add_u32_e32 v112, s8, v114
	v_fmac_f32_e32 v111, v115, v120
	s_addc_u32 s9, s9, 0
	s_add_i32 s12, s12, 32
	s_add_i32 s13, s8, -7
	v_cmp_eq_u32_e32 vcc, 9, v112
	v_fmac_f32_e32 v111, v116, v121
	v_mov_b32_e32 v112, s13
	s_or_b64 s[10:11], vcc, s[10:11]
	v_fmac_f32_e32 v111, v117, v122
	s_andn2_b64 exec, exec, s[10:11]
	s_cbranch_execnz .LBB85_297
; %bb.298:
	s_or_b64 exec, exec, s[10:11]
.LBB85_299:
	s_or_b64 exec, exec, s[0:1]
	v_and_b32_e32 v56, 7, v113
	v_cmp_ne_u32_e32 vcc, 0, v56
	s_and_saveexec_b64 s[8:9], vcc
	s_cbranch_execz .LBB85_303
; %bb.300:
	v_mov_b32_e32 v57, 0x60
	v_lshl_add_u32 v57, v112, 2, v57
	v_mov_b32_e32 v58, 0
	s_mov_b64 s[10:11], 0
.LBB85_301:                             ; =>This Inner Loop Header: Depth=1
	v_cmp_eq_u32_e32 vcc, 1, v112
	v_cndmask_b32_e32 v59, v34, v35, vcc
	v_add_u32_e32 v56, -1, v56
	v_cmp_eq_u32_e32 vcc, 2, v112
	v_cndmask_b32_e32 v59, v59, v36, vcc
	v_cmp_eq_u32_e32 vcc, 0, v56
	v_cmp_eq_u32_e64 s[0:1], 3, v112
	v_cndmask_b32_e64 v59, v59, v37, s[0:1]
	s_or_b64 s[10:11], vcc, s[10:11]
	v_cmp_eq_u32_e32 vcc, 4, v112
	v_cndmask_b32_e32 v59, v59, v38, vcc
	v_cmp_eq_u32_e32 vcc, 5, v112
	v_cndmask_b32_e32 v59, v59, v39, vcc
	;; [unrolled: 2-line block ×13, first 2 shown]
	v_cmp_eq_u32_e32 vcc, 17, v112
	ds_read_b32 v60, v57
	v_cndmask_b32_e32 v59, v59, v51, vcc
	v_cmp_eq_u32_e32 vcc, 18, v112
	v_cndmask_b32_e32 v59, v59, v52, vcc
	v_cmp_eq_u32_e32 vcc, 19, v112
	;; [unrolled: 2-line block ×4, first 2 shown]
	v_add_co_u32_e64 v112, s[0:1], 1, v112
	v_cndmask_b32_e32 v59, v59, v55, vcc
	v_add_u32_e32 v57, 4, v57
	v_addc_co_u32_e64 v58, s[0:1], 0, v58, s[0:1]
	s_waitcnt lgkmcnt(0)
	v_fmac_f32_e32 v111, v59, v60
	s_andn2_b64 exec, exec, s[10:11]
	s_cbranch_execnz .LBB85_301
; %bb.302:
	s_or_b64 exec, exec, s[10:11]
.LBB85_303:
	s_or_b64 exec, exec, s[8:9]
.LBB85_304:
	s_or_b64 exec, exec, s[6:7]
	v_mov_b32_e32 v35, 0
	ds_read_b32 v35, v35 offset:4
	s_waitcnt lgkmcnt(0)
	v_mul_f32_e32 v35, v111, v35
.LBB85_305:
	s_or_b64 exec, exec, s[4:5]
	v_cmp_ne_u32_e32 vcc, 0, v0
	ds_write_b32 v110, v34
	s_waitcnt lgkmcnt(0)
	; wave barrier
	s_and_saveexec_b64 s[4:5], vcc
	s_cbranch_execz .LBB85_321
; %bb.306:
	s_andn2_b64 vcc, exec, s[46:47]
	s_cbranch_vccnz .LBB85_308
; %bb.307:
	v_cmp_eq_u32_e32 vcc, 1, v0
	v_cndmask_b32_e32 v111, v34, v35, vcc
	v_cmp_eq_u32_e32 vcc, 2, v0
	v_cndmask_b32_e32 v111, v111, v36, vcc
	;; [unrolled: 2-line block ×17, first 2 shown]
	v_cmp_eq_u32_e32 vcc, 18, v0
	ds_read_b32 v112, v110
	v_cndmask_b32_e32 v111, v111, v52, vcc
	v_cmp_eq_u32_e32 vcc, 19, v0
	v_cndmask_b32_e32 v111, v111, v53, vcc
	v_cmp_eq_u32_e32 vcc, 20, v0
	;; [unrolled: 2-line block ×3, first 2 shown]
	v_cndmask_b32_e32 v111, v111, v55, vcc
	s_waitcnt lgkmcnt(0)
	v_mul_f32_e32 v111, v111, v112
	s_cbranch_execz .LBB85_309
	s_branch .LBB85_310
.LBB85_308:
                                        ; implicit-def: $vgpr111
.LBB85_309:
	ds_read_b32 v111, v110
.LBB85_310:
	s_and_saveexec_b64 s[6:7], s[2:3]
	s_cbranch_execz .LBB85_320
; %bb.311:
	v_add_u32_e32 v112, -2, v0
	v_add_u32_e32 v113, -1, v0
	v_cmp_lt_u32_e32 vcc, 6, v112
	v_mov_b32_e32 v112, 1
	s_and_saveexec_b64 s[0:1], vcc
	s_cbranch_execz .LBB85_315
; %bb.312:
	v_and_b32_e32 v112, -8, v113
	v_sub_u32_e32 v114, 0, v112
	s_mov_b64 s[2:3], 8
	s_movk_i32 s10, 0x64
	s_mov_b64 s[8:9], 0
.LBB85_313:                             ; =>This Inner Loop Header: Depth=1
	s_add_i32 s11, s2, -7
	v_mov_b32_e32 v112, s10
	s_add_i32 s12, s2, -6
	s_set_gpr_idx_on s11, gpr_idx(SRC0)
	v_mov_b32_e32 v121, v34
	s_set_gpr_idx_off
	ds_read2_b32 v[115:116], v112 offset1:1
	s_add_i32 s13, s2, -5
	s_set_gpr_idx_on s12, gpr_idx(SRC0)
	v_mov_b32_e32 v122, v34
	s_set_gpr_idx_off
	s_add_i32 s14, s2, -4
	s_set_gpr_idx_on s13, gpr_idx(SRC0)
	v_mov_b32_e32 v123, v34
	s_set_gpr_idx_off
	ds_read2_b32 v[117:118], v112 offset0:2 offset1:3
	s_add_i32 s15, s2, -3
	s_set_gpr_idx_on s14, gpr_idx(SRC0)
	v_mov_b32_e32 v124, v34
	s_set_gpr_idx_off
	s_add_i32 s16, s2, -2
	s_set_gpr_idx_on s15, gpr_idx(SRC0)
	v_mov_b32_e32 v125, v34
	s_set_gpr_idx_off
	ds_read2_b32 v[119:120], v112 offset0:4 offset1:5
	s_add_i32 s17, s2, -1
	s_waitcnt lgkmcnt(2)
	v_fmac_f32_e32 v111, v121, v115
	s_set_gpr_idx_on s16, gpr_idx(SRC0)
	v_mov_b32_e32 v121, v34
	s_set_gpr_idx_off
	v_fmac_f32_e32 v111, v122, v116
	s_set_gpr_idx_on s17, gpr_idx(SRC0)
	v_mov_b32_e32 v122, v34
	s_set_gpr_idx_off
	ds_read2_b32 v[115:116], v112 offset0:6 offset1:7
	s_waitcnt lgkmcnt(2)
	v_fmac_f32_e32 v111, v123, v117
	s_set_gpr_idx_on s2, gpr_idx(SRC0)
	v_mov_b32_e32 v117, v34
	s_set_gpr_idx_off
	v_fmac_f32_e32 v111, v124, v118
	s_add_u32 s2, s2, 8
	s_waitcnt lgkmcnt(1)
	v_fmac_f32_e32 v111, v125, v119
	v_add_u32_e32 v112, s2, v114
	v_fmac_f32_e32 v111, v121, v120
	s_addc_u32 s3, s3, 0
	s_add_i32 s10, s10, 32
	s_add_i32 s11, s2, -7
	v_cmp_eq_u32_e32 vcc, 8, v112
	s_waitcnt lgkmcnt(0)
	v_fmac_f32_e32 v111, v122, v115
	v_mov_b32_e32 v112, s11
	s_or_b64 s[8:9], vcc, s[8:9]
	v_fmac_f32_e32 v111, v117, v116
	s_andn2_b64 exec, exec, s[8:9]
	s_cbranch_execnz .LBB85_313
; %bb.314:
	s_or_b64 exec, exec, s[8:9]
.LBB85_315:
	s_or_b64 exec, exec, s[0:1]
	v_and_b32_e32 v56, 7, v113
	v_cmp_ne_u32_e32 vcc, 0, v56
	s_and_saveexec_b64 s[2:3], vcc
	s_cbranch_execz .LBB85_319
; %bb.316:
	v_mov_b32_e32 v57, 0x60
	v_lshl_add_u32 v57, v112, 2, v57
	v_mov_b32_e32 v58, 0
	s_mov_b64 s[8:9], 0
.LBB85_317:                             ; =>This Inner Loop Header: Depth=1
	v_cmp_eq_u32_e32 vcc, 1, v112
	v_cndmask_b32_e32 v59, v34, v35, vcc
	v_add_u32_e32 v56, -1, v56
	v_cmp_eq_u32_e32 vcc, 2, v112
	v_cndmask_b32_e32 v59, v59, v36, vcc
	v_cmp_eq_u32_e32 vcc, 0, v56
	v_cmp_eq_u32_e64 s[0:1], 3, v112
	v_cndmask_b32_e64 v59, v59, v37, s[0:1]
	s_or_b64 s[8:9], vcc, s[8:9]
	v_cmp_eq_u32_e32 vcc, 4, v112
	v_cndmask_b32_e32 v59, v59, v38, vcc
	v_cmp_eq_u32_e32 vcc, 5, v112
	v_cndmask_b32_e32 v59, v59, v39, vcc
	;; [unrolled: 2-line block ×13, first 2 shown]
	v_cmp_eq_u32_e32 vcc, 17, v112
	ds_read_b32 v60, v57
	v_cndmask_b32_e32 v59, v59, v51, vcc
	v_cmp_eq_u32_e32 vcc, 18, v112
	v_cndmask_b32_e32 v59, v59, v52, vcc
	v_cmp_eq_u32_e32 vcc, 19, v112
	;; [unrolled: 2-line block ×4, first 2 shown]
	v_add_co_u32_e64 v112, s[0:1], 1, v112
	v_cndmask_b32_e32 v59, v59, v55, vcc
	v_add_u32_e32 v57, 4, v57
	v_addc_co_u32_e64 v58, s[0:1], 0, v58, s[0:1]
	s_waitcnt lgkmcnt(0)
	v_fmac_f32_e32 v111, v59, v60
	s_andn2_b64 exec, exec, s[8:9]
	s_cbranch_execnz .LBB85_317
; %bb.318:
	s_or_b64 exec, exec, s[8:9]
.LBB85_319:
	s_or_b64 exec, exec, s[2:3]
.LBB85_320:
	s_or_b64 exec, exec, s[6:7]
	v_mov_b32_e32 v34, 0
	ds_read_b32 v34, v34
	s_waitcnt lgkmcnt(0)
	v_mul_f32_e32 v34, v111, v34
.LBB85_321:
	s_or_b64 exec, exec, s[4:5]
	s_branch .LBB85_535
.LBB85_322:
	v_cmp_eq_u32_e64 s[2:3], 0, v0
	s_waitcnt vmcnt(0) lgkmcnt(0)
	ds_write_b32 v110, v3
	s_waitcnt lgkmcnt(0)
	; wave barrier
	s_and_saveexec_b64 s[0:1], s[2:3]
	s_cbranch_execz .LBB85_328
; %bb.323:
	s_and_b64 vcc, exec, s[46:47]
	s_cbranch_vccz .LBB85_325
; %bb.324:
	v_cmp_eq_u32_e32 vcc, 1, v0
	v_cndmask_b32_e32 v3, v2, v3, vcc
	v_cmp_eq_u32_e32 vcc, 2, v0
	v_cndmask_b32_e32 v3, v3, v4, vcc
	;; [unrolled: 2-line block ×17, first 2 shown]
	v_cmp_eq_u32_e32 vcc, 18, v0
	ds_read_b32 v24, v110
	v_cndmask_b32_e32 v3, v3, v20, vcc
	v_cmp_eq_u32_e32 vcc, 19, v0
	v_cndmask_b32_e32 v3, v3, v21, vcc
	v_cmp_eq_u32_e32 vcc, 20, v0
	v_cndmask_b32_e32 v3, v3, v22, vcc
	v_cmp_eq_u32_e32 vcc, 21, v0
	v_cndmask_b32_e32 v3, v3, v23, vcc
	s_waitcnt lgkmcnt(0)
	v_mul_f32_e32 v3, v3, v24
	s_cbranch_execz .LBB85_326
	s_branch .LBB85_327
.LBB85_325:
                                        ; implicit-def: $vgpr3
.LBB85_326:
	ds_read_b32 v3, v110
.LBB85_327:
	v_mov_b32_e32 v24, 0
	ds_read_b32 v24, v24 offset:4
	s_waitcnt lgkmcnt(0)
	v_mul_f32_e32 v3, v3, v24
.LBB85_328:
	s_or_b64 exec, exec, s[0:1]
	v_cndmask_b32_e64 v34, 0, 1, s[46:47]
	v_cmp_gt_u32_e32 vcc, 2, v0
	v_cmp_ne_u32_e64 s[0:1], 1, v34
	ds_write_b32 v110, v4
	s_waitcnt lgkmcnt(0)
	; wave barrier
	s_and_saveexec_b64 s[4:5], vcc
	s_cbranch_execz .LBB85_334
; %bb.329:
	s_and_b64 vcc, exec, s[0:1]
	s_cbranch_vccnz .LBB85_331
; %bb.330:
	v_cmp_eq_u32_e32 vcc, 1, v0
	v_cndmask_b32_e32 v24, v2, v3, vcc
	v_cmp_eq_u32_e32 vcc, 2, v0
	v_cndmask_b32_e32 v4, v24, v4, vcc
	;; [unrolled: 2-line block ×17, first 2 shown]
	v_cmp_eq_u32_e32 vcc, 18, v0
	ds_read_b32 v24, v110
	v_cndmask_b32_e32 v4, v4, v20, vcc
	v_cmp_eq_u32_e32 vcc, 19, v0
	v_cndmask_b32_e32 v4, v4, v21, vcc
	v_cmp_eq_u32_e32 vcc, 20, v0
	;; [unrolled: 2-line block ×3, first 2 shown]
	v_cndmask_b32_e32 v4, v4, v23, vcc
	s_waitcnt lgkmcnt(0)
	v_mul_f32_e32 v4, v4, v24
	s_cbranch_execz .LBB85_332
	s_branch .LBB85_333
.LBB85_331:
                                        ; implicit-def: $vgpr4
.LBB85_332:
	ds_read_b32 v4, v110
.LBB85_333:
	v_mov_b32_e32 v24, 0
	ds_read2_b32 v[24:25], v24 offset0:2 offset1:25
	s_waitcnt lgkmcnt(0)
	v_fma_f32 v25, v3, v25, v4
	v_cndmask_b32_e64 v4, v4, v25, s[2:3]
	v_mul_f32_e32 v4, v4, v24
.LBB85_334:
	s_or_b64 exec, exec, s[4:5]
	v_add_u32_e32 v34, 1, v0
	v_cmp_gt_u32_e64 s[4:5], 3, v0
	ds_write_b32 v110, v5
	s_waitcnt lgkmcnt(0)
	; wave barrier
	s_and_saveexec_b64 s[6:7], s[4:5]
	s_cbranch_execz .LBB85_342
; %bb.335:
	s_and_b64 vcc, exec, s[0:1]
	s_cbranch_vccnz .LBB85_337
; %bb.336:
	v_cmp_eq_u32_e32 vcc, 1, v0
	v_cndmask_b32_e32 v24, v2, v3, vcc
	v_cmp_eq_u32_e32 vcc, 2, v0
	v_cndmask_b32_e32 v24, v24, v4, vcc
	;; [unrolled: 2-line block ×17, first 2 shown]
	v_cmp_eq_u32_e32 vcc, 18, v0
	ds_read_b32 v25, v110
	v_cndmask_b32_e32 v24, v24, v20, vcc
	v_cmp_eq_u32_e32 vcc, 19, v0
	v_cndmask_b32_e32 v24, v24, v21, vcc
	v_cmp_eq_u32_e32 vcc, 20, v0
	;; [unrolled: 2-line block ×3, first 2 shown]
	v_cndmask_b32_e32 v24, v24, v23, vcc
	s_waitcnt lgkmcnt(0)
	v_mul_f32_e32 v24, v24, v25
	s_cbranch_execz .LBB85_338
	s_branch .LBB85_339
.LBB85_337:
                                        ; implicit-def: $vgpr24
.LBB85_338:
	ds_read_b32 v24, v110
.LBB85_339:
	v_cmp_ne_u32_e32 vcc, 2, v0
	s_and_saveexec_b64 s[8:9], vcc
	s_cbranch_execz .LBB85_341
; %bb.340:
	v_cmp_eq_u32_e32 vcc, 1, v34
	v_cndmask_b32_e32 v25, v2, v3, vcc
	v_cmp_eq_u32_e32 vcc, 2, v34
	v_cndmask_b32_e32 v25, v25, v4, vcc
	;; [unrolled: 2-line block ×17, first 2 shown]
	v_cmp_eq_u32_e32 vcc, 18, v34
	v_mov_b32_e32 v25, 0
	v_cndmask_b32_e32 v5, v5, v20, vcc
	v_cmp_eq_u32_e32 vcc, 19, v34
	ds_read_b32 v26, v110 offset:4
	ds_read_b32 v25, v25 offset:104
	v_cndmask_b32_e32 v5, v5, v21, vcc
	v_cmp_eq_u32_e32 vcc, 20, v34
	v_cndmask_b32_e32 v5, v5, v22, vcc
	v_cmp_eq_u32_e32 vcc, 21, v34
	v_cndmask_b32_e32 v5, v5, v23, vcc
	s_waitcnt lgkmcnt(1)
	v_fmac_f32_e32 v24, v5, v26
	s_waitcnt lgkmcnt(0)
	v_fma_f32 v5, v4, v25, v24
	v_cndmask_b32_e64 v24, v24, v5, s[2:3]
.LBB85_341:
	s_or_b64 exec, exec, s[8:9]
	v_mov_b32_e32 v5, 0
	ds_read_b32 v5, v5 offset:12
	s_waitcnt lgkmcnt(0)
	v_mul_f32_e32 v5, v24, v5
.LBB85_342:
	s_or_b64 exec, exec, s[6:7]
	v_cmp_gt_u32_e32 vcc, 4, v0
	ds_write_b32 v110, v6
	s_waitcnt lgkmcnt(0)
	; wave barrier
	s_and_saveexec_b64 s[8:9], vcc
	s_cbranch_execz .LBB85_352
; %bb.343:
	s_and_b64 vcc, exec, s[0:1]
	s_cbranch_vccnz .LBB85_345
; %bb.344:
	v_cmp_eq_u32_e32 vcc, 1, v0
	v_cndmask_b32_e32 v24, v2, v3, vcc
	v_cmp_eq_u32_e32 vcc, 2, v0
	v_cndmask_b32_e32 v24, v24, v4, vcc
	;; [unrolled: 2-line block ×17, first 2 shown]
	v_cmp_eq_u32_e32 vcc, 18, v0
	ds_read_b32 v25, v110
	v_cndmask_b32_e32 v24, v24, v20, vcc
	v_cmp_eq_u32_e32 vcc, 19, v0
	v_cndmask_b32_e32 v24, v24, v21, vcc
	v_cmp_eq_u32_e32 vcc, 20, v0
	;; [unrolled: 2-line block ×3, first 2 shown]
	v_cndmask_b32_e32 v24, v24, v23, vcc
	s_waitcnt lgkmcnt(0)
	v_mul_f32_e32 v26, v24, v25
	s_cbranch_execz .LBB85_346
	s_branch .LBB85_347
.LBB85_345:
                                        ; implicit-def: $vgpr26
.LBB85_346:
	ds_read_b32 v26, v110
.LBB85_347:
	v_cmp_ne_u32_e32 vcc, 3, v0
	s_and_saveexec_b64 s[10:11], vcc
	s_cbranch_execz .LBB85_351
; %bb.348:
	v_mov_b32_e32 v24, 0x64
	v_lshl_add_u32 v27, v0, 2, v24
	v_mov_b32_e32 v25, v1
	s_mov_b64 s[12:13], 0
	v_mov_b32_e32 v24, v0
.LBB85_349:                             ; =>This Inner Loop Header: Depth=1
	v_add_co_u32_e32 v24, vcc, 1, v24
	v_addc_co_u32_e32 v25, vcc, 0, v25, vcc
	v_cmp_eq_u32_e32 vcc, 1, v24
	v_cndmask_b32_e32 v29, v2, v3, vcc
	v_cmp_lt_u32_e32 vcc, 2, v24
	v_cmp_eq_u32_e64 s[6:7], 2, v24
	v_cndmask_b32_e64 v29, v29, v4, s[6:7]
	s_or_b64 s[12:13], vcc, s[12:13]
	v_cmp_eq_u32_e32 vcc, 3, v24
	v_cndmask_b32_e32 v29, v29, v5, vcc
	v_cmp_eq_u32_e32 vcc, 4, v24
	v_cndmask_b32_e32 v29, v29, v6, vcc
	;; [unrolled: 2-line block ×14, first 2 shown]
	v_cmp_eq_u32_e32 vcc, 17, v24
	ds_read_b32 v28, v27
	v_cndmask_b32_e32 v29, v29, v19, vcc
	v_cmp_eq_u32_e32 vcc, 18, v24
	v_cndmask_b32_e32 v29, v29, v20, vcc
	v_cmp_eq_u32_e32 vcc, 19, v24
	;; [unrolled: 2-line block ×4, first 2 shown]
	v_cndmask_b32_e32 v29, v29, v23, vcc
	v_add_u32_e32 v27, 4, v27
	s_waitcnt lgkmcnt(0)
	v_fmac_f32_e32 v26, v29, v28
	s_andn2_b64 exec, exec, s[12:13]
	s_cbranch_execnz .LBB85_349
; %bb.350:
	s_or_b64 exec, exec, s[12:13]
.LBB85_351:
	s_or_b64 exec, exec, s[10:11]
	v_mov_b32_e32 v6, 0
	ds_read_b32 v6, v6 offset:16
	s_waitcnt lgkmcnt(0)
	v_mul_f32_e32 v6, v26, v6
.LBB85_352:
	s_or_b64 exec, exec, s[8:9]
	v_cmp_gt_u32_e64 s[6:7], 5, v0
	ds_write_b32 v110, v7
	s_waitcnt lgkmcnt(0)
	; wave barrier
	s_and_saveexec_b64 s[10:11], s[6:7]
	s_cbranch_execz .LBB85_362
; %bb.353:
	s_and_b64 vcc, exec, s[0:1]
	s_cbranch_vccnz .LBB85_355
; %bb.354:
	v_cmp_eq_u32_e32 vcc, 1, v0
	v_cndmask_b32_e32 v24, v2, v3, vcc
	v_cmp_eq_u32_e32 vcc, 2, v0
	v_cndmask_b32_e32 v24, v24, v4, vcc
	;; [unrolled: 2-line block ×17, first 2 shown]
	v_cmp_eq_u32_e32 vcc, 18, v0
	ds_read_b32 v25, v110
	v_cndmask_b32_e32 v24, v24, v20, vcc
	v_cmp_eq_u32_e32 vcc, 19, v0
	v_cndmask_b32_e32 v24, v24, v21, vcc
	v_cmp_eq_u32_e32 vcc, 20, v0
	;; [unrolled: 2-line block ×3, first 2 shown]
	v_cndmask_b32_e32 v24, v24, v23, vcc
	s_waitcnt lgkmcnt(0)
	v_mul_f32_e32 v26, v24, v25
	s_cbranch_execz .LBB85_356
	s_branch .LBB85_357
.LBB85_355:
                                        ; implicit-def: $vgpr26
.LBB85_356:
	ds_read_b32 v26, v110
.LBB85_357:
	v_cmp_ne_u32_e32 vcc, 4, v0
	s_and_saveexec_b64 s[12:13], vcc
	s_cbranch_execz .LBB85_361
; %bb.358:
	v_mov_b32_e32 v24, 0x64
	v_lshl_add_u32 v27, v0, 2, v24
	v_mov_b32_e32 v25, v1
	s_mov_b64 s[14:15], 0
	v_mov_b32_e32 v24, v0
.LBB85_359:                             ; =>This Inner Loop Header: Depth=1
	v_add_co_u32_e32 v24, vcc, 1, v24
	v_addc_co_u32_e32 v25, vcc, 0, v25, vcc
	v_cmp_eq_u32_e32 vcc, 1, v24
	v_cndmask_b32_e32 v29, v2, v3, vcc
	v_cmp_lt_u32_e32 vcc, 3, v24
	v_cmp_eq_u32_e64 s[8:9], 2, v24
	v_cndmask_b32_e64 v29, v29, v4, s[8:9]
	s_or_b64 s[14:15], vcc, s[14:15]
	v_cmp_eq_u32_e32 vcc, 3, v24
	v_cndmask_b32_e32 v29, v29, v5, vcc
	v_cmp_eq_u32_e32 vcc, 4, v24
	v_cndmask_b32_e32 v29, v29, v6, vcc
	;; [unrolled: 2-line block ×14, first 2 shown]
	v_cmp_eq_u32_e32 vcc, 17, v24
	ds_read_b32 v28, v27
	v_cndmask_b32_e32 v29, v29, v19, vcc
	v_cmp_eq_u32_e32 vcc, 18, v24
	v_cndmask_b32_e32 v29, v29, v20, vcc
	v_cmp_eq_u32_e32 vcc, 19, v24
	;; [unrolled: 2-line block ×4, first 2 shown]
	v_cndmask_b32_e32 v29, v29, v23, vcc
	v_add_u32_e32 v27, 4, v27
	s_waitcnt lgkmcnt(0)
	v_fmac_f32_e32 v26, v29, v28
	s_andn2_b64 exec, exec, s[14:15]
	s_cbranch_execnz .LBB85_359
; %bb.360:
	s_or_b64 exec, exec, s[14:15]
.LBB85_361:
	s_or_b64 exec, exec, s[12:13]
	v_mov_b32_e32 v7, 0
	ds_read_b32 v7, v7 offset:20
	s_waitcnt lgkmcnt(0)
	v_mul_f32_e32 v7, v26, v7
.LBB85_362:
	s_or_b64 exec, exec, s[10:11]
	v_cmp_gt_u32_e32 vcc, 6, v0
	ds_write_b32 v110, v8
	s_waitcnt lgkmcnt(0)
	; wave barrier
	s_and_saveexec_b64 s[10:11], vcc
	s_cbranch_execz .LBB85_372
; %bb.363:
	s_and_b64 vcc, exec, s[0:1]
	s_cbranch_vccnz .LBB85_365
; %bb.364:
	v_cmp_eq_u32_e32 vcc, 1, v0
	v_cndmask_b32_e32 v24, v2, v3, vcc
	v_cmp_eq_u32_e32 vcc, 2, v0
	v_cndmask_b32_e32 v24, v24, v4, vcc
	;; [unrolled: 2-line block ×17, first 2 shown]
	v_cmp_eq_u32_e32 vcc, 18, v0
	ds_read_b32 v25, v110
	v_cndmask_b32_e32 v24, v24, v20, vcc
	v_cmp_eq_u32_e32 vcc, 19, v0
	v_cndmask_b32_e32 v24, v24, v21, vcc
	v_cmp_eq_u32_e32 vcc, 20, v0
	;; [unrolled: 2-line block ×3, first 2 shown]
	v_cndmask_b32_e32 v24, v24, v23, vcc
	s_waitcnt lgkmcnt(0)
	v_mul_f32_e32 v26, v24, v25
	s_cbranch_execz .LBB85_366
	s_branch .LBB85_367
.LBB85_365:
                                        ; implicit-def: $vgpr26
.LBB85_366:
	ds_read_b32 v26, v110
.LBB85_367:
	v_cmp_ne_u32_e32 vcc, 5, v0
	s_and_saveexec_b64 s[12:13], vcc
	s_cbranch_execz .LBB85_371
; %bb.368:
	v_mov_b32_e32 v24, 0x64
	v_lshl_add_u32 v27, v0, 2, v24
	v_mov_b32_e32 v25, v1
	s_mov_b64 s[14:15], 0
	v_mov_b32_e32 v24, v0
.LBB85_369:                             ; =>This Inner Loop Header: Depth=1
	v_add_co_u32_e32 v24, vcc, 1, v24
	v_addc_co_u32_e32 v25, vcc, 0, v25, vcc
	v_cmp_eq_u32_e32 vcc, 1, v24
	v_cndmask_b32_e32 v29, v2, v3, vcc
	v_cmp_lt_u32_e32 vcc, 4, v24
	v_cmp_eq_u32_e64 s[8:9], 2, v24
	v_cndmask_b32_e64 v29, v29, v4, s[8:9]
	s_or_b64 s[14:15], vcc, s[14:15]
	v_cmp_eq_u32_e32 vcc, 3, v24
	v_cndmask_b32_e32 v29, v29, v5, vcc
	v_cmp_eq_u32_e32 vcc, 4, v24
	v_cndmask_b32_e32 v29, v29, v6, vcc
	;; [unrolled: 2-line block ×14, first 2 shown]
	v_cmp_eq_u32_e32 vcc, 17, v24
	ds_read_b32 v28, v27
	v_cndmask_b32_e32 v29, v29, v19, vcc
	v_cmp_eq_u32_e32 vcc, 18, v24
	v_cndmask_b32_e32 v29, v29, v20, vcc
	v_cmp_eq_u32_e32 vcc, 19, v24
	;; [unrolled: 2-line block ×4, first 2 shown]
	v_cndmask_b32_e32 v29, v29, v23, vcc
	v_add_u32_e32 v27, 4, v27
	s_waitcnt lgkmcnt(0)
	v_fmac_f32_e32 v26, v29, v28
	s_andn2_b64 exec, exec, s[14:15]
	s_cbranch_execnz .LBB85_369
; %bb.370:
	s_or_b64 exec, exec, s[14:15]
.LBB85_371:
	s_or_b64 exec, exec, s[12:13]
	v_mov_b32_e32 v8, 0
	ds_read_b32 v8, v8 offset:24
	s_waitcnt lgkmcnt(0)
	v_mul_f32_e32 v8, v26, v8
.LBB85_372:
	s_or_b64 exec, exec, s[10:11]
	v_cmp_gt_u32_e64 s[8:9], 7, v0
	ds_write_b32 v110, v9
	s_waitcnt lgkmcnt(0)
	; wave barrier
	s_and_saveexec_b64 s[12:13], s[8:9]
	s_cbranch_execz .LBB85_382
; %bb.373:
	s_and_b64 vcc, exec, s[0:1]
	s_cbranch_vccnz .LBB85_375
; %bb.374:
	v_cmp_eq_u32_e32 vcc, 1, v0
	v_cndmask_b32_e32 v24, v2, v3, vcc
	v_cmp_eq_u32_e32 vcc, 2, v0
	v_cndmask_b32_e32 v24, v24, v4, vcc
	;; [unrolled: 2-line block ×17, first 2 shown]
	v_cmp_eq_u32_e32 vcc, 18, v0
	ds_read_b32 v25, v110
	v_cndmask_b32_e32 v24, v24, v20, vcc
	v_cmp_eq_u32_e32 vcc, 19, v0
	v_cndmask_b32_e32 v24, v24, v21, vcc
	v_cmp_eq_u32_e32 vcc, 20, v0
	;; [unrolled: 2-line block ×3, first 2 shown]
	v_cndmask_b32_e32 v24, v24, v23, vcc
	s_waitcnt lgkmcnt(0)
	v_mul_f32_e32 v26, v24, v25
	s_cbranch_execz .LBB85_376
	s_branch .LBB85_377
.LBB85_375:
                                        ; implicit-def: $vgpr26
.LBB85_376:
	ds_read_b32 v26, v110
.LBB85_377:
	v_cmp_ne_u32_e32 vcc, 6, v0
	s_and_saveexec_b64 s[14:15], vcc
	s_cbranch_execz .LBB85_381
; %bb.378:
	v_mov_b32_e32 v24, 0x64
	v_lshl_add_u32 v27, v0, 2, v24
	v_mov_b32_e32 v25, v1
	s_mov_b64 s[16:17], 0
	v_mov_b32_e32 v24, v0
.LBB85_379:                             ; =>This Inner Loop Header: Depth=1
	v_add_co_u32_e32 v24, vcc, 1, v24
	v_addc_co_u32_e32 v25, vcc, 0, v25, vcc
	v_cmp_eq_u32_e32 vcc, 1, v24
	v_cndmask_b32_e32 v29, v2, v3, vcc
	v_cmp_lt_u32_e32 vcc, 5, v24
	v_cmp_eq_u32_e64 s[10:11], 2, v24
	v_cndmask_b32_e64 v29, v29, v4, s[10:11]
	s_or_b64 s[16:17], vcc, s[16:17]
	v_cmp_eq_u32_e32 vcc, 3, v24
	v_cndmask_b32_e32 v29, v29, v5, vcc
	v_cmp_eq_u32_e32 vcc, 4, v24
	v_cndmask_b32_e32 v29, v29, v6, vcc
	;; [unrolled: 2-line block ×14, first 2 shown]
	v_cmp_eq_u32_e32 vcc, 17, v24
	ds_read_b32 v28, v27
	v_cndmask_b32_e32 v29, v29, v19, vcc
	v_cmp_eq_u32_e32 vcc, 18, v24
	v_cndmask_b32_e32 v29, v29, v20, vcc
	v_cmp_eq_u32_e32 vcc, 19, v24
	;; [unrolled: 2-line block ×4, first 2 shown]
	v_cndmask_b32_e32 v29, v29, v23, vcc
	v_add_u32_e32 v27, 4, v27
	s_waitcnt lgkmcnt(0)
	v_fmac_f32_e32 v26, v29, v28
	s_andn2_b64 exec, exec, s[16:17]
	s_cbranch_execnz .LBB85_379
; %bb.380:
	s_or_b64 exec, exec, s[16:17]
.LBB85_381:
	s_or_b64 exec, exec, s[14:15]
	v_mov_b32_e32 v9, 0
	ds_read_b32 v9, v9 offset:28
	s_waitcnt lgkmcnt(0)
	v_mul_f32_e32 v9, v26, v9
.LBB85_382:
	s_or_b64 exec, exec, s[12:13]
	v_cmp_gt_u32_e32 vcc, 8, v0
	ds_write_b32 v110, v10
	s_waitcnt lgkmcnt(0)
	; wave barrier
	s_and_saveexec_b64 s[12:13], vcc
	s_cbranch_execz .LBB85_392
; %bb.383:
	s_and_b64 vcc, exec, s[0:1]
	s_cbranch_vccnz .LBB85_385
; %bb.384:
	v_cmp_eq_u32_e32 vcc, 1, v0
	v_cndmask_b32_e32 v24, v2, v3, vcc
	v_cmp_eq_u32_e32 vcc, 2, v0
	v_cndmask_b32_e32 v24, v24, v4, vcc
	;; [unrolled: 2-line block ×17, first 2 shown]
	v_cmp_eq_u32_e32 vcc, 18, v0
	ds_read_b32 v25, v110
	v_cndmask_b32_e32 v24, v24, v20, vcc
	v_cmp_eq_u32_e32 vcc, 19, v0
	v_cndmask_b32_e32 v24, v24, v21, vcc
	v_cmp_eq_u32_e32 vcc, 20, v0
	;; [unrolled: 2-line block ×3, first 2 shown]
	v_cndmask_b32_e32 v24, v24, v23, vcc
	s_waitcnt lgkmcnt(0)
	v_mul_f32_e32 v26, v24, v25
	s_cbranch_execz .LBB85_386
	s_branch .LBB85_387
.LBB85_385:
                                        ; implicit-def: $vgpr26
.LBB85_386:
	ds_read_b32 v26, v110
.LBB85_387:
	v_cmp_ne_u32_e32 vcc, 7, v0
	s_and_saveexec_b64 s[14:15], vcc
	s_cbranch_execz .LBB85_391
; %bb.388:
	v_mov_b32_e32 v24, 0x64
	v_lshl_add_u32 v27, v0, 2, v24
	v_mov_b32_e32 v25, v1
	s_mov_b64 s[16:17], 0
	v_mov_b32_e32 v24, v0
.LBB85_389:                             ; =>This Inner Loop Header: Depth=1
	v_add_co_u32_e32 v24, vcc, 1, v24
	v_addc_co_u32_e32 v25, vcc, 0, v25, vcc
	v_cmp_eq_u32_e32 vcc, 1, v24
	v_cndmask_b32_e32 v29, v2, v3, vcc
	v_cmp_lt_u32_e32 vcc, 6, v24
	v_cmp_eq_u32_e64 s[10:11], 2, v24
	v_cndmask_b32_e64 v29, v29, v4, s[10:11]
	s_or_b64 s[16:17], vcc, s[16:17]
	v_cmp_eq_u32_e32 vcc, 3, v24
	v_cndmask_b32_e32 v29, v29, v5, vcc
	v_cmp_eq_u32_e32 vcc, 4, v24
	v_cndmask_b32_e32 v29, v29, v6, vcc
	;; [unrolled: 2-line block ×14, first 2 shown]
	v_cmp_eq_u32_e32 vcc, 17, v24
	ds_read_b32 v28, v27
	v_cndmask_b32_e32 v29, v29, v19, vcc
	v_cmp_eq_u32_e32 vcc, 18, v24
	v_cndmask_b32_e32 v29, v29, v20, vcc
	v_cmp_eq_u32_e32 vcc, 19, v24
	v_cndmask_b32_e32 v29, v29, v21, vcc
	v_cmp_eq_u32_e32 vcc, 20, v24
	v_cndmask_b32_e32 v29, v29, v22, vcc
	v_cmp_eq_u32_e32 vcc, 21, v24
	v_cndmask_b32_e32 v29, v29, v23, vcc
	v_add_u32_e32 v27, 4, v27
	s_waitcnt lgkmcnt(0)
	v_fmac_f32_e32 v26, v29, v28
	s_andn2_b64 exec, exec, s[16:17]
	s_cbranch_execnz .LBB85_389
; %bb.390:
	s_or_b64 exec, exec, s[16:17]
.LBB85_391:
	s_or_b64 exec, exec, s[14:15]
	v_mov_b32_e32 v10, 0
	ds_read_b32 v10, v10 offset:32
	s_waitcnt lgkmcnt(0)
	v_mul_f32_e32 v10, v26, v10
.LBB85_392:
	s_or_b64 exec, exec, s[12:13]
	v_cmp_gt_u32_e32 vcc, 9, v0
	ds_write_b32 v110, v11
	s_waitcnt lgkmcnt(0)
	; wave barrier
	s_and_saveexec_b64 s[10:11], vcc
	s_cbranch_execz .LBB85_414
; %bb.393:
	s_and_b64 vcc, exec, s[0:1]
	s_cbranch_vccnz .LBB85_395
; %bb.394:
	v_cmp_eq_u32_e32 vcc, 1, v0
	v_cndmask_b32_e32 v24, v2, v3, vcc
	v_cmp_eq_u32_e32 vcc, 2, v0
	v_cndmask_b32_e32 v24, v24, v4, vcc
	;; [unrolled: 2-line block ×17, first 2 shown]
	v_cmp_eq_u32_e32 vcc, 18, v0
	ds_read_b32 v25, v110
	v_cndmask_b32_e32 v24, v24, v20, vcc
	v_cmp_eq_u32_e32 vcc, 19, v0
	v_cndmask_b32_e32 v24, v24, v21, vcc
	v_cmp_eq_u32_e32 vcc, 20, v0
	;; [unrolled: 2-line block ×3, first 2 shown]
	v_cndmask_b32_e32 v24, v24, v23, vcc
	s_waitcnt lgkmcnt(0)
	v_mul_f32_e32 v24, v24, v25
	s_cbranch_execz .LBB85_396
	s_branch .LBB85_397
.LBB85_395:
                                        ; implicit-def: $vgpr24
.LBB85_396:
	ds_read_b32 v24, v110
.LBB85_397:
	v_cmp_ne_u32_e32 vcc, 8, v0
	s_and_saveexec_b64 s[12:13], vcc
	s_cbranch_execz .LBB85_413
; %bb.398:
	v_cmp_eq_u32_e32 vcc, 1, v34
	v_cndmask_b32_e32 v25, v2, v3, vcc
	v_cmp_eq_u32_e32 vcc, 2, v34
	v_cndmask_b32_e32 v25, v25, v4, vcc
	;; [unrolled: 2-line block ×17, first 2 shown]
	v_cmp_eq_u32_e32 vcc, 18, v34
	ds_read_b32 v26, v110 offset:4
	v_cndmask_b32_e32 v25, v25, v20, vcc
	v_cmp_eq_u32_e32 vcc, 19, v34
	v_cndmask_b32_e32 v25, v25, v21, vcc
	v_cmp_eq_u32_e32 vcc, 20, v34
	;; [unrolled: 2-line block ×3, first 2 shown]
	v_cndmask_b32_e32 v25, v25, v23, vcc
	s_waitcnt lgkmcnt(0)
	v_fmac_f32_e32 v24, v25, v26
	s_and_saveexec_b64 s[14:15], s[8:9]
	s_cbranch_execz .LBB85_412
; %bb.399:
	v_add_u32_e32 v25, 2, v0
	v_cmp_eq_u32_e32 vcc, 1, v25
	v_cndmask_b32_e32 v26, v2, v3, vcc
	v_cmp_eq_u32_e32 vcc, 2, v25
	v_cndmask_b32_e32 v26, v26, v4, vcc
	;; [unrolled: 2-line block ×17, first 2 shown]
	v_cmp_eq_u32_e32 vcc, 18, v25
	ds_read_b32 v27, v110 offset:8
	v_cndmask_b32_e32 v26, v26, v20, vcc
	v_cmp_eq_u32_e32 vcc, 19, v25
	v_cndmask_b32_e32 v26, v26, v21, vcc
	v_cmp_eq_u32_e32 vcc, 20, v25
	;; [unrolled: 2-line block ×3, first 2 shown]
	v_cndmask_b32_e32 v25, v26, v23, vcc
	s_waitcnt lgkmcnt(0)
	v_fmac_f32_e32 v24, v25, v27
	v_cmp_ne_u32_e32 vcc, 6, v0
	s_and_saveexec_b64 s[8:9], vcc
	s_cbranch_execz .LBB85_411
; %bb.400:
	v_add_u32_e32 v25, 3, v0
	v_cmp_eq_u32_e32 vcc, 1, v25
	v_cndmask_b32_e32 v26, v2, v3, vcc
	v_cmp_eq_u32_e32 vcc, 2, v25
	v_cndmask_b32_e32 v26, v26, v4, vcc
	;; [unrolled: 2-line block ×17, first 2 shown]
	v_cmp_eq_u32_e32 vcc, 18, v25
	ds_read_b32 v27, v110 offset:12
	v_cndmask_b32_e32 v26, v26, v20, vcc
	v_cmp_eq_u32_e32 vcc, 19, v25
	v_cndmask_b32_e32 v26, v26, v21, vcc
	v_cmp_eq_u32_e32 vcc, 20, v25
	;; [unrolled: 2-line block ×3, first 2 shown]
	v_cndmask_b32_e32 v25, v26, v23, vcc
	s_waitcnt lgkmcnt(0)
	v_fmac_f32_e32 v24, v25, v27
	s_and_saveexec_b64 s[16:17], s[6:7]
	s_cbranch_execz .LBB85_410
; %bb.401:
	v_add_u32_e32 v25, 4, v0
	v_cmp_eq_u32_e32 vcc, 1, v25
	v_cndmask_b32_e32 v26, v2, v3, vcc
	v_cmp_eq_u32_e32 vcc, 2, v25
	v_cndmask_b32_e32 v26, v26, v4, vcc
	;; [unrolled: 2-line block ×17, first 2 shown]
	v_cmp_eq_u32_e32 vcc, 18, v25
	ds_read_b32 v27, v110 offset:16
	v_cndmask_b32_e32 v26, v26, v20, vcc
	v_cmp_eq_u32_e32 vcc, 19, v25
	v_cndmask_b32_e32 v26, v26, v21, vcc
	v_cmp_eq_u32_e32 vcc, 20, v25
	;; [unrolled: 2-line block ×3, first 2 shown]
	v_cndmask_b32_e32 v25, v26, v23, vcc
	s_waitcnt lgkmcnt(0)
	v_fmac_f32_e32 v24, v25, v27
	v_cmp_ne_u32_e32 vcc, 4, v0
	s_and_saveexec_b64 s[6:7], vcc
	s_cbranch_execz .LBB85_409
; %bb.402:
	v_add_u32_e32 v25, 5, v0
	v_cmp_eq_u32_e32 vcc, 1, v25
	v_cndmask_b32_e32 v26, v2, v3, vcc
	v_cmp_eq_u32_e32 vcc, 2, v25
	v_cndmask_b32_e32 v26, v26, v4, vcc
	;; [unrolled: 2-line block ×17, first 2 shown]
	v_cmp_eq_u32_e32 vcc, 18, v25
	ds_read_b32 v27, v110 offset:20
	v_cndmask_b32_e32 v26, v26, v20, vcc
	v_cmp_eq_u32_e32 vcc, 19, v25
	v_cndmask_b32_e32 v26, v26, v21, vcc
	v_cmp_eq_u32_e32 vcc, 20, v25
	v_cndmask_b32_e32 v26, v26, v22, vcc
	v_cmp_eq_u32_e32 vcc, 21, v25
	v_cndmask_b32_e32 v25, v26, v23, vcc
	s_waitcnt lgkmcnt(0)
	v_fmac_f32_e32 v24, v25, v27
	s_and_saveexec_b64 s[18:19], s[4:5]
	s_cbranch_execz .LBB85_408
; %bb.403:
	v_add_u32_e32 v25, 6, v0
	v_cmp_eq_u32_e32 vcc, 1, v25
	v_cndmask_b32_e32 v26, v2, v3, vcc
	v_cmp_eq_u32_e32 vcc, 2, v25
	v_cndmask_b32_e32 v26, v26, v4, vcc
	;; [unrolled: 2-line block ×17, first 2 shown]
	v_cmp_eq_u32_e32 vcc, 18, v25
	ds_read_b32 v27, v110 offset:24
	v_cndmask_b32_e32 v26, v26, v20, vcc
	v_cmp_eq_u32_e32 vcc, 19, v25
	v_cndmask_b32_e32 v26, v26, v21, vcc
	v_cmp_eq_u32_e32 vcc, 20, v25
	;; [unrolled: 2-line block ×3, first 2 shown]
	v_cndmask_b32_e32 v25, v26, v23, vcc
	s_waitcnt lgkmcnt(0)
	v_fmac_f32_e32 v24, v25, v27
	v_cmp_ne_u32_e32 vcc, 2, v0
	s_and_saveexec_b64 s[4:5], vcc
	s_cbranch_execz .LBB85_407
; %bb.404:
	v_add_u32_e32 v25, 7, v0
	v_cmp_eq_u32_e32 vcc, 1, v25
	v_cndmask_b32_e32 v26, v2, v3, vcc
	v_cmp_eq_u32_e32 vcc, 2, v25
	v_cndmask_b32_e32 v26, v26, v4, vcc
	;; [unrolled: 2-line block ×17, first 2 shown]
	v_cmp_eq_u32_e32 vcc, 18, v25
	ds_read_b32 v26, v110 offset:28
	v_cndmask_b32_e32 v11, v11, v20, vcc
	v_cmp_eq_u32_e32 vcc, 19, v25
	v_cndmask_b32_e32 v11, v11, v21, vcc
	v_cmp_eq_u32_e32 vcc, 20, v25
	;; [unrolled: 2-line block ×3, first 2 shown]
	v_cndmask_b32_e32 v11, v11, v23, vcc
	s_waitcnt lgkmcnt(0)
	v_fmac_f32_e32 v24, v11, v26
	s_and_saveexec_b64 s[20:21], s[2:3]
	s_cbranch_execz .LBB85_406
; %bb.405:
	ds_read_b32 v11, v110 offset:32
	s_waitcnt lgkmcnt(0)
	v_fmac_f32_e32 v24, v10, v11
.LBB85_406:
	s_or_b64 exec, exec, s[20:21]
.LBB85_407:
	s_or_b64 exec, exec, s[4:5]
.LBB85_408:
	s_or_b64 exec, exec, s[18:19]
.LBB85_409:
	s_or_b64 exec, exec, s[6:7]
.LBB85_410:
	s_or_b64 exec, exec, s[16:17]
.LBB85_411:
	s_or_b64 exec, exec, s[8:9]
.LBB85_412:
	s_or_b64 exec, exec, s[14:15]
.LBB85_413:
	s_or_b64 exec, exec, s[12:13]
	v_mov_b32_e32 v11, 0
	ds_read_b32 v11, v11 offset:36
	s_waitcnt lgkmcnt(0)
	v_mul_f32_e32 v11, v24, v11
.LBB85_414:
	s_or_b64 exec, exec, s[10:11]
	v_cmp_gt_u32_e32 vcc, 10, v0
	ds_write_b32 v110, v12
	s_waitcnt lgkmcnt(0)
	; wave barrier
	s_and_saveexec_b64 s[4:5], vcc
	s_cbranch_execz .LBB85_424
; %bb.415:
	s_and_b64 vcc, exec, s[0:1]
	s_cbranch_vccnz .LBB85_417
; %bb.416:
	v_cmp_eq_u32_e32 vcc, 1, v0
	v_cndmask_b32_e32 v24, v2, v3, vcc
	v_cmp_eq_u32_e32 vcc, 2, v0
	v_cndmask_b32_e32 v24, v24, v4, vcc
	;; [unrolled: 2-line block ×17, first 2 shown]
	v_cmp_eq_u32_e32 vcc, 18, v0
	ds_read_b32 v25, v110
	v_cndmask_b32_e32 v24, v24, v20, vcc
	v_cmp_eq_u32_e32 vcc, 19, v0
	v_cndmask_b32_e32 v24, v24, v21, vcc
	v_cmp_eq_u32_e32 vcc, 20, v0
	;; [unrolled: 2-line block ×3, first 2 shown]
	v_cndmask_b32_e32 v24, v24, v23, vcc
	s_waitcnt lgkmcnt(0)
	v_mul_f32_e32 v26, v24, v25
	s_cbranch_execz .LBB85_418
	s_branch .LBB85_419
.LBB85_417:
                                        ; implicit-def: $vgpr26
.LBB85_418:
	ds_read_b32 v26, v110
.LBB85_419:
	v_cmp_ne_u32_e32 vcc, 9, v0
	s_and_saveexec_b64 s[6:7], vcc
	s_cbranch_execz .LBB85_423
; %bb.420:
	v_mov_b32_e32 v24, 0x64
	v_lshl_add_u32 v27, v0, 2, v24
	v_mov_b32_e32 v25, v1
	s_mov_b64 s[8:9], 0
	v_mov_b32_e32 v24, v0
.LBB85_421:                             ; =>This Inner Loop Header: Depth=1
	v_add_co_u32_e32 v24, vcc, 1, v24
	v_addc_co_u32_e32 v25, vcc, 0, v25, vcc
	v_cmp_eq_u32_e32 vcc, 1, v24
	v_cndmask_b32_e32 v29, v2, v3, vcc
	v_cmp_lt_u32_e32 vcc, 8, v24
	v_cmp_eq_u32_e64 s[2:3], 2, v24
	v_cndmask_b32_e64 v29, v29, v4, s[2:3]
	s_or_b64 s[8:9], vcc, s[8:9]
	v_cmp_eq_u32_e32 vcc, 3, v24
	v_cndmask_b32_e32 v29, v29, v5, vcc
	v_cmp_eq_u32_e32 vcc, 4, v24
	v_cndmask_b32_e32 v29, v29, v6, vcc
	;; [unrolled: 2-line block ×14, first 2 shown]
	v_cmp_eq_u32_e32 vcc, 17, v24
	ds_read_b32 v28, v27
	v_cndmask_b32_e32 v29, v29, v19, vcc
	v_cmp_eq_u32_e32 vcc, 18, v24
	v_cndmask_b32_e32 v29, v29, v20, vcc
	v_cmp_eq_u32_e32 vcc, 19, v24
	;; [unrolled: 2-line block ×4, first 2 shown]
	v_cndmask_b32_e32 v29, v29, v23, vcc
	v_add_u32_e32 v27, 4, v27
	s_waitcnt lgkmcnt(0)
	v_fmac_f32_e32 v26, v29, v28
	s_andn2_b64 exec, exec, s[8:9]
	s_cbranch_execnz .LBB85_421
; %bb.422:
	s_or_b64 exec, exec, s[8:9]
.LBB85_423:
	s_or_b64 exec, exec, s[6:7]
	v_mov_b32_e32 v12, 0
	ds_read_b32 v12, v12 offset:40
	s_waitcnt lgkmcnt(0)
	v_mul_f32_e32 v12, v26, v12
.LBB85_424:
	s_or_b64 exec, exec, s[4:5]
	v_cmp_gt_u32_e32 vcc, 11, v0
	ds_write_b32 v110, v13
	s_waitcnt lgkmcnt(0)
	; wave barrier
	s_and_saveexec_b64 s[4:5], vcc
	s_cbranch_execz .LBB85_434
; %bb.425:
	s_and_b64 vcc, exec, s[0:1]
	s_cbranch_vccnz .LBB85_427
; %bb.426:
	v_cmp_eq_u32_e32 vcc, 1, v0
	v_cndmask_b32_e32 v24, v2, v3, vcc
	v_cmp_eq_u32_e32 vcc, 2, v0
	v_cndmask_b32_e32 v24, v24, v4, vcc
	;; [unrolled: 2-line block ×17, first 2 shown]
	v_cmp_eq_u32_e32 vcc, 18, v0
	ds_read_b32 v25, v110
	v_cndmask_b32_e32 v24, v24, v20, vcc
	v_cmp_eq_u32_e32 vcc, 19, v0
	v_cndmask_b32_e32 v24, v24, v21, vcc
	v_cmp_eq_u32_e32 vcc, 20, v0
	;; [unrolled: 2-line block ×3, first 2 shown]
	v_cndmask_b32_e32 v24, v24, v23, vcc
	s_waitcnt lgkmcnt(0)
	v_mul_f32_e32 v26, v24, v25
	s_cbranch_execz .LBB85_428
	s_branch .LBB85_429
.LBB85_427:
                                        ; implicit-def: $vgpr26
.LBB85_428:
	ds_read_b32 v26, v110
.LBB85_429:
	v_cmp_ne_u32_e32 vcc, 10, v0
	s_and_saveexec_b64 s[6:7], vcc
	s_cbranch_execz .LBB85_433
; %bb.430:
	v_mov_b32_e32 v24, 0x64
	v_lshl_add_u32 v27, v0, 2, v24
	v_mov_b32_e32 v25, v1
	s_mov_b64 s[8:9], 0
	v_mov_b32_e32 v24, v0
.LBB85_431:                             ; =>This Inner Loop Header: Depth=1
	v_add_co_u32_e32 v24, vcc, 1, v24
	v_addc_co_u32_e32 v25, vcc, 0, v25, vcc
	v_cmp_eq_u32_e32 vcc, 1, v24
	v_cndmask_b32_e32 v29, v2, v3, vcc
	v_cmp_lt_u32_e32 vcc, 9, v24
	v_cmp_eq_u32_e64 s[2:3], 2, v24
	v_cndmask_b32_e64 v29, v29, v4, s[2:3]
	s_or_b64 s[8:9], vcc, s[8:9]
	v_cmp_eq_u32_e32 vcc, 3, v24
	v_cndmask_b32_e32 v29, v29, v5, vcc
	v_cmp_eq_u32_e32 vcc, 4, v24
	v_cndmask_b32_e32 v29, v29, v6, vcc
	;; [unrolled: 2-line block ×14, first 2 shown]
	v_cmp_eq_u32_e32 vcc, 17, v24
	ds_read_b32 v28, v27
	v_cndmask_b32_e32 v29, v29, v19, vcc
	v_cmp_eq_u32_e32 vcc, 18, v24
	v_cndmask_b32_e32 v29, v29, v20, vcc
	v_cmp_eq_u32_e32 vcc, 19, v24
	;; [unrolled: 2-line block ×4, first 2 shown]
	v_cndmask_b32_e32 v29, v29, v23, vcc
	v_add_u32_e32 v27, 4, v27
	s_waitcnt lgkmcnt(0)
	v_fmac_f32_e32 v26, v29, v28
	s_andn2_b64 exec, exec, s[8:9]
	s_cbranch_execnz .LBB85_431
; %bb.432:
	s_or_b64 exec, exec, s[8:9]
.LBB85_433:
	s_or_b64 exec, exec, s[6:7]
	v_mov_b32_e32 v13, 0
	ds_read_b32 v13, v13 offset:44
	s_waitcnt lgkmcnt(0)
	v_mul_f32_e32 v13, v26, v13
.LBB85_434:
	s_or_b64 exec, exec, s[4:5]
	v_cmp_gt_u32_e32 vcc, 12, v0
	ds_write_b32 v110, v14
	s_waitcnt lgkmcnt(0)
	; wave barrier
	s_and_saveexec_b64 s[4:5], vcc
	s_cbranch_execz .LBB85_444
; %bb.435:
	s_and_b64 vcc, exec, s[0:1]
	s_cbranch_vccnz .LBB85_437
; %bb.436:
	v_cmp_eq_u32_e32 vcc, 1, v0
	v_cndmask_b32_e32 v24, v2, v3, vcc
	v_cmp_eq_u32_e32 vcc, 2, v0
	v_cndmask_b32_e32 v24, v24, v4, vcc
	;; [unrolled: 2-line block ×17, first 2 shown]
	v_cmp_eq_u32_e32 vcc, 18, v0
	ds_read_b32 v25, v110
	v_cndmask_b32_e32 v24, v24, v20, vcc
	v_cmp_eq_u32_e32 vcc, 19, v0
	v_cndmask_b32_e32 v24, v24, v21, vcc
	v_cmp_eq_u32_e32 vcc, 20, v0
	;; [unrolled: 2-line block ×3, first 2 shown]
	v_cndmask_b32_e32 v24, v24, v23, vcc
	s_waitcnt lgkmcnt(0)
	v_mul_f32_e32 v26, v24, v25
	s_cbranch_execz .LBB85_438
	s_branch .LBB85_439
.LBB85_437:
                                        ; implicit-def: $vgpr26
.LBB85_438:
	ds_read_b32 v26, v110
.LBB85_439:
	v_cmp_ne_u32_e32 vcc, 11, v0
	s_and_saveexec_b64 s[6:7], vcc
	s_cbranch_execz .LBB85_443
; %bb.440:
	v_mov_b32_e32 v24, 0x64
	v_lshl_add_u32 v27, v0, 2, v24
	v_mov_b32_e32 v25, v1
	s_mov_b64 s[8:9], 0
	v_mov_b32_e32 v24, v0
.LBB85_441:                             ; =>This Inner Loop Header: Depth=1
	v_add_co_u32_e32 v24, vcc, 1, v24
	v_addc_co_u32_e32 v25, vcc, 0, v25, vcc
	v_cmp_eq_u32_e32 vcc, 1, v24
	v_cndmask_b32_e32 v29, v2, v3, vcc
	v_cmp_lt_u32_e32 vcc, 10, v24
	v_cmp_eq_u32_e64 s[2:3], 2, v24
	v_cndmask_b32_e64 v29, v29, v4, s[2:3]
	s_or_b64 s[8:9], vcc, s[8:9]
	v_cmp_eq_u32_e32 vcc, 3, v24
	v_cndmask_b32_e32 v29, v29, v5, vcc
	v_cmp_eq_u32_e32 vcc, 4, v24
	v_cndmask_b32_e32 v29, v29, v6, vcc
	;; [unrolled: 2-line block ×14, first 2 shown]
	v_cmp_eq_u32_e32 vcc, 17, v24
	ds_read_b32 v28, v27
	v_cndmask_b32_e32 v29, v29, v19, vcc
	v_cmp_eq_u32_e32 vcc, 18, v24
	v_cndmask_b32_e32 v29, v29, v20, vcc
	v_cmp_eq_u32_e32 vcc, 19, v24
	;; [unrolled: 2-line block ×4, first 2 shown]
	v_cndmask_b32_e32 v29, v29, v23, vcc
	v_add_u32_e32 v27, 4, v27
	s_waitcnt lgkmcnt(0)
	v_fmac_f32_e32 v26, v29, v28
	s_andn2_b64 exec, exec, s[8:9]
	s_cbranch_execnz .LBB85_441
; %bb.442:
	s_or_b64 exec, exec, s[8:9]
.LBB85_443:
	s_or_b64 exec, exec, s[6:7]
	v_mov_b32_e32 v14, 0
	ds_read_b32 v14, v14 offset:48
	s_waitcnt lgkmcnt(0)
	v_mul_f32_e32 v14, v26, v14
.LBB85_444:
	s_or_b64 exec, exec, s[4:5]
	v_cmp_gt_u32_e32 vcc, 13, v0
	ds_write_b32 v110, v15
	s_waitcnt lgkmcnt(0)
	; wave barrier
	s_and_saveexec_b64 s[4:5], vcc
	s_cbranch_execz .LBB85_454
; %bb.445:
	s_and_b64 vcc, exec, s[0:1]
	s_cbranch_vccnz .LBB85_447
; %bb.446:
	v_cmp_eq_u32_e32 vcc, 1, v0
	v_cndmask_b32_e32 v24, v2, v3, vcc
	v_cmp_eq_u32_e32 vcc, 2, v0
	v_cndmask_b32_e32 v24, v24, v4, vcc
	;; [unrolled: 2-line block ×17, first 2 shown]
	v_cmp_eq_u32_e32 vcc, 18, v0
	ds_read_b32 v25, v110
	v_cndmask_b32_e32 v24, v24, v20, vcc
	v_cmp_eq_u32_e32 vcc, 19, v0
	v_cndmask_b32_e32 v24, v24, v21, vcc
	v_cmp_eq_u32_e32 vcc, 20, v0
	;; [unrolled: 2-line block ×3, first 2 shown]
	v_cndmask_b32_e32 v24, v24, v23, vcc
	s_waitcnt lgkmcnt(0)
	v_mul_f32_e32 v26, v24, v25
	s_cbranch_execz .LBB85_448
	s_branch .LBB85_449
.LBB85_447:
                                        ; implicit-def: $vgpr26
.LBB85_448:
	ds_read_b32 v26, v110
.LBB85_449:
	v_cmp_ne_u32_e32 vcc, 12, v0
	s_and_saveexec_b64 s[6:7], vcc
	s_cbranch_execz .LBB85_453
; %bb.450:
	v_mov_b32_e32 v24, 0x64
	v_lshl_add_u32 v27, v0, 2, v24
	v_mov_b32_e32 v25, v1
	s_mov_b64 s[8:9], 0
	v_mov_b32_e32 v24, v0
.LBB85_451:                             ; =>This Inner Loop Header: Depth=1
	v_add_co_u32_e32 v24, vcc, 1, v24
	v_addc_co_u32_e32 v25, vcc, 0, v25, vcc
	v_cmp_eq_u32_e32 vcc, 1, v24
	v_cndmask_b32_e32 v29, v2, v3, vcc
	v_cmp_lt_u32_e32 vcc, 11, v24
	v_cmp_eq_u32_e64 s[2:3], 2, v24
	v_cndmask_b32_e64 v29, v29, v4, s[2:3]
	s_or_b64 s[8:9], vcc, s[8:9]
	v_cmp_eq_u32_e32 vcc, 3, v24
	v_cndmask_b32_e32 v29, v29, v5, vcc
	v_cmp_eq_u32_e32 vcc, 4, v24
	v_cndmask_b32_e32 v29, v29, v6, vcc
	;; [unrolled: 2-line block ×14, first 2 shown]
	v_cmp_eq_u32_e32 vcc, 17, v24
	ds_read_b32 v28, v27
	v_cndmask_b32_e32 v29, v29, v19, vcc
	v_cmp_eq_u32_e32 vcc, 18, v24
	v_cndmask_b32_e32 v29, v29, v20, vcc
	v_cmp_eq_u32_e32 vcc, 19, v24
	;; [unrolled: 2-line block ×4, first 2 shown]
	v_cndmask_b32_e32 v29, v29, v23, vcc
	v_add_u32_e32 v27, 4, v27
	s_waitcnt lgkmcnt(0)
	v_fmac_f32_e32 v26, v29, v28
	s_andn2_b64 exec, exec, s[8:9]
	s_cbranch_execnz .LBB85_451
; %bb.452:
	s_or_b64 exec, exec, s[8:9]
.LBB85_453:
	s_or_b64 exec, exec, s[6:7]
	v_mov_b32_e32 v15, 0
	ds_read_b32 v15, v15 offset:52
	s_waitcnt lgkmcnt(0)
	v_mul_f32_e32 v15, v26, v15
.LBB85_454:
	s_or_b64 exec, exec, s[4:5]
	v_cmp_gt_u32_e32 vcc, 14, v0
	ds_write_b32 v110, v16
	s_waitcnt lgkmcnt(0)
	; wave barrier
	s_and_saveexec_b64 s[4:5], vcc
	s_cbranch_execz .LBB85_464
; %bb.455:
	s_and_b64 vcc, exec, s[0:1]
	s_cbranch_vccnz .LBB85_457
; %bb.456:
	v_cmp_eq_u32_e32 vcc, 1, v0
	v_cndmask_b32_e32 v24, v2, v3, vcc
	v_cmp_eq_u32_e32 vcc, 2, v0
	v_cndmask_b32_e32 v24, v24, v4, vcc
	;; [unrolled: 2-line block ×17, first 2 shown]
	v_cmp_eq_u32_e32 vcc, 18, v0
	ds_read_b32 v25, v110
	v_cndmask_b32_e32 v24, v24, v20, vcc
	v_cmp_eq_u32_e32 vcc, 19, v0
	v_cndmask_b32_e32 v24, v24, v21, vcc
	v_cmp_eq_u32_e32 vcc, 20, v0
	;; [unrolled: 2-line block ×3, first 2 shown]
	v_cndmask_b32_e32 v24, v24, v23, vcc
	s_waitcnt lgkmcnt(0)
	v_mul_f32_e32 v26, v24, v25
	s_cbranch_execz .LBB85_458
	s_branch .LBB85_459
.LBB85_457:
                                        ; implicit-def: $vgpr26
.LBB85_458:
	ds_read_b32 v26, v110
.LBB85_459:
	v_cmp_ne_u32_e32 vcc, 13, v0
	s_and_saveexec_b64 s[6:7], vcc
	s_cbranch_execz .LBB85_463
; %bb.460:
	v_mov_b32_e32 v24, 0x64
	v_lshl_add_u32 v27, v0, 2, v24
	v_mov_b32_e32 v25, v1
	s_mov_b64 s[8:9], 0
	v_mov_b32_e32 v24, v0
.LBB85_461:                             ; =>This Inner Loop Header: Depth=1
	v_add_co_u32_e32 v24, vcc, 1, v24
	v_addc_co_u32_e32 v25, vcc, 0, v25, vcc
	v_cmp_eq_u32_e32 vcc, 1, v24
	v_cndmask_b32_e32 v29, v2, v3, vcc
	v_cmp_lt_u32_e32 vcc, 12, v24
	v_cmp_eq_u32_e64 s[2:3], 2, v24
	v_cndmask_b32_e64 v29, v29, v4, s[2:3]
	s_or_b64 s[8:9], vcc, s[8:9]
	v_cmp_eq_u32_e32 vcc, 3, v24
	v_cndmask_b32_e32 v29, v29, v5, vcc
	v_cmp_eq_u32_e32 vcc, 4, v24
	v_cndmask_b32_e32 v29, v29, v6, vcc
	;; [unrolled: 2-line block ×14, first 2 shown]
	v_cmp_eq_u32_e32 vcc, 17, v24
	ds_read_b32 v28, v27
	v_cndmask_b32_e32 v29, v29, v19, vcc
	v_cmp_eq_u32_e32 vcc, 18, v24
	v_cndmask_b32_e32 v29, v29, v20, vcc
	v_cmp_eq_u32_e32 vcc, 19, v24
	;; [unrolled: 2-line block ×4, first 2 shown]
	v_cndmask_b32_e32 v29, v29, v23, vcc
	v_add_u32_e32 v27, 4, v27
	s_waitcnt lgkmcnt(0)
	v_fmac_f32_e32 v26, v29, v28
	s_andn2_b64 exec, exec, s[8:9]
	s_cbranch_execnz .LBB85_461
; %bb.462:
	s_or_b64 exec, exec, s[8:9]
.LBB85_463:
	s_or_b64 exec, exec, s[6:7]
	v_mov_b32_e32 v16, 0
	ds_read_b32 v16, v16 offset:56
	s_waitcnt lgkmcnt(0)
	v_mul_f32_e32 v16, v26, v16
.LBB85_464:
	s_or_b64 exec, exec, s[4:5]
	v_cmp_gt_u32_e32 vcc, 15, v0
	ds_write_b32 v110, v17
	s_waitcnt lgkmcnt(0)
	; wave barrier
	s_and_saveexec_b64 s[4:5], vcc
	s_cbranch_execz .LBB85_474
; %bb.465:
	s_and_b64 vcc, exec, s[0:1]
	s_cbranch_vccnz .LBB85_467
; %bb.466:
	v_cmp_eq_u32_e32 vcc, 1, v0
	v_cndmask_b32_e32 v24, v2, v3, vcc
	v_cmp_eq_u32_e32 vcc, 2, v0
	v_cndmask_b32_e32 v24, v24, v4, vcc
	;; [unrolled: 2-line block ×17, first 2 shown]
	v_cmp_eq_u32_e32 vcc, 18, v0
	ds_read_b32 v25, v110
	v_cndmask_b32_e32 v24, v24, v20, vcc
	v_cmp_eq_u32_e32 vcc, 19, v0
	v_cndmask_b32_e32 v24, v24, v21, vcc
	v_cmp_eq_u32_e32 vcc, 20, v0
	;; [unrolled: 2-line block ×3, first 2 shown]
	v_cndmask_b32_e32 v24, v24, v23, vcc
	s_waitcnt lgkmcnt(0)
	v_mul_f32_e32 v26, v24, v25
	s_cbranch_execz .LBB85_468
	s_branch .LBB85_469
.LBB85_467:
                                        ; implicit-def: $vgpr26
.LBB85_468:
	ds_read_b32 v26, v110
.LBB85_469:
	v_cmp_ne_u32_e32 vcc, 14, v0
	s_and_saveexec_b64 s[6:7], vcc
	s_cbranch_execz .LBB85_473
; %bb.470:
	v_mov_b32_e32 v24, 0x64
	v_lshl_add_u32 v27, v0, 2, v24
	v_mov_b32_e32 v25, v1
	s_mov_b64 s[8:9], 0
	v_mov_b32_e32 v24, v0
.LBB85_471:                             ; =>This Inner Loop Header: Depth=1
	v_add_co_u32_e32 v24, vcc, 1, v24
	v_addc_co_u32_e32 v25, vcc, 0, v25, vcc
	v_cmp_eq_u32_e32 vcc, 1, v24
	v_cndmask_b32_e32 v29, v2, v3, vcc
	v_cmp_lt_u32_e32 vcc, 13, v24
	v_cmp_eq_u32_e64 s[2:3], 2, v24
	v_cndmask_b32_e64 v29, v29, v4, s[2:3]
	s_or_b64 s[8:9], vcc, s[8:9]
	v_cmp_eq_u32_e32 vcc, 3, v24
	v_cndmask_b32_e32 v29, v29, v5, vcc
	v_cmp_eq_u32_e32 vcc, 4, v24
	v_cndmask_b32_e32 v29, v29, v6, vcc
	;; [unrolled: 2-line block ×14, first 2 shown]
	v_cmp_eq_u32_e32 vcc, 17, v24
	ds_read_b32 v28, v27
	v_cndmask_b32_e32 v29, v29, v19, vcc
	v_cmp_eq_u32_e32 vcc, 18, v24
	v_cndmask_b32_e32 v29, v29, v20, vcc
	v_cmp_eq_u32_e32 vcc, 19, v24
	;; [unrolled: 2-line block ×4, first 2 shown]
	v_cndmask_b32_e32 v29, v29, v23, vcc
	v_add_u32_e32 v27, 4, v27
	s_waitcnt lgkmcnt(0)
	v_fmac_f32_e32 v26, v29, v28
	s_andn2_b64 exec, exec, s[8:9]
	s_cbranch_execnz .LBB85_471
; %bb.472:
	s_or_b64 exec, exec, s[8:9]
.LBB85_473:
	s_or_b64 exec, exec, s[6:7]
	v_mov_b32_e32 v17, 0
	ds_read_b32 v17, v17 offset:60
	s_waitcnt lgkmcnt(0)
	v_mul_f32_e32 v17, v26, v17
.LBB85_474:
	s_or_b64 exec, exec, s[4:5]
	v_cmp_gt_u32_e32 vcc, 16, v0
	ds_write_b32 v110, v18
	s_waitcnt lgkmcnt(0)
	; wave barrier
	s_and_saveexec_b64 s[4:5], vcc
	s_cbranch_execz .LBB85_484
; %bb.475:
	s_and_b64 vcc, exec, s[0:1]
	s_cbranch_vccnz .LBB85_477
; %bb.476:
	v_cmp_eq_u32_e32 vcc, 1, v0
	v_cndmask_b32_e32 v24, v2, v3, vcc
	v_cmp_eq_u32_e32 vcc, 2, v0
	v_cndmask_b32_e32 v24, v24, v4, vcc
	;; [unrolled: 2-line block ×17, first 2 shown]
	v_cmp_eq_u32_e32 vcc, 18, v0
	ds_read_b32 v25, v110
	v_cndmask_b32_e32 v24, v24, v20, vcc
	v_cmp_eq_u32_e32 vcc, 19, v0
	v_cndmask_b32_e32 v24, v24, v21, vcc
	v_cmp_eq_u32_e32 vcc, 20, v0
	;; [unrolled: 2-line block ×3, first 2 shown]
	v_cndmask_b32_e32 v24, v24, v23, vcc
	s_waitcnt lgkmcnt(0)
	v_mul_f32_e32 v26, v24, v25
	s_cbranch_execz .LBB85_478
	s_branch .LBB85_479
.LBB85_477:
                                        ; implicit-def: $vgpr26
.LBB85_478:
	ds_read_b32 v26, v110
.LBB85_479:
	v_cmp_ne_u32_e32 vcc, 15, v0
	s_and_saveexec_b64 s[6:7], vcc
	s_cbranch_execz .LBB85_483
; %bb.480:
	v_mov_b32_e32 v24, 0x64
	v_lshl_add_u32 v27, v0, 2, v24
	v_mov_b32_e32 v25, v1
	s_mov_b64 s[8:9], 0
	v_mov_b32_e32 v24, v0
.LBB85_481:                             ; =>This Inner Loop Header: Depth=1
	v_add_co_u32_e32 v24, vcc, 1, v24
	v_addc_co_u32_e32 v25, vcc, 0, v25, vcc
	v_cmp_eq_u32_e32 vcc, 1, v24
	v_cndmask_b32_e32 v29, v2, v3, vcc
	v_cmp_lt_u32_e32 vcc, 14, v24
	v_cmp_eq_u32_e64 s[2:3], 2, v24
	v_cndmask_b32_e64 v29, v29, v4, s[2:3]
	s_or_b64 s[8:9], vcc, s[8:9]
	v_cmp_eq_u32_e32 vcc, 3, v24
	v_cndmask_b32_e32 v29, v29, v5, vcc
	v_cmp_eq_u32_e32 vcc, 4, v24
	v_cndmask_b32_e32 v29, v29, v6, vcc
	;; [unrolled: 2-line block ×14, first 2 shown]
	v_cmp_eq_u32_e32 vcc, 17, v24
	ds_read_b32 v28, v27
	v_cndmask_b32_e32 v29, v29, v19, vcc
	v_cmp_eq_u32_e32 vcc, 18, v24
	v_cndmask_b32_e32 v29, v29, v20, vcc
	v_cmp_eq_u32_e32 vcc, 19, v24
	;; [unrolled: 2-line block ×4, first 2 shown]
	v_cndmask_b32_e32 v29, v29, v23, vcc
	v_add_u32_e32 v27, 4, v27
	s_waitcnt lgkmcnt(0)
	v_fmac_f32_e32 v26, v29, v28
	s_andn2_b64 exec, exec, s[8:9]
	s_cbranch_execnz .LBB85_481
; %bb.482:
	s_or_b64 exec, exec, s[8:9]
.LBB85_483:
	s_or_b64 exec, exec, s[6:7]
	v_mov_b32_e32 v18, 0
	ds_read_b32 v18, v18 offset:64
	s_waitcnt lgkmcnt(0)
	v_mul_f32_e32 v18, v26, v18
.LBB85_484:
	s_or_b64 exec, exec, s[4:5]
	v_cmp_gt_u32_e32 vcc, 17, v0
	ds_write_b32 v110, v19
	s_waitcnt lgkmcnt(0)
	; wave barrier
	s_and_saveexec_b64 s[4:5], vcc
	s_cbranch_execz .LBB85_494
; %bb.485:
	s_and_b64 vcc, exec, s[0:1]
	s_cbranch_vccnz .LBB85_487
; %bb.486:
	v_cmp_eq_u32_e32 vcc, 1, v0
	v_cndmask_b32_e32 v24, v2, v3, vcc
	v_cmp_eq_u32_e32 vcc, 2, v0
	v_cndmask_b32_e32 v24, v24, v4, vcc
	;; [unrolled: 2-line block ×17, first 2 shown]
	v_cmp_eq_u32_e32 vcc, 18, v0
	ds_read_b32 v25, v110
	v_cndmask_b32_e32 v24, v24, v20, vcc
	v_cmp_eq_u32_e32 vcc, 19, v0
	v_cndmask_b32_e32 v24, v24, v21, vcc
	v_cmp_eq_u32_e32 vcc, 20, v0
	;; [unrolled: 2-line block ×3, first 2 shown]
	v_cndmask_b32_e32 v24, v24, v23, vcc
	s_waitcnt lgkmcnt(0)
	v_mul_f32_e32 v26, v24, v25
	s_cbranch_execz .LBB85_488
	s_branch .LBB85_489
.LBB85_487:
                                        ; implicit-def: $vgpr26
.LBB85_488:
	ds_read_b32 v26, v110
.LBB85_489:
	v_cmp_ne_u32_e32 vcc, 16, v0
	s_and_saveexec_b64 s[6:7], vcc
	s_cbranch_execz .LBB85_493
; %bb.490:
	v_mov_b32_e32 v24, 0x64
	v_lshl_add_u32 v27, v0, 2, v24
	v_mov_b32_e32 v25, v1
	s_mov_b64 s[8:9], 0
	v_mov_b32_e32 v24, v0
.LBB85_491:                             ; =>This Inner Loop Header: Depth=1
	v_add_co_u32_e32 v24, vcc, 1, v24
	v_addc_co_u32_e32 v25, vcc, 0, v25, vcc
	v_cmp_eq_u32_e32 vcc, 1, v24
	v_cndmask_b32_e32 v29, v2, v3, vcc
	v_cmp_lt_u32_e32 vcc, 15, v24
	v_cmp_eq_u32_e64 s[2:3], 2, v24
	v_cndmask_b32_e64 v29, v29, v4, s[2:3]
	s_or_b64 s[8:9], vcc, s[8:9]
	v_cmp_eq_u32_e32 vcc, 3, v24
	v_cndmask_b32_e32 v29, v29, v5, vcc
	v_cmp_eq_u32_e32 vcc, 4, v24
	v_cndmask_b32_e32 v29, v29, v6, vcc
	;; [unrolled: 2-line block ×14, first 2 shown]
	v_cmp_eq_u32_e32 vcc, 17, v24
	ds_read_b32 v28, v27
	v_cndmask_b32_e32 v29, v29, v19, vcc
	v_cmp_eq_u32_e32 vcc, 18, v24
	v_cndmask_b32_e32 v29, v29, v20, vcc
	v_cmp_eq_u32_e32 vcc, 19, v24
	;; [unrolled: 2-line block ×4, first 2 shown]
	v_cndmask_b32_e32 v29, v29, v23, vcc
	v_add_u32_e32 v27, 4, v27
	s_waitcnt lgkmcnt(0)
	v_fmac_f32_e32 v26, v29, v28
	s_andn2_b64 exec, exec, s[8:9]
	s_cbranch_execnz .LBB85_491
; %bb.492:
	s_or_b64 exec, exec, s[8:9]
.LBB85_493:
	s_or_b64 exec, exec, s[6:7]
	v_mov_b32_e32 v19, 0
	ds_read_b32 v19, v19 offset:68
	s_waitcnt lgkmcnt(0)
	v_mul_f32_e32 v19, v26, v19
.LBB85_494:
	s_or_b64 exec, exec, s[4:5]
	v_cmp_gt_u32_e32 vcc, 18, v0
	ds_write_b32 v110, v20
	s_waitcnt lgkmcnt(0)
	; wave barrier
	s_and_saveexec_b64 s[4:5], vcc
	s_cbranch_execz .LBB85_504
; %bb.495:
	s_and_b64 vcc, exec, s[0:1]
	s_cbranch_vccnz .LBB85_497
; %bb.496:
	v_cmp_eq_u32_e32 vcc, 1, v0
	v_cndmask_b32_e32 v24, v2, v3, vcc
	v_cmp_eq_u32_e32 vcc, 2, v0
	v_cndmask_b32_e32 v24, v24, v4, vcc
	;; [unrolled: 2-line block ×17, first 2 shown]
	v_cmp_eq_u32_e32 vcc, 18, v0
	ds_read_b32 v25, v110
	v_cndmask_b32_e32 v24, v24, v20, vcc
	v_cmp_eq_u32_e32 vcc, 19, v0
	v_cndmask_b32_e32 v24, v24, v21, vcc
	v_cmp_eq_u32_e32 vcc, 20, v0
	v_cndmask_b32_e32 v24, v24, v22, vcc
	v_cmp_eq_u32_e32 vcc, 21, v0
	v_cndmask_b32_e32 v24, v24, v23, vcc
	s_waitcnt lgkmcnt(0)
	v_mul_f32_e32 v26, v24, v25
	s_cbranch_execz .LBB85_498
	s_branch .LBB85_499
.LBB85_497:
                                        ; implicit-def: $vgpr26
.LBB85_498:
	ds_read_b32 v26, v110
.LBB85_499:
	v_cmp_ne_u32_e32 vcc, 17, v0
	s_and_saveexec_b64 s[6:7], vcc
	s_cbranch_execz .LBB85_503
; %bb.500:
	v_mov_b32_e32 v24, 0x64
	v_lshl_add_u32 v27, v0, 2, v24
	v_mov_b32_e32 v25, v1
	s_mov_b64 s[8:9], 0
	v_mov_b32_e32 v24, v0
.LBB85_501:                             ; =>This Inner Loop Header: Depth=1
	v_add_co_u32_e32 v24, vcc, 1, v24
	v_addc_co_u32_e32 v25, vcc, 0, v25, vcc
	v_cmp_eq_u32_e32 vcc, 1, v24
	v_cndmask_b32_e32 v29, v2, v3, vcc
	v_cmp_lt_u32_e32 vcc, 16, v24
	v_cmp_eq_u32_e64 s[2:3], 2, v24
	v_cndmask_b32_e64 v29, v29, v4, s[2:3]
	s_or_b64 s[8:9], vcc, s[8:9]
	v_cmp_eq_u32_e32 vcc, 3, v24
	v_cndmask_b32_e32 v29, v29, v5, vcc
	v_cmp_eq_u32_e32 vcc, 4, v24
	v_cndmask_b32_e32 v29, v29, v6, vcc
	v_cmp_eq_u32_e32 vcc, 5, v24
	v_cndmask_b32_e32 v29, v29, v7, vcc
	v_cmp_eq_u32_e32 vcc, 6, v24
	v_cndmask_b32_e32 v29, v29, v8, vcc
	v_cmp_eq_u32_e32 vcc, 7, v24
	v_cndmask_b32_e32 v29, v29, v9, vcc
	v_cmp_eq_u32_e32 vcc, 8, v24
	v_cndmask_b32_e32 v29, v29, v10, vcc
	v_cmp_eq_u32_e32 vcc, 9, v24
	v_cndmask_b32_e32 v29, v29, v11, vcc
	v_cmp_eq_u32_e32 vcc, 10, v24
	v_cndmask_b32_e32 v29, v29, v12, vcc
	v_cmp_eq_u32_e32 vcc, 11, v24
	v_cndmask_b32_e32 v29, v29, v13, vcc
	v_cmp_eq_u32_e32 vcc, 12, v24
	v_cndmask_b32_e32 v29, v29, v14, vcc
	v_cmp_eq_u32_e32 vcc, 13, v24
	v_cndmask_b32_e32 v29, v29, v15, vcc
	v_cmp_eq_u32_e32 vcc, 14, v24
	v_cndmask_b32_e32 v29, v29, v16, vcc
	v_cmp_eq_u32_e32 vcc, 15, v24
	v_cndmask_b32_e32 v29, v29, v17, vcc
	v_cmp_eq_u32_e32 vcc, 16, v24
	v_cndmask_b32_e32 v29, v29, v18, vcc
	v_cmp_eq_u32_e32 vcc, 17, v24
	ds_read_b32 v28, v27
	v_cndmask_b32_e32 v29, v29, v19, vcc
	v_cmp_eq_u32_e32 vcc, 18, v24
	v_cndmask_b32_e32 v29, v29, v20, vcc
	v_cmp_eq_u32_e32 vcc, 19, v24
	;; [unrolled: 2-line block ×4, first 2 shown]
	v_cndmask_b32_e32 v29, v29, v23, vcc
	v_add_u32_e32 v27, 4, v27
	s_waitcnt lgkmcnt(0)
	v_fmac_f32_e32 v26, v29, v28
	s_andn2_b64 exec, exec, s[8:9]
	s_cbranch_execnz .LBB85_501
; %bb.502:
	s_or_b64 exec, exec, s[8:9]
.LBB85_503:
	s_or_b64 exec, exec, s[6:7]
	v_mov_b32_e32 v20, 0
	ds_read_b32 v20, v20 offset:72
	s_waitcnt lgkmcnt(0)
	v_mul_f32_e32 v20, v26, v20
.LBB85_504:
	s_or_b64 exec, exec, s[4:5]
	v_cmp_gt_u32_e32 vcc, 19, v0
	ds_write_b32 v110, v21
	s_waitcnt lgkmcnt(0)
	; wave barrier
	s_and_saveexec_b64 s[4:5], vcc
	s_cbranch_execz .LBB85_514
; %bb.505:
	s_and_b64 vcc, exec, s[0:1]
	s_cbranch_vccnz .LBB85_507
; %bb.506:
	v_cmp_eq_u32_e32 vcc, 1, v0
	v_cndmask_b32_e32 v24, v2, v3, vcc
	v_cmp_eq_u32_e32 vcc, 2, v0
	v_cndmask_b32_e32 v24, v24, v4, vcc
	;; [unrolled: 2-line block ×17, first 2 shown]
	v_cmp_eq_u32_e32 vcc, 18, v0
	ds_read_b32 v25, v110
	v_cndmask_b32_e32 v24, v24, v20, vcc
	v_cmp_eq_u32_e32 vcc, 19, v0
	v_cndmask_b32_e32 v24, v24, v21, vcc
	v_cmp_eq_u32_e32 vcc, 20, v0
	;; [unrolled: 2-line block ×3, first 2 shown]
	v_cndmask_b32_e32 v24, v24, v23, vcc
	s_waitcnt lgkmcnt(0)
	v_mul_f32_e32 v26, v24, v25
	s_cbranch_execz .LBB85_508
	s_branch .LBB85_509
.LBB85_507:
                                        ; implicit-def: $vgpr26
.LBB85_508:
	ds_read_b32 v26, v110
.LBB85_509:
	v_cmp_ne_u32_e32 vcc, 18, v0
	s_and_saveexec_b64 s[6:7], vcc
	s_cbranch_execz .LBB85_513
; %bb.510:
	v_mov_b32_e32 v24, 0x64
	v_lshl_add_u32 v27, v0, 2, v24
	v_mov_b32_e32 v25, v1
	s_mov_b64 s[8:9], 0
	v_mov_b32_e32 v24, v0
.LBB85_511:                             ; =>This Inner Loop Header: Depth=1
	v_add_co_u32_e32 v24, vcc, 1, v24
	v_addc_co_u32_e32 v25, vcc, 0, v25, vcc
	v_cmp_eq_u32_e32 vcc, 1, v24
	v_cndmask_b32_e32 v29, v2, v3, vcc
	v_cmp_lt_u32_e32 vcc, 17, v24
	v_cmp_eq_u32_e64 s[2:3], 2, v24
	v_cndmask_b32_e64 v29, v29, v4, s[2:3]
	s_or_b64 s[8:9], vcc, s[8:9]
	v_cmp_eq_u32_e32 vcc, 3, v24
	v_cndmask_b32_e32 v29, v29, v5, vcc
	v_cmp_eq_u32_e32 vcc, 4, v24
	v_cndmask_b32_e32 v29, v29, v6, vcc
	;; [unrolled: 2-line block ×14, first 2 shown]
	v_cmp_eq_u32_e32 vcc, 17, v24
	ds_read_b32 v28, v27
	v_cndmask_b32_e32 v29, v29, v19, vcc
	v_cmp_eq_u32_e32 vcc, 18, v24
	v_cndmask_b32_e32 v29, v29, v20, vcc
	v_cmp_eq_u32_e32 vcc, 19, v24
	;; [unrolled: 2-line block ×4, first 2 shown]
	v_cndmask_b32_e32 v29, v29, v23, vcc
	v_add_u32_e32 v27, 4, v27
	s_waitcnt lgkmcnt(0)
	v_fmac_f32_e32 v26, v29, v28
	s_andn2_b64 exec, exec, s[8:9]
	s_cbranch_execnz .LBB85_511
; %bb.512:
	s_or_b64 exec, exec, s[8:9]
.LBB85_513:
	s_or_b64 exec, exec, s[6:7]
	v_mov_b32_e32 v21, 0
	ds_read_b32 v21, v21 offset:76
	s_waitcnt lgkmcnt(0)
	v_mul_f32_e32 v21, v26, v21
.LBB85_514:
	s_or_b64 exec, exec, s[4:5]
	v_cmp_gt_u32_e64 s[2:3], 20, v0
	ds_write_b32 v110, v22
	s_waitcnt lgkmcnt(0)
	; wave barrier
	s_and_saveexec_b64 s[6:7], s[2:3]
	s_cbranch_execz .LBB85_524
; %bb.515:
	s_and_b64 vcc, exec, s[0:1]
	s_cbranch_vccnz .LBB85_517
; %bb.516:
	v_cmp_eq_u32_e32 vcc, 1, v0
	v_cndmask_b32_e32 v24, v2, v3, vcc
	v_cmp_eq_u32_e32 vcc, 2, v0
	v_cndmask_b32_e32 v24, v24, v4, vcc
	;; [unrolled: 2-line block ×17, first 2 shown]
	v_cmp_eq_u32_e32 vcc, 18, v0
	ds_read_b32 v25, v110
	v_cndmask_b32_e32 v24, v24, v20, vcc
	v_cmp_eq_u32_e32 vcc, 19, v0
	v_cndmask_b32_e32 v24, v24, v21, vcc
	v_cmp_eq_u32_e32 vcc, 20, v0
	v_cndmask_b32_e32 v24, v24, v22, vcc
	v_cmp_eq_u32_e32 vcc, 21, v0
	v_cndmask_b32_e32 v24, v24, v23, vcc
	s_waitcnt lgkmcnt(0)
	v_mul_f32_e32 v26, v24, v25
	s_cbranch_execz .LBB85_518
	s_branch .LBB85_519
.LBB85_517:
                                        ; implicit-def: $vgpr26
.LBB85_518:
	ds_read_b32 v26, v110
.LBB85_519:
	v_cmp_ne_u32_e32 vcc, 19, v0
	s_and_saveexec_b64 s[8:9], vcc
	s_cbranch_execz .LBB85_523
; %bb.520:
	v_mov_b32_e32 v24, 0x64
	v_lshl_add_u32 v27, v0, 2, v24
	v_mov_b32_e32 v25, v1
	s_mov_b64 s[10:11], 0
	v_mov_b32_e32 v24, v0
.LBB85_521:                             ; =>This Inner Loop Header: Depth=1
	v_add_co_u32_e32 v24, vcc, 1, v24
	v_addc_co_u32_e32 v25, vcc, 0, v25, vcc
	v_cmp_eq_u32_e32 vcc, 1, v24
	v_cndmask_b32_e32 v29, v2, v3, vcc
	v_cmp_lt_u32_e32 vcc, 18, v24
	v_cmp_eq_u32_e64 s[4:5], 2, v24
	v_cndmask_b32_e64 v29, v29, v4, s[4:5]
	s_or_b64 s[10:11], vcc, s[10:11]
	v_cmp_eq_u32_e32 vcc, 3, v24
	v_cndmask_b32_e32 v29, v29, v5, vcc
	v_cmp_eq_u32_e32 vcc, 4, v24
	v_cndmask_b32_e32 v29, v29, v6, vcc
	;; [unrolled: 2-line block ×14, first 2 shown]
	v_cmp_eq_u32_e32 vcc, 17, v24
	ds_read_b32 v28, v27
	v_cndmask_b32_e32 v29, v29, v19, vcc
	v_cmp_eq_u32_e32 vcc, 18, v24
	v_cndmask_b32_e32 v29, v29, v20, vcc
	v_cmp_eq_u32_e32 vcc, 19, v24
	;; [unrolled: 2-line block ×4, first 2 shown]
	v_cndmask_b32_e32 v29, v29, v23, vcc
	v_add_u32_e32 v27, 4, v27
	s_waitcnt lgkmcnt(0)
	v_fmac_f32_e32 v26, v29, v28
	s_andn2_b64 exec, exec, s[10:11]
	s_cbranch_execnz .LBB85_521
; %bb.522:
	s_or_b64 exec, exec, s[10:11]
.LBB85_523:
	s_or_b64 exec, exec, s[8:9]
	v_mov_b32_e32 v22, 0
	ds_read_b32 v22, v22 offset:80
	s_waitcnt lgkmcnt(0)
	v_mul_f32_e32 v22, v26, v22
.LBB85_524:
	s_or_b64 exec, exec, s[6:7]
	v_cmp_ne_u32_e32 vcc, 21, v0
	ds_write_b32 v110, v23
	s_waitcnt lgkmcnt(0)
	; wave barrier
	s_and_saveexec_b64 s[4:5], vcc
	s_cbranch_execz .LBB85_534
; %bb.525:
	s_and_b64 vcc, exec, s[0:1]
	s_cbranch_vccnz .LBB85_527
; %bb.526:
	v_cmp_eq_u32_e32 vcc, 1, v0
	v_cndmask_b32_e32 v24, v2, v3, vcc
	v_cmp_eq_u32_e32 vcc, 2, v0
	v_cndmask_b32_e32 v24, v24, v4, vcc
	;; [unrolled: 2-line block ×17, first 2 shown]
	v_cmp_eq_u32_e32 vcc, 18, v0
	ds_read_b32 v25, v110
	v_cndmask_b32_e32 v24, v24, v20, vcc
	v_cmp_eq_u32_e32 vcc, 19, v0
	v_cndmask_b32_e32 v24, v24, v21, vcc
	v_cmp_eq_u32_e32 vcc, 20, v0
	;; [unrolled: 2-line block ×3, first 2 shown]
	v_cndmask_b32_e32 v24, v24, v23, vcc
	s_waitcnt lgkmcnt(0)
	v_mul_f32_e32 v24, v24, v25
	s_cbranch_execz .LBB85_528
	s_branch .LBB85_529
.LBB85_527:
                                        ; implicit-def: $vgpr24
.LBB85_528:
	ds_read_b32 v24, v110
.LBB85_529:
	s_and_saveexec_b64 s[6:7], s[2:3]
	s_cbranch_execz .LBB85_533
; %bb.530:
	v_mov_b32_e32 v25, 0x64
	v_lshl_add_u32 v25, v0, 2, v25
	s_mov_b64 s[2:3], 0
.LBB85_531:                             ; =>This Inner Loop Header: Depth=1
	v_add_co_u32_e32 v0, vcc, 1, v0
	v_addc_co_u32_e32 v1, vcc, 0, v1, vcc
	v_cmp_eq_u32_e32 vcc, 1, v0
	v_cndmask_b32_e32 v27, v2, v3, vcc
	v_cmp_lt_u32_e32 vcc, 19, v0
	v_cmp_eq_u32_e64 s[0:1], 2, v0
	v_cndmask_b32_e64 v27, v27, v4, s[0:1]
	s_or_b64 s[2:3], vcc, s[2:3]
	v_cmp_eq_u32_e32 vcc, 3, v0
	v_cndmask_b32_e32 v27, v27, v5, vcc
	v_cmp_eq_u32_e32 vcc, 4, v0
	v_cndmask_b32_e32 v27, v27, v6, vcc
	;; [unrolled: 2-line block ×14, first 2 shown]
	v_cmp_eq_u32_e32 vcc, 17, v0
	ds_read_b32 v26, v25
	v_cndmask_b32_e32 v27, v27, v19, vcc
	v_cmp_eq_u32_e32 vcc, 18, v0
	v_cndmask_b32_e32 v27, v27, v20, vcc
	v_cmp_eq_u32_e32 vcc, 19, v0
	;; [unrolled: 2-line block ×4, first 2 shown]
	v_cndmask_b32_e32 v27, v27, v23, vcc
	v_add_u32_e32 v25, 4, v25
	s_waitcnt lgkmcnt(0)
	v_fmac_f32_e32 v24, v27, v26
	s_andn2_b64 exec, exec, s[2:3]
	s_cbranch_execnz .LBB85_531
; %bb.532:
	s_or_b64 exec, exec, s[2:3]
.LBB85_533:
	s_or_b64 exec, exec, s[6:7]
	v_mov_b32_e32 v0, 0
	ds_read_b32 v0, v0 offset:84
	s_waitcnt lgkmcnt(0)
	v_mul_f32_e32 v23, v24, v0
.LBB85_534:
	s_or_b64 exec, exec, s[4:5]
	v_mov_b32_e32 v65, v33
	v_mov_b32_e32 v64, v32
	;; [unrolled: 1-line block ×32, first 2 shown]
.LBB85_535:
	flat_store_dword v[106:107], v34
	flat_store_dword v[108:109], v35
	;; [unrolled: 1-line block ×22, first 2 shown]
.LBB85_536:
	s_endpgm
	.section	.rodata,"a",@progbits
	.p2align	6, 0x0
	.amdhsa_kernel _ZN9rocsolver6v33100L18trti2_kernel_smallILi22EfPKPfEEv13rocblas_fill_17rocblas_diagonal_T1_iil
		.amdhsa_group_segment_fixed_size 184
		.amdhsa_private_segment_fixed_size 0
		.amdhsa_kernarg_size 32
		.amdhsa_user_sgpr_count 6
		.amdhsa_user_sgpr_private_segment_buffer 1
		.amdhsa_user_sgpr_dispatch_ptr 0
		.amdhsa_user_sgpr_queue_ptr 0
		.amdhsa_user_sgpr_kernarg_segment_ptr 1
		.amdhsa_user_sgpr_dispatch_id 0
		.amdhsa_user_sgpr_flat_scratch_init 0
		.amdhsa_user_sgpr_private_segment_size 0
		.amdhsa_uses_dynamic_stack 0
		.amdhsa_system_sgpr_private_segment_wavefront_offset 0
		.amdhsa_system_sgpr_workgroup_id_x 1
		.amdhsa_system_sgpr_workgroup_id_y 0
		.amdhsa_system_sgpr_workgroup_id_z 0
		.amdhsa_system_sgpr_workgroup_info 0
		.amdhsa_system_vgpr_workitem_id 0
		.amdhsa_next_free_vgpr 128
		.amdhsa_next_free_sgpr 52
		.amdhsa_reserve_vcc 1
		.amdhsa_reserve_flat_scratch 0
		.amdhsa_float_round_mode_32 0
		.amdhsa_float_round_mode_16_64 0
		.amdhsa_float_denorm_mode_32 3
		.amdhsa_float_denorm_mode_16_64 3
		.amdhsa_dx10_clamp 1
		.amdhsa_ieee_mode 1
		.amdhsa_fp16_overflow 0
		.amdhsa_exception_fp_ieee_invalid_op 0
		.amdhsa_exception_fp_denorm_src 0
		.amdhsa_exception_fp_ieee_div_zero 0
		.amdhsa_exception_fp_ieee_overflow 0
		.amdhsa_exception_fp_ieee_underflow 0
		.amdhsa_exception_fp_ieee_inexact 0
		.amdhsa_exception_int_div_zero 0
	.end_amdhsa_kernel
	.section	.text._ZN9rocsolver6v33100L18trti2_kernel_smallILi22EfPKPfEEv13rocblas_fill_17rocblas_diagonal_T1_iil,"axG",@progbits,_ZN9rocsolver6v33100L18trti2_kernel_smallILi22EfPKPfEEv13rocblas_fill_17rocblas_diagonal_T1_iil,comdat
.Lfunc_end85:
	.size	_ZN9rocsolver6v33100L18trti2_kernel_smallILi22EfPKPfEEv13rocblas_fill_17rocblas_diagonal_T1_iil, .Lfunc_end85-_ZN9rocsolver6v33100L18trti2_kernel_smallILi22EfPKPfEEv13rocblas_fill_17rocblas_diagonal_T1_iil
                                        ; -- End function
	.set _ZN9rocsolver6v33100L18trti2_kernel_smallILi22EfPKPfEEv13rocblas_fill_17rocblas_diagonal_T1_iil.num_vgpr, 128
	.set _ZN9rocsolver6v33100L18trti2_kernel_smallILi22EfPKPfEEv13rocblas_fill_17rocblas_diagonal_T1_iil.num_agpr, 0
	.set _ZN9rocsolver6v33100L18trti2_kernel_smallILi22EfPKPfEEv13rocblas_fill_17rocblas_diagonal_T1_iil.numbered_sgpr, 52
	.set _ZN9rocsolver6v33100L18trti2_kernel_smallILi22EfPKPfEEv13rocblas_fill_17rocblas_diagonal_T1_iil.num_named_barrier, 0
	.set _ZN9rocsolver6v33100L18trti2_kernel_smallILi22EfPKPfEEv13rocblas_fill_17rocblas_diagonal_T1_iil.private_seg_size, 0
	.set _ZN9rocsolver6v33100L18trti2_kernel_smallILi22EfPKPfEEv13rocblas_fill_17rocblas_diagonal_T1_iil.uses_vcc, 1
	.set _ZN9rocsolver6v33100L18trti2_kernel_smallILi22EfPKPfEEv13rocblas_fill_17rocblas_diagonal_T1_iil.uses_flat_scratch, 0
	.set _ZN9rocsolver6v33100L18trti2_kernel_smallILi22EfPKPfEEv13rocblas_fill_17rocblas_diagonal_T1_iil.has_dyn_sized_stack, 0
	.set _ZN9rocsolver6v33100L18trti2_kernel_smallILi22EfPKPfEEv13rocblas_fill_17rocblas_diagonal_T1_iil.has_recursion, 0
	.set _ZN9rocsolver6v33100L18trti2_kernel_smallILi22EfPKPfEEv13rocblas_fill_17rocblas_diagonal_T1_iil.has_indirect_call, 0
	.section	.AMDGPU.csdata,"",@progbits
; Kernel info:
; codeLenInByte = 30124
; TotalNumSgprs: 56
; NumVgprs: 128
; ScratchSize: 0
; MemoryBound: 0
; FloatMode: 240
; IeeeMode: 1
; LDSByteSize: 184 bytes/workgroup (compile time only)
; SGPRBlocks: 6
; VGPRBlocks: 31
; NumSGPRsForWavesPerEU: 56
; NumVGPRsForWavesPerEU: 128
; Occupancy: 2
; WaveLimiterHint : 1
; COMPUTE_PGM_RSRC2:SCRATCH_EN: 0
; COMPUTE_PGM_RSRC2:USER_SGPR: 6
; COMPUTE_PGM_RSRC2:TRAP_HANDLER: 0
; COMPUTE_PGM_RSRC2:TGID_X_EN: 1
; COMPUTE_PGM_RSRC2:TGID_Y_EN: 0
; COMPUTE_PGM_RSRC2:TGID_Z_EN: 0
; COMPUTE_PGM_RSRC2:TIDIG_COMP_CNT: 0
	.section	.text._ZN9rocsolver6v33100L18trti2_kernel_smallILi23EfPKPfEEv13rocblas_fill_17rocblas_diagonal_T1_iil,"axG",@progbits,_ZN9rocsolver6v33100L18trti2_kernel_smallILi23EfPKPfEEv13rocblas_fill_17rocblas_diagonal_T1_iil,comdat
	.globl	_ZN9rocsolver6v33100L18trti2_kernel_smallILi23EfPKPfEEv13rocblas_fill_17rocblas_diagonal_T1_iil ; -- Begin function _ZN9rocsolver6v33100L18trti2_kernel_smallILi23EfPKPfEEv13rocblas_fill_17rocblas_diagonal_T1_iil
	.p2align	8
	.type	_ZN9rocsolver6v33100L18trti2_kernel_smallILi23EfPKPfEEv13rocblas_fill_17rocblas_diagonal_T1_iil,@function
_ZN9rocsolver6v33100L18trti2_kernel_smallILi23EfPKPfEEv13rocblas_fill_17rocblas_diagonal_T1_iil: ; @_ZN9rocsolver6v33100L18trti2_kernel_smallILi23EfPKPfEEv13rocblas_fill_17rocblas_diagonal_T1_iil
; %bb.0:
	v_cmp_gt_u32_e32 vcc, 23, v0
	s_and_saveexec_b64 s[0:1], vcc
	s_cbranch_execz .LBB86_562
; %bb.1:
	s_load_dwordx2 s[0:1], s[4:5], 0x10
	s_load_dwordx4 s[48:51], s[4:5], 0x0
	s_ashr_i32 s7, s6, 31
	s_lshl_b64 s[2:3], s[6:7], 3
	v_lshlrev_b32_e32 v34, 2, v0
	s_waitcnt lgkmcnt(0)
	s_ashr_i32 s5, s0, 31
	s_add_u32 s2, s50, s2
	s_addc_u32 s3, s51, s3
	s_load_dwordx2 s[2:3], s[2:3], 0x0
	s_mov_b32 s4, s0
	s_lshl_b64 s[4:5], s[4:5], 2
	v_mov_b32_e32 v35, -1.0
	s_waitcnt lgkmcnt(0)
	s_add_u32 s0, s2, s4
	s_addc_u32 s2, s3, s5
	s_add_i32 s3, s1, s1
	v_add_u32_e32 v1, s3, v0
	v_ashrrev_i32_e32 v2, 31, v1
	v_lshlrev_b64 v[2:3], 2, v[1:2]
	v_add_u32_e32 v1, s1, v1
	v_mov_b32_e32 v4, s2
	v_add_co_u32_e32 v66, vcc, s0, v2
	v_ashrrev_i32_e32 v2, 31, v1
	v_addc_co_u32_e32 v67, vcc, v4, v3, vcc
	v_lshlrev_b64 v[2:3], 2, v[1:2]
	v_add_u32_e32 v1, s1, v1
	v_add_co_u32_e32 v68, vcc, s0, v2
	v_ashrrev_i32_e32 v2, 31, v1
	v_addc_co_u32_e32 v69, vcc, v4, v3, vcc
	v_lshlrev_b64 v[2:3], 2, v[1:2]
	v_add_u32_e32 v1, s1, v1
	;; [unrolled: 5-line block ×19, first 2 shown]
	v_add_co_u32_e32 v104, vcc, s0, v2
	v_ashrrev_i32_e32 v2, 31, v1
	v_lshlrev_b64 v[1:2], 2, v[1:2]
	v_addc_co_u32_e32 v105, vcc, v4, v3, vcc
	v_mov_b32_e32 v3, s2
	v_add_co_u32_e32 v106, vcc, s0, v1
	v_addc_co_u32_e32 v107, vcc, v3, v2, vcc
	v_mov_b32_e32 v1, s2
	v_add_co_u32_e32 v108, vcc, s0, v34
	s_ashr_i32 s3, s1, 31
	s_mov_b32 s2, s1
	v_addc_co_u32_e32 v109, vcc, 0, v1, vcc
	s_lshl_b64 s[0:1], s[2:3], 2
	v_mov_b32_e32 v1, s1
	v_add_co_u32_e32 v110, vcc, s0, v108
	v_addc_co_u32_e32 v111, vcc, v109, v1, vcc
	flat_load_dword v2, v[108:109]
	flat_load_dword v3, v[110:111]
	;; [unrolled: 1-line block ×23, first 2 shown]
	s_cmpk_lg_i32 s49, 0x84
	v_mov_b32_e32 v1, 0
	s_cselect_b64 s[50:51], -1, 0
	s_cmpk_eq_i32 s49, 0x84
	v_cmp_eq_u32_e64 s[0:1], 0, v0
	s_cbranch_scc1 .LBB86_3
; %bb.2:
	v_cmp_eq_u32_e64 s[2:3], 1, v0
	s_waitcnt vmcnt(0) lgkmcnt(0)
	v_cndmask_b32_e64 v25, v2, v3, s[2:3]
	v_cmp_eq_u32_e64 s[4:5], 2, v0
	v_cndmask_b32_e64 v25, v25, v4, s[4:5]
	v_cmp_eq_u32_e64 s[6:7], 3, v0
	;; [unrolled: 2-line block ×21, first 2 shown]
	v_cndmask_b32_e64 v25, v25, v24, s[46:47]
	v_div_scale_f32 v26, s[52:53], v25, v25, 1.0
	v_div_scale_f32 v27, vcc, 1.0, v25, 1.0
	v_rcp_f32_e32 v28, v26
	v_fma_f32 v29, -v26, v28, 1.0
	v_fmac_f32_e32 v28, v29, v28
	v_mul_f32_e32 v29, v27, v28
	v_fma_f32 v30, -v26, v29, v27
	v_fmac_f32_e32 v29, v30, v28
	v_fma_f32 v26, -v26, v29, v27
	v_div_fmas_f32 v26, v26, v28, v29
	v_div_fixup_f32 v25, v26, v25, 1.0
	v_cndmask_b32_e64 v24, v24, v25, s[46:47]
	v_cndmask_b32_e64 v23, v23, v25, s[44:45]
	;; [unrolled: 1-line block ×23, first 2 shown]
	v_xor_b32_e32 v35, 0x80000000, v25
.LBB86_3:
	s_cmpk_eq_i32 s48, 0x79
	v_add_u32_e32 v112, 0x60, v34
	ds_write_b32 v34, v35
	s_cbranch_scc1 .LBB86_7
; %bb.4:
	s_waitcnt vmcnt(0) lgkmcnt(0)
	v_mov_b32_e32 v65, v33
	v_mov_b32_e32 v64, v32
	;; [unrolled: 1-line block ×32, first 2 shown]
	v_cmp_eq_u32_e64 s[0:1], 22, v0
	ds_write_b32 v112, v23
	s_waitcnt lgkmcnt(0)
	; wave barrier
	s_and_saveexec_b64 s[2:3], s[0:1]
	s_cbranch_execz .LBB86_11
; %bb.5:
	s_and_b64 vcc, exec, s[50:51]
	s_cbranch_vccz .LBB86_8
; %bb.6:
	v_cmp_eq_u32_e32 vcc, 1, v0
	v_cndmask_b32_e32 v34, v2, v3, vcc
	v_cmp_eq_u32_e32 vcc, 2, v0
	v_cndmask_b32_e32 v34, v34, v4, vcc
	;; [unrolled: 2-line block ×18, first 2 shown]
	v_cmp_eq_u32_e32 vcc, 19, v0
	ds_read_b32 v35, v112
	v_cndmask_b32_e32 v34, v34, v21, vcc
	v_cmp_eq_u32_e32 vcc, 20, v0
	v_cndmask_b32_e32 v34, v34, v22, vcc
	v_cmp_eq_u32_e32 vcc, 21, v0
	;; [unrolled: 2-line block ×3, first 2 shown]
	v_cndmask_b32_e32 v34, v34, v24, vcc
	s_waitcnt lgkmcnt(0)
	v_mul_f32_e32 v38, v34, v35
	s_cbranch_execz .LBB86_9
	s_branch .LBB86_10
.LBB86_7:
                                        ; implicit-def: $vgpr34_vgpr35_vgpr36_vgpr37_vgpr38_vgpr39_vgpr40_vgpr41_vgpr42_vgpr43_vgpr44_vgpr45_vgpr46_vgpr47_vgpr48_vgpr49_vgpr50_vgpr51_vgpr52_vgpr53_vgpr54_vgpr55_vgpr56_vgpr57_vgpr58_vgpr59_vgpr60_vgpr61_vgpr62_vgpr63_vgpr64_vgpr65
	s_cbranch_execnz .LBB86_338
	s_branch .LBB86_561
.LBB86_8:
                                        ; implicit-def: $vgpr38
.LBB86_9:
	ds_read_b32 v38, v112
.LBB86_10:
	v_mov_b32_e32 v34, 0
	ds_read_b32 v39, v34 offset:84
	v_mov_b32_e32 v34, v2
	v_mov_b32_e32 v35, v3
	;; [unrolled: 1-line block ×4, first 2 shown]
	s_waitcnt lgkmcnt(0)
	v_mul_f32_e32 v55, v38, v39
	v_mov_b32_e32 v38, v6
	v_mov_b32_e32 v39, v7
	;; [unrolled: 1-line block ×18, first 2 shown]
.LBB86_11:
	s_or_b64 exec, exec, s[2:3]
	v_cmp_lt_u32_e64 s[2:3], 20, v0
	ds_write_b32 v112, v54
	s_waitcnt lgkmcnt(0)
	; wave barrier
	s_and_saveexec_b64 s[4:5], s[2:3]
	s_cbranch_execz .LBB86_17
; %bb.12:
	s_andn2_b64 vcc, exec, s[50:51]
	s_cbranch_vccnz .LBB86_14
; %bb.13:
	v_cmp_eq_u32_e32 vcc, 1, v0
	v_cndmask_b32_e32 v57, v34, v35, vcc
	v_cmp_eq_u32_e32 vcc, 2, v0
	v_cndmask_b32_e32 v57, v57, v36, vcc
	;; [unrolled: 2-line block ×20, first 2 shown]
	ds_read_b32 v57, v112
	v_cmp_eq_u32_e32 vcc, 21, v0
	v_cndmask_b32_e32 v54, v54, v55, vcc
	v_cmp_eq_u32_e32 vcc, 22, v0
	v_cndmask_b32_e32 v54, v54, v56, vcc
	s_waitcnt lgkmcnt(0)
	v_mul_f32_e32 v54, v54, v57
	s_cbranch_execz .LBB86_15
	s_branch .LBB86_16
.LBB86_14:
                                        ; implicit-def: $vgpr54
.LBB86_15:
	ds_read_b32 v54, v112
.LBB86_16:
	v_mov_b32_e32 v57, 0
	ds_read2_b32 v[57:58], v57 offset0:20 offset1:45
	s_waitcnt lgkmcnt(0)
	v_fma_f32 v58, v55, v58, v54
	v_cndmask_b32_e64 v54, v54, v58, s[0:1]
	v_mul_f32_e32 v54, v54, v57
.LBB86_17:
	s_or_b64 exec, exec, s[4:5]
	v_cmp_lt_u32_e64 s[0:1], 19, v0
	ds_write_b32 v112, v53
	s_waitcnt lgkmcnt(0)
	; wave barrier
	s_and_saveexec_b64 s[4:5], s[0:1]
	s_cbranch_execz .LBB86_33
; %bb.18:
	s_andn2_b64 vcc, exec, s[50:51]
	s_cbranch_vccnz .LBB86_20
; %bb.19:
	v_cmp_eq_u32_e32 vcc, 1, v0
	v_cndmask_b32_e32 v113, v34, v35, vcc
	v_cmp_eq_u32_e32 vcc, 2, v0
	v_cndmask_b32_e32 v113, v113, v36, vcc
	;; [unrolled: 2-line block ×18, first 2 shown]
	v_cmp_eq_u32_e32 vcc, 19, v0
	ds_read_b32 v114, v112
	v_cndmask_b32_e32 v113, v113, v53, vcc
	v_cmp_eq_u32_e32 vcc, 20, v0
	v_cndmask_b32_e32 v113, v113, v54, vcc
	v_cmp_eq_u32_e32 vcc, 21, v0
	;; [unrolled: 2-line block ×3, first 2 shown]
	v_cndmask_b32_e32 v113, v113, v56, vcc
	s_waitcnt lgkmcnt(0)
	v_mul_f32_e32 v113, v113, v114
	s_cbranch_execz .LBB86_21
	s_branch .LBB86_22
.LBB86_20:
                                        ; implicit-def: $vgpr113
.LBB86_21:
	ds_read_b32 v113, v112
.LBB86_22:
	s_and_saveexec_b64 s[6:7], s[2:3]
	s_cbranch_execz .LBB86_32
; %bb.23:
	v_subrev_u32_e32 v116, 21, v0
	v_mov_b32_e32 v114, 20
	v_subrev_u32_e32 v115, 20, v0
	v_cmp_lt_u32_e32 vcc, 6, v116
	s_and_saveexec_b64 s[2:3], vcc
	s_cbranch_execz .LBB86_27
; %bb.24:
	v_and_b32_e32 v114, -8, v115
	v_sub_u32_e32 v116, 0, v114
	s_mov_b64 s[8:9], 27
	s_movk_i32 s12, 0xb0
	s_mov_b64 s[10:11], 0
.LBB86_25:                              ; =>This Inner Loop Header: Depth=1
	s_add_i32 s13, s8, -7
	v_mov_b32_e32 v121, s12
	s_set_gpr_idx_on s13, gpr_idx(SRC0)
	v_mov_b32_e32 v114, v34
	s_set_gpr_idx_off
	ds_read_b128 v[117:120], v121
	ds_read_b128 v[121:124], v121 offset:16
	s_add_i32 s13, s8, -6
	s_waitcnt lgkmcnt(1)
	v_fmac_f32_e32 v113, v114, v117
	s_set_gpr_idx_on s13, gpr_idx(SRC0)
	v_mov_b32_e32 v114, v34
	s_set_gpr_idx_off
	s_add_i32 s13, s8, -5
	v_fmac_f32_e32 v113, v114, v118
	s_set_gpr_idx_on s13, gpr_idx(SRC0)
	v_mov_b32_e32 v114, v34
	s_set_gpr_idx_off
	s_add_i32 s13, s8, -4
	;; [unrolled: 5-line block ×4, first 2 shown]
	s_waitcnt lgkmcnt(0)
	v_fmac_f32_e32 v113, v114, v121
	s_set_gpr_idx_on s13, gpr_idx(SRC0)
	v_mov_b32_e32 v114, v34
	s_set_gpr_idx_off
	s_add_i32 s13, s8, -1
	v_fmac_f32_e32 v113, v114, v122
	s_set_gpr_idx_on s13, gpr_idx(SRC0)
	v_mov_b32_e32 v114, v34
	s_set_gpr_idx_off
	v_fmac_f32_e32 v113, v114, v123
	s_set_gpr_idx_on s8, gpr_idx(SRC0)
	v_mov_b32_e32 v114, v34
	s_set_gpr_idx_off
	s_add_u32 s8, s8, 8
	v_fmac_f32_e32 v113, v114, v124
	v_add_u32_e32 v114, s8, v116
	s_addc_u32 s9, s9, 0
	s_add_i32 s12, s12, 32
	v_cmp_eq_u32_e32 vcc, 27, v114
	s_add_i32 s13, s8, -7
	s_or_b64 s[10:11], vcc, s[10:11]
	v_mov_b32_e32 v114, s13
	s_andn2_b64 exec, exec, s[10:11]
	s_cbranch_execnz .LBB86_25
; %bb.26:
	s_or_b64 exec, exec, s[10:11]
.LBB86_27:
	s_or_b64 exec, exec, s[2:3]
	v_and_b32_e32 v57, 7, v115
	v_cmp_ne_u32_e32 vcc, 0, v57
	s_and_saveexec_b64 s[8:9], vcc
	s_cbranch_execz .LBB86_31
; %bb.28:
	v_mov_b32_e32 v58, 0x60
	v_lshl_add_u32 v58, v114, 2, v58
	v_mov_b32_e32 v59, 0
	s_mov_b64 s[10:11], 0
.LBB86_29:                              ; =>This Inner Loop Header: Depth=1
	v_cmp_eq_u32_e32 vcc, 1, v114
	v_cndmask_b32_e32 v60, v34, v35, vcc
	v_add_u32_e32 v57, -1, v57
	v_cmp_eq_u32_e32 vcc, 2, v114
	v_cndmask_b32_e32 v60, v60, v36, vcc
	v_cmp_eq_u32_e32 vcc, 0, v57
	v_cmp_eq_u32_e64 s[2:3], 3, v114
	v_cndmask_b32_e64 v60, v60, v37, s[2:3]
	s_or_b64 s[10:11], vcc, s[10:11]
	v_cmp_eq_u32_e32 vcc, 4, v114
	v_cndmask_b32_e32 v60, v60, v38, vcc
	v_cmp_eq_u32_e32 vcc, 5, v114
	v_cndmask_b32_e32 v60, v60, v39, vcc
	;; [unrolled: 2-line block ×14, first 2 shown]
	v_cmp_eq_u32_e32 vcc, 18, v114
	ds_read_b32 v61, v58
	v_cndmask_b32_e32 v60, v60, v52, vcc
	v_cmp_eq_u32_e32 vcc, 19, v114
	v_cndmask_b32_e32 v60, v60, v53, vcc
	v_cmp_eq_u32_e32 vcc, 20, v114
	;; [unrolled: 2-line block ×4, first 2 shown]
	v_add_co_u32_e64 v114, s[2:3], 1, v114
	v_cndmask_b32_e32 v60, v60, v56, vcc
	v_add_u32_e32 v58, 4, v58
	v_addc_co_u32_e64 v59, s[2:3], 0, v59, s[2:3]
	s_waitcnt lgkmcnt(0)
	v_fmac_f32_e32 v113, v60, v61
	s_andn2_b64 exec, exec, s[10:11]
	s_cbranch_execnz .LBB86_29
; %bb.30:
	s_or_b64 exec, exec, s[10:11]
.LBB86_31:
	s_or_b64 exec, exec, s[8:9]
.LBB86_32:
	s_or_b64 exec, exec, s[6:7]
	v_mov_b32_e32 v53, 0
	ds_read_b32 v53, v53 offset:76
	s_waitcnt lgkmcnt(0)
	v_mul_f32_e32 v53, v113, v53
.LBB86_33:
	s_or_b64 exec, exec, s[4:5]
	v_cmp_lt_u32_e64 s[2:3], 18, v0
	ds_write_b32 v112, v52
	s_waitcnt lgkmcnt(0)
	; wave barrier
	s_and_saveexec_b64 s[4:5], s[2:3]
	s_cbranch_execz .LBB86_49
; %bb.34:
	s_andn2_b64 vcc, exec, s[50:51]
	s_cbranch_vccnz .LBB86_36
; %bb.35:
	v_cmp_eq_u32_e32 vcc, 1, v0
	v_cndmask_b32_e32 v113, v34, v35, vcc
	v_cmp_eq_u32_e32 vcc, 2, v0
	v_cndmask_b32_e32 v113, v113, v36, vcc
	;; [unrolled: 2-line block ×18, first 2 shown]
	v_cmp_eq_u32_e32 vcc, 19, v0
	ds_read_b32 v114, v112
	v_cndmask_b32_e32 v113, v113, v53, vcc
	v_cmp_eq_u32_e32 vcc, 20, v0
	v_cndmask_b32_e32 v113, v113, v54, vcc
	v_cmp_eq_u32_e32 vcc, 21, v0
	;; [unrolled: 2-line block ×3, first 2 shown]
	v_cndmask_b32_e32 v113, v113, v56, vcc
	s_waitcnt lgkmcnt(0)
	v_mul_f32_e32 v113, v113, v114
	s_cbranch_execz .LBB86_37
	s_branch .LBB86_38
.LBB86_36:
                                        ; implicit-def: $vgpr113
.LBB86_37:
	ds_read_b32 v113, v112
.LBB86_38:
	s_and_saveexec_b64 s[6:7], s[0:1]
	s_cbranch_execz .LBB86_48
; %bb.39:
	v_subrev_u32_e32 v116, 20, v0
	v_mov_b32_e32 v114, 19
	v_subrev_u32_e32 v115, 19, v0
	v_cmp_lt_u32_e32 vcc, 6, v116
	s_and_saveexec_b64 s[0:1], vcc
	s_cbranch_execz .LBB86_43
; %bb.40:
	v_and_b32_e32 v114, -8, v115
	v_sub_u32_e32 v116, 0, v114
	s_mov_b64 s[8:9], 26
	s_movk_i32 s12, 0xac
	s_mov_b64 s[10:11], 0
.LBB86_41:                              ; =>This Inner Loop Header: Depth=1
	s_add_i32 s13, s8, -7
	v_mov_b32_e32 v114, s12
	s_add_i32 s14, s8, -6
	s_set_gpr_idx_on s13, gpr_idx(SRC0)
	v_mov_b32_e32 v123, v34
	s_set_gpr_idx_off
	ds_read2_b32 v[117:118], v114 offset1:1
	s_add_i32 s15, s8, -5
	s_set_gpr_idx_on s14, gpr_idx(SRC0)
	v_mov_b32_e32 v124, v34
	s_set_gpr_idx_off
	s_add_i32 s16, s8, -4
	s_set_gpr_idx_on s15, gpr_idx(SRC0)
	v_mov_b32_e32 v125, v34
	s_set_gpr_idx_off
	ds_read2_b32 v[119:120], v114 offset0:2 offset1:3
	s_add_i32 s17, s8, -3
	s_set_gpr_idx_on s16, gpr_idx(SRC0)
	v_mov_b32_e32 v126, v34
	s_set_gpr_idx_off
	s_add_i32 s18, s8, -2
	s_set_gpr_idx_on s17, gpr_idx(SRC0)
	v_mov_b32_e32 v127, v34
	s_set_gpr_idx_off
	ds_read2_b32 v[121:122], v114 offset0:4 offset1:5
	s_add_i32 s19, s8, -1
	s_waitcnt lgkmcnt(2)
	v_fmac_f32_e32 v113, v123, v117
	s_set_gpr_idx_on s18, gpr_idx(SRC0)
	v_mov_b32_e32 v123, v34
	s_set_gpr_idx_off
	v_fmac_f32_e32 v113, v124, v118
	s_set_gpr_idx_on s19, gpr_idx(SRC0)
	v_mov_b32_e32 v124, v34
	s_set_gpr_idx_off
	ds_read2_b32 v[117:118], v114 offset0:6 offset1:7
	s_waitcnt lgkmcnt(2)
	v_fmac_f32_e32 v113, v125, v119
	s_set_gpr_idx_on s8, gpr_idx(SRC0)
	v_mov_b32_e32 v119, v34
	s_set_gpr_idx_off
	v_fmac_f32_e32 v113, v126, v120
	s_add_u32 s8, s8, 8
	s_waitcnt lgkmcnt(1)
	v_fmac_f32_e32 v113, v127, v121
	v_add_u32_e32 v114, s8, v116
	v_fmac_f32_e32 v113, v123, v122
	s_addc_u32 s9, s9, 0
	s_add_i32 s12, s12, 32
	s_add_i32 s13, s8, -7
	v_cmp_eq_u32_e32 vcc, 26, v114
	s_waitcnt lgkmcnt(0)
	v_fmac_f32_e32 v113, v124, v117
	v_mov_b32_e32 v114, s13
	s_or_b64 s[10:11], vcc, s[10:11]
	v_fmac_f32_e32 v113, v119, v118
	s_andn2_b64 exec, exec, s[10:11]
	s_cbranch_execnz .LBB86_41
; %bb.42:
	s_or_b64 exec, exec, s[10:11]
.LBB86_43:
	s_or_b64 exec, exec, s[0:1]
	v_and_b32_e32 v57, 7, v115
	v_cmp_ne_u32_e32 vcc, 0, v57
	s_and_saveexec_b64 s[8:9], vcc
	s_cbranch_execz .LBB86_47
; %bb.44:
	v_mov_b32_e32 v58, 0x60
	v_lshl_add_u32 v58, v114, 2, v58
	v_mov_b32_e32 v59, 0
	s_mov_b64 s[10:11], 0
.LBB86_45:                              ; =>This Inner Loop Header: Depth=1
	v_cmp_eq_u32_e32 vcc, 1, v114
	v_cndmask_b32_e32 v60, v34, v35, vcc
	v_add_u32_e32 v57, -1, v57
	v_cmp_eq_u32_e32 vcc, 2, v114
	v_cndmask_b32_e32 v60, v60, v36, vcc
	v_cmp_eq_u32_e32 vcc, 0, v57
	v_cmp_eq_u32_e64 s[0:1], 3, v114
	v_cndmask_b32_e64 v60, v60, v37, s[0:1]
	s_or_b64 s[10:11], vcc, s[10:11]
	v_cmp_eq_u32_e32 vcc, 4, v114
	v_cndmask_b32_e32 v60, v60, v38, vcc
	v_cmp_eq_u32_e32 vcc, 5, v114
	v_cndmask_b32_e32 v60, v60, v39, vcc
	;; [unrolled: 2-line block ×14, first 2 shown]
	v_cmp_eq_u32_e32 vcc, 18, v114
	ds_read_b32 v61, v58
	v_cndmask_b32_e32 v60, v60, v52, vcc
	v_cmp_eq_u32_e32 vcc, 19, v114
	v_cndmask_b32_e32 v60, v60, v53, vcc
	v_cmp_eq_u32_e32 vcc, 20, v114
	;; [unrolled: 2-line block ×4, first 2 shown]
	v_add_co_u32_e64 v114, s[0:1], 1, v114
	v_cndmask_b32_e32 v60, v60, v56, vcc
	v_add_u32_e32 v58, 4, v58
	v_addc_co_u32_e64 v59, s[0:1], 0, v59, s[0:1]
	s_waitcnt lgkmcnt(0)
	v_fmac_f32_e32 v113, v60, v61
	s_andn2_b64 exec, exec, s[10:11]
	s_cbranch_execnz .LBB86_45
; %bb.46:
	s_or_b64 exec, exec, s[10:11]
.LBB86_47:
	s_or_b64 exec, exec, s[8:9]
.LBB86_48:
	s_or_b64 exec, exec, s[6:7]
	v_mov_b32_e32 v52, 0
	ds_read_b32 v52, v52 offset:72
	s_waitcnt lgkmcnt(0)
	v_mul_f32_e32 v52, v113, v52
.LBB86_49:
	s_or_b64 exec, exec, s[4:5]
	v_cmp_lt_u32_e64 s[0:1], 17, v0
	ds_write_b32 v112, v51
	s_waitcnt lgkmcnt(0)
	; wave barrier
	s_and_saveexec_b64 s[4:5], s[0:1]
	s_cbranch_execz .LBB86_65
; %bb.50:
	s_andn2_b64 vcc, exec, s[50:51]
	s_cbranch_vccnz .LBB86_52
; %bb.51:
	v_cmp_eq_u32_e32 vcc, 1, v0
	v_cndmask_b32_e32 v113, v34, v35, vcc
	v_cmp_eq_u32_e32 vcc, 2, v0
	v_cndmask_b32_e32 v113, v113, v36, vcc
	;; [unrolled: 2-line block ×18, first 2 shown]
	v_cmp_eq_u32_e32 vcc, 19, v0
	ds_read_b32 v114, v112
	v_cndmask_b32_e32 v113, v113, v53, vcc
	v_cmp_eq_u32_e32 vcc, 20, v0
	v_cndmask_b32_e32 v113, v113, v54, vcc
	v_cmp_eq_u32_e32 vcc, 21, v0
	v_cndmask_b32_e32 v113, v113, v55, vcc
	v_cmp_eq_u32_e32 vcc, 22, v0
	v_cndmask_b32_e32 v113, v113, v56, vcc
	s_waitcnt lgkmcnt(0)
	v_mul_f32_e32 v113, v113, v114
	s_cbranch_execz .LBB86_53
	s_branch .LBB86_54
.LBB86_52:
                                        ; implicit-def: $vgpr113
.LBB86_53:
	ds_read_b32 v113, v112
.LBB86_54:
	s_and_saveexec_b64 s[6:7], s[2:3]
	s_cbranch_execz .LBB86_64
; %bb.55:
	v_subrev_u32_e32 v116, 19, v0
	v_mov_b32_e32 v114, 18
	v_subrev_u32_e32 v115, 18, v0
	v_cmp_lt_u32_e32 vcc, 6, v116
	s_and_saveexec_b64 s[2:3], vcc
	s_cbranch_execz .LBB86_59
; %bb.56:
	v_and_b32_e32 v114, -8, v115
	v_sub_u32_e32 v116, 0, v114
	s_mov_b64 s[8:9], 25
	s_movk_i32 s12, 0xa8
	s_mov_b64 s[10:11], 0
.LBB86_57:                              ; =>This Inner Loop Header: Depth=1
	s_add_i32 s13, s8, -7
	v_mov_b32_e32 v121, s12
	s_set_gpr_idx_on s13, gpr_idx(SRC0)
	v_mov_b32_e32 v114, v34
	s_set_gpr_idx_off
	ds_read2_b64 v[117:120], v121 offset1:1
	s_add_i32 s13, s8, -6
	s_waitcnt lgkmcnt(0)
	v_fmac_f32_e32 v113, v114, v117
	s_set_gpr_idx_on s13, gpr_idx(SRC0)
	v_mov_b32_e32 v114, v34
	s_set_gpr_idx_off
	s_add_i32 s13, s8, -5
	v_fmac_f32_e32 v113, v114, v118
	s_set_gpr_idx_on s13, gpr_idx(SRC0)
	v_mov_b32_e32 v114, v34
	s_set_gpr_idx_off
	s_add_i32 s13, s8, -4
	;; [unrolled: 5-line block ×3, first 2 shown]
	v_fmac_f32_e32 v113, v114, v120
	s_set_gpr_idx_on s13, gpr_idx(SRC0)
	v_mov_b32_e32 v114, v34
	s_set_gpr_idx_off
	ds_read2_b64 v[117:120], v121 offset0:2 offset1:3
	s_add_i32 s13, s8, -2
	s_waitcnt lgkmcnt(0)
	v_fmac_f32_e32 v113, v114, v117
	s_set_gpr_idx_on s13, gpr_idx(SRC0)
	v_mov_b32_e32 v114, v34
	s_set_gpr_idx_off
	s_add_i32 s13, s8, -1
	v_fmac_f32_e32 v113, v114, v118
	s_set_gpr_idx_on s13, gpr_idx(SRC0)
	v_mov_b32_e32 v114, v34
	s_set_gpr_idx_off
	v_fmac_f32_e32 v113, v114, v119
	s_set_gpr_idx_on s8, gpr_idx(SRC0)
	v_mov_b32_e32 v114, v34
	s_set_gpr_idx_off
	s_add_u32 s8, s8, 8
	v_fmac_f32_e32 v113, v114, v120
	v_add_u32_e32 v114, s8, v116
	s_addc_u32 s9, s9, 0
	s_add_i32 s12, s12, 32
	v_cmp_eq_u32_e32 vcc, 25, v114
	s_add_i32 s13, s8, -7
	s_or_b64 s[10:11], vcc, s[10:11]
	v_mov_b32_e32 v114, s13
	s_andn2_b64 exec, exec, s[10:11]
	s_cbranch_execnz .LBB86_57
; %bb.58:
	s_or_b64 exec, exec, s[10:11]
.LBB86_59:
	s_or_b64 exec, exec, s[2:3]
	v_and_b32_e32 v57, 7, v115
	v_cmp_ne_u32_e32 vcc, 0, v57
	s_and_saveexec_b64 s[8:9], vcc
	s_cbranch_execz .LBB86_63
; %bb.60:
	v_mov_b32_e32 v58, 0x60
	v_lshl_add_u32 v58, v114, 2, v58
	v_mov_b32_e32 v59, 0
	s_mov_b64 s[10:11], 0
.LBB86_61:                              ; =>This Inner Loop Header: Depth=1
	v_cmp_eq_u32_e32 vcc, 1, v114
	v_cndmask_b32_e32 v60, v34, v35, vcc
	v_add_u32_e32 v57, -1, v57
	v_cmp_eq_u32_e32 vcc, 2, v114
	v_cndmask_b32_e32 v60, v60, v36, vcc
	v_cmp_eq_u32_e32 vcc, 0, v57
	v_cmp_eq_u32_e64 s[2:3], 3, v114
	v_cndmask_b32_e64 v60, v60, v37, s[2:3]
	s_or_b64 s[10:11], vcc, s[10:11]
	v_cmp_eq_u32_e32 vcc, 4, v114
	v_cndmask_b32_e32 v60, v60, v38, vcc
	v_cmp_eq_u32_e32 vcc, 5, v114
	v_cndmask_b32_e32 v60, v60, v39, vcc
	;; [unrolled: 2-line block ×14, first 2 shown]
	v_cmp_eq_u32_e32 vcc, 18, v114
	ds_read_b32 v61, v58
	v_cndmask_b32_e32 v60, v60, v52, vcc
	v_cmp_eq_u32_e32 vcc, 19, v114
	v_cndmask_b32_e32 v60, v60, v53, vcc
	v_cmp_eq_u32_e32 vcc, 20, v114
	;; [unrolled: 2-line block ×4, first 2 shown]
	v_add_co_u32_e64 v114, s[2:3], 1, v114
	v_cndmask_b32_e32 v60, v60, v56, vcc
	v_add_u32_e32 v58, 4, v58
	v_addc_co_u32_e64 v59, s[2:3], 0, v59, s[2:3]
	s_waitcnt lgkmcnt(0)
	v_fmac_f32_e32 v113, v60, v61
	s_andn2_b64 exec, exec, s[10:11]
	s_cbranch_execnz .LBB86_61
; %bb.62:
	s_or_b64 exec, exec, s[10:11]
.LBB86_63:
	s_or_b64 exec, exec, s[8:9]
.LBB86_64:
	s_or_b64 exec, exec, s[6:7]
	v_mov_b32_e32 v51, 0
	ds_read_b32 v51, v51 offset:68
	s_waitcnt lgkmcnt(0)
	v_mul_f32_e32 v51, v113, v51
.LBB86_65:
	s_or_b64 exec, exec, s[4:5]
	v_cmp_lt_u32_e64 s[2:3], 16, v0
	ds_write_b32 v112, v50
	s_waitcnt lgkmcnt(0)
	; wave barrier
	s_and_saveexec_b64 s[4:5], s[2:3]
	s_cbranch_execz .LBB86_81
; %bb.66:
	s_andn2_b64 vcc, exec, s[50:51]
	s_cbranch_vccnz .LBB86_68
; %bb.67:
	v_cmp_eq_u32_e32 vcc, 1, v0
	v_cndmask_b32_e32 v113, v34, v35, vcc
	v_cmp_eq_u32_e32 vcc, 2, v0
	v_cndmask_b32_e32 v113, v113, v36, vcc
	;; [unrolled: 2-line block ×18, first 2 shown]
	v_cmp_eq_u32_e32 vcc, 19, v0
	ds_read_b32 v114, v112
	v_cndmask_b32_e32 v113, v113, v53, vcc
	v_cmp_eq_u32_e32 vcc, 20, v0
	v_cndmask_b32_e32 v113, v113, v54, vcc
	v_cmp_eq_u32_e32 vcc, 21, v0
	;; [unrolled: 2-line block ×3, first 2 shown]
	v_cndmask_b32_e32 v113, v113, v56, vcc
	s_waitcnt lgkmcnt(0)
	v_mul_f32_e32 v113, v113, v114
	s_cbranch_execz .LBB86_69
	s_branch .LBB86_70
.LBB86_68:
                                        ; implicit-def: $vgpr113
.LBB86_69:
	ds_read_b32 v113, v112
.LBB86_70:
	s_and_saveexec_b64 s[6:7], s[0:1]
	s_cbranch_execz .LBB86_80
; %bb.71:
	v_subrev_u32_e32 v116, 18, v0
	v_mov_b32_e32 v114, 17
	v_subrev_u32_e32 v115, 17, v0
	v_cmp_lt_u32_e32 vcc, 6, v116
	s_and_saveexec_b64 s[0:1], vcc
	s_cbranch_execz .LBB86_75
; %bb.72:
	v_and_b32_e32 v114, -8, v115
	v_sub_u32_e32 v116, 0, v114
	s_mov_b64 s[8:9], 24
	s_movk_i32 s12, 0xa4
	s_mov_b64 s[10:11], 0
.LBB86_73:                              ; =>This Inner Loop Header: Depth=1
	s_add_i32 s13, s8, -7
	v_mov_b32_e32 v114, s12
	s_add_i32 s14, s8, -6
	s_set_gpr_idx_on s13, gpr_idx(SRC0)
	v_mov_b32_e32 v123, v34
	s_set_gpr_idx_off
	ds_read2_b32 v[117:118], v114 offset1:1
	s_add_i32 s15, s8, -5
	s_set_gpr_idx_on s14, gpr_idx(SRC0)
	v_mov_b32_e32 v124, v34
	s_set_gpr_idx_off
	s_add_i32 s16, s8, -4
	s_set_gpr_idx_on s15, gpr_idx(SRC0)
	v_mov_b32_e32 v125, v34
	s_set_gpr_idx_off
	ds_read2_b32 v[119:120], v114 offset0:2 offset1:3
	s_add_i32 s17, s8, -3
	s_set_gpr_idx_on s16, gpr_idx(SRC0)
	v_mov_b32_e32 v126, v34
	s_set_gpr_idx_off
	s_add_i32 s18, s8, -2
	s_set_gpr_idx_on s17, gpr_idx(SRC0)
	v_mov_b32_e32 v127, v34
	s_set_gpr_idx_off
	ds_read2_b32 v[121:122], v114 offset0:4 offset1:5
	s_add_i32 s19, s8, -1
	s_waitcnt lgkmcnt(2)
	v_fmac_f32_e32 v113, v123, v117
	s_set_gpr_idx_on s18, gpr_idx(SRC0)
	v_mov_b32_e32 v123, v34
	s_set_gpr_idx_off
	v_fmac_f32_e32 v113, v124, v118
	s_set_gpr_idx_on s19, gpr_idx(SRC0)
	v_mov_b32_e32 v124, v34
	s_set_gpr_idx_off
	ds_read2_b32 v[117:118], v114 offset0:6 offset1:7
	s_waitcnt lgkmcnt(2)
	v_fmac_f32_e32 v113, v125, v119
	s_set_gpr_idx_on s8, gpr_idx(SRC0)
	v_mov_b32_e32 v119, v34
	s_set_gpr_idx_off
	v_fmac_f32_e32 v113, v126, v120
	s_add_u32 s8, s8, 8
	s_waitcnt lgkmcnt(1)
	v_fmac_f32_e32 v113, v127, v121
	v_add_u32_e32 v114, s8, v116
	v_fmac_f32_e32 v113, v123, v122
	s_addc_u32 s9, s9, 0
	s_add_i32 s12, s12, 32
	s_add_i32 s13, s8, -7
	v_cmp_eq_u32_e32 vcc, 24, v114
	s_waitcnt lgkmcnt(0)
	v_fmac_f32_e32 v113, v124, v117
	v_mov_b32_e32 v114, s13
	s_or_b64 s[10:11], vcc, s[10:11]
	v_fmac_f32_e32 v113, v119, v118
	s_andn2_b64 exec, exec, s[10:11]
	s_cbranch_execnz .LBB86_73
; %bb.74:
	s_or_b64 exec, exec, s[10:11]
.LBB86_75:
	s_or_b64 exec, exec, s[0:1]
	v_and_b32_e32 v57, 7, v115
	v_cmp_ne_u32_e32 vcc, 0, v57
	s_and_saveexec_b64 s[8:9], vcc
	s_cbranch_execz .LBB86_79
; %bb.76:
	v_mov_b32_e32 v58, 0x60
	v_lshl_add_u32 v58, v114, 2, v58
	v_mov_b32_e32 v59, 0
	s_mov_b64 s[10:11], 0
.LBB86_77:                              ; =>This Inner Loop Header: Depth=1
	v_cmp_eq_u32_e32 vcc, 1, v114
	v_cndmask_b32_e32 v60, v34, v35, vcc
	v_add_u32_e32 v57, -1, v57
	v_cmp_eq_u32_e32 vcc, 2, v114
	v_cndmask_b32_e32 v60, v60, v36, vcc
	v_cmp_eq_u32_e32 vcc, 0, v57
	v_cmp_eq_u32_e64 s[0:1], 3, v114
	v_cndmask_b32_e64 v60, v60, v37, s[0:1]
	s_or_b64 s[10:11], vcc, s[10:11]
	v_cmp_eq_u32_e32 vcc, 4, v114
	v_cndmask_b32_e32 v60, v60, v38, vcc
	v_cmp_eq_u32_e32 vcc, 5, v114
	v_cndmask_b32_e32 v60, v60, v39, vcc
	;; [unrolled: 2-line block ×14, first 2 shown]
	v_cmp_eq_u32_e32 vcc, 18, v114
	ds_read_b32 v61, v58
	v_cndmask_b32_e32 v60, v60, v52, vcc
	v_cmp_eq_u32_e32 vcc, 19, v114
	v_cndmask_b32_e32 v60, v60, v53, vcc
	v_cmp_eq_u32_e32 vcc, 20, v114
	;; [unrolled: 2-line block ×4, first 2 shown]
	v_add_co_u32_e64 v114, s[0:1], 1, v114
	v_cndmask_b32_e32 v60, v60, v56, vcc
	v_add_u32_e32 v58, 4, v58
	v_addc_co_u32_e64 v59, s[0:1], 0, v59, s[0:1]
	s_waitcnt lgkmcnt(0)
	v_fmac_f32_e32 v113, v60, v61
	s_andn2_b64 exec, exec, s[10:11]
	s_cbranch_execnz .LBB86_77
; %bb.78:
	s_or_b64 exec, exec, s[10:11]
.LBB86_79:
	s_or_b64 exec, exec, s[8:9]
.LBB86_80:
	s_or_b64 exec, exec, s[6:7]
	v_mov_b32_e32 v50, 0
	ds_read_b32 v50, v50 offset:64
	s_waitcnt lgkmcnt(0)
	v_mul_f32_e32 v50, v113, v50
.LBB86_81:
	s_or_b64 exec, exec, s[4:5]
	v_cmp_lt_u32_e64 s[0:1], 15, v0
	ds_write_b32 v112, v49
	s_waitcnt lgkmcnt(0)
	; wave barrier
	s_and_saveexec_b64 s[4:5], s[0:1]
	s_cbranch_execz .LBB86_97
; %bb.82:
	s_andn2_b64 vcc, exec, s[50:51]
	s_cbranch_vccnz .LBB86_84
; %bb.83:
	v_cmp_eq_u32_e32 vcc, 1, v0
	v_cndmask_b32_e32 v113, v34, v35, vcc
	v_cmp_eq_u32_e32 vcc, 2, v0
	v_cndmask_b32_e32 v113, v113, v36, vcc
	;; [unrolled: 2-line block ×18, first 2 shown]
	v_cmp_eq_u32_e32 vcc, 19, v0
	ds_read_b32 v114, v112
	v_cndmask_b32_e32 v113, v113, v53, vcc
	v_cmp_eq_u32_e32 vcc, 20, v0
	v_cndmask_b32_e32 v113, v113, v54, vcc
	v_cmp_eq_u32_e32 vcc, 21, v0
	;; [unrolled: 2-line block ×3, first 2 shown]
	v_cndmask_b32_e32 v113, v113, v56, vcc
	s_waitcnt lgkmcnt(0)
	v_mul_f32_e32 v113, v113, v114
	s_cbranch_execz .LBB86_85
	s_branch .LBB86_86
.LBB86_84:
                                        ; implicit-def: $vgpr113
.LBB86_85:
	ds_read_b32 v113, v112
.LBB86_86:
	s_and_saveexec_b64 s[6:7], s[2:3]
	s_cbranch_execz .LBB86_96
; %bb.87:
	v_subrev_u32_e32 v114, 17, v0
	v_cmp_lt_u32_e32 vcc, 6, v114
	v_mov_b32_e32 v114, 16
	s_and_saveexec_b64 s[2:3], vcc
	s_cbranch_execz .LBB86_91
; %bb.88:
	v_and_b32_e32 v114, 24, v0
	v_sub_u32_e32 v115, 0, v114
	s_mov_b64 s[8:9], 23
	s_movk_i32 s12, 0xa0
	s_mov_b64 s[10:11], 0
.LBB86_89:                              ; =>This Inner Loop Header: Depth=1
	s_add_i32 s13, s8, -7
	v_mov_b32_e32 v114, s12
	s_add_i32 s14, s8, -6
	s_set_gpr_idx_on s13, gpr_idx(SRC0)
	v_mov_b32_e32 v124, v34
	s_set_gpr_idx_off
	s_add_i32 s15, s8, -5
	ds_read_b128 v[116:119], v114
	ds_read_b128 v[120:123], v114 offset:16
	s_set_gpr_idx_on s14, gpr_idx(SRC0)
	v_mov_b32_e32 v114, v34
	s_set_gpr_idx_off
	s_add_i32 s16, s8, -4
	s_set_gpr_idx_on s15, gpr_idx(SRC0)
	v_mov_b32_e32 v125, v34
	s_set_gpr_idx_off
	s_add_i32 s17, s8, -3
	;; [unrolled: 4-line block ×4, first 2 shown]
	s_waitcnt lgkmcnt(1)
	v_fmac_f32_e32 v113, v124, v116
	s_set_gpr_idx_on s18, gpr_idx(SRC0)
	v_mov_b32_e32 v116, v34
	s_set_gpr_idx_off
	v_fmac_f32_e32 v113, v114, v117
	s_set_gpr_idx_on s19, gpr_idx(SRC0)
	v_mov_b32_e32 v117, v34
	s_set_gpr_idx_off
	;; [unrolled: 4-line block ×3, first 2 shown]
	v_fmac_f32_e32 v113, v126, v119
	s_add_u32 s8, s8, 8
	s_waitcnt lgkmcnt(0)
	v_fmac_f32_e32 v113, v127, v120
	v_add_u32_e32 v114, s8, v115
	v_fmac_f32_e32 v113, v116, v121
	s_addc_u32 s9, s9, 0
	s_add_i32 s12, s12, 32
	s_add_i32 s13, s8, -7
	v_cmp_eq_u32_e32 vcc, 7, v114
	v_fmac_f32_e32 v113, v117, v122
	v_mov_b32_e32 v114, s13
	s_or_b64 s[10:11], vcc, s[10:11]
	v_fmac_f32_e32 v113, v118, v123
	s_andn2_b64 exec, exec, s[10:11]
	s_cbranch_execnz .LBB86_89
; %bb.90:
	s_or_b64 exec, exec, s[10:11]
.LBB86_91:
	s_or_b64 exec, exec, s[2:3]
	v_and_b32_e32 v57, 7, v0
	v_cmp_ne_u32_e32 vcc, 0, v57
	s_and_saveexec_b64 s[8:9], vcc
	s_cbranch_execz .LBB86_95
; %bb.92:
	v_mov_b32_e32 v58, 0x60
	v_lshl_add_u32 v58, v114, 2, v58
	v_mov_b32_e32 v59, 0
	s_mov_b64 s[10:11], 0
.LBB86_93:                              ; =>This Inner Loop Header: Depth=1
	v_cmp_eq_u32_e32 vcc, 1, v114
	v_cndmask_b32_e32 v60, v34, v35, vcc
	v_add_u32_e32 v57, -1, v57
	v_cmp_eq_u32_e32 vcc, 2, v114
	v_cndmask_b32_e32 v60, v60, v36, vcc
	v_cmp_eq_u32_e32 vcc, 0, v57
	v_cmp_eq_u32_e64 s[2:3], 3, v114
	v_cndmask_b32_e64 v60, v60, v37, s[2:3]
	s_or_b64 s[10:11], vcc, s[10:11]
	v_cmp_eq_u32_e32 vcc, 4, v114
	v_cndmask_b32_e32 v60, v60, v38, vcc
	v_cmp_eq_u32_e32 vcc, 5, v114
	v_cndmask_b32_e32 v60, v60, v39, vcc
	;; [unrolled: 2-line block ×14, first 2 shown]
	v_cmp_eq_u32_e32 vcc, 18, v114
	ds_read_b32 v61, v58
	v_cndmask_b32_e32 v60, v60, v52, vcc
	v_cmp_eq_u32_e32 vcc, 19, v114
	v_cndmask_b32_e32 v60, v60, v53, vcc
	v_cmp_eq_u32_e32 vcc, 20, v114
	;; [unrolled: 2-line block ×4, first 2 shown]
	v_add_co_u32_e64 v114, s[2:3], 1, v114
	v_cndmask_b32_e32 v60, v60, v56, vcc
	v_add_u32_e32 v58, 4, v58
	v_addc_co_u32_e64 v59, s[2:3], 0, v59, s[2:3]
	s_waitcnt lgkmcnt(0)
	v_fmac_f32_e32 v113, v60, v61
	s_andn2_b64 exec, exec, s[10:11]
	s_cbranch_execnz .LBB86_93
; %bb.94:
	s_or_b64 exec, exec, s[10:11]
.LBB86_95:
	s_or_b64 exec, exec, s[8:9]
.LBB86_96:
	s_or_b64 exec, exec, s[6:7]
	v_mov_b32_e32 v49, 0
	ds_read_b32 v49, v49 offset:60
	s_waitcnt lgkmcnt(0)
	v_mul_f32_e32 v49, v113, v49
.LBB86_97:
	s_or_b64 exec, exec, s[4:5]
	v_cmp_lt_u32_e64 s[2:3], 14, v0
	ds_write_b32 v112, v48
	s_waitcnt lgkmcnt(0)
	; wave barrier
	s_and_saveexec_b64 s[4:5], s[2:3]
	s_cbranch_execz .LBB86_113
; %bb.98:
	s_andn2_b64 vcc, exec, s[50:51]
	s_cbranch_vccnz .LBB86_100
; %bb.99:
	v_cmp_eq_u32_e32 vcc, 1, v0
	v_cndmask_b32_e32 v113, v34, v35, vcc
	v_cmp_eq_u32_e32 vcc, 2, v0
	v_cndmask_b32_e32 v113, v113, v36, vcc
	;; [unrolled: 2-line block ×18, first 2 shown]
	v_cmp_eq_u32_e32 vcc, 19, v0
	ds_read_b32 v114, v112
	v_cndmask_b32_e32 v113, v113, v53, vcc
	v_cmp_eq_u32_e32 vcc, 20, v0
	v_cndmask_b32_e32 v113, v113, v54, vcc
	v_cmp_eq_u32_e32 vcc, 21, v0
	;; [unrolled: 2-line block ×3, first 2 shown]
	v_cndmask_b32_e32 v113, v113, v56, vcc
	s_waitcnt lgkmcnt(0)
	v_mul_f32_e32 v113, v113, v114
	s_cbranch_execz .LBB86_101
	s_branch .LBB86_102
.LBB86_100:
                                        ; implicit-def: $vgpr113
.LBB86_101:
	ds_read_b32 v113, v112
.LBB86_102:
	s_and_saveexec_b64 s[6:7], s[0:1]
	s_cbranch_execz .LBB86_112
; %bb.103:
	v_add_u32_e32 v114, -16, v0
	v_add_u32_e32 v115, -15, v0
	v_cmp_lt_u32_e32 vcc, 6, v114
	v_mov_b32_e32 v114, 15
	s_and_saveexec_b64 s[0:1], vcc
	s_cbranch_execz .LBB86_107
; %bb.104:
	v_and_b32_e32 v114, -8, v115
	v_sub_u32_e32 v116, 0, v114
	s_mov_b64 s[8:9], 22
	s_movk_i32 s12, 0x9c
	s_mov_b64 s[10:11], 0
.LBB86_105:                             ; =>This Inner Loop Header: Depth=1
	s_add_i32 s13, s8, -7
	v_mov_b32_e32 v114, s12
	s_add_i32 s14, s8, -6
	s_set_gpr_idx_on s13, gpr_idx(SRC0)
	v_mov_b32_e32 v123, v34
	s_set_gpr_idx_off
	ds_read2_b32 v[117:118], v114 offset1:1
	s_add_i32 s15, s8, -5
	s_set_gpr_idx_on s14, gpr_idx(SRC0)
	v_mov_b32_e32 v124, v34
	s_set_gpr_idx_off
	s_add_i32 s16, s8, -4
	s_set_gpr_idx_on s15, gpr_idx(SRC0)
	v_mov_b32_e32 v125, v34
	s_set_gpr_idx_off
	ds_read2_b32 v[119:120], v114 offset0:2 offset1:3
	s_add_i32 s17, s8, -3
	s_set_gpr_idx_on s16, gpr_idx(SRC0)
	v_mov_b32_e32 v126, v34
	s_set_gpr_idx_off
	s_add_i32 s18, s8, -2
	s_set_gpr_idx_on s17, gpr_idx(SRC0)
	v_mov_b32_e32 v127, v34
	s_set_gpr_idx_off
	ds_read2_b32 v[121:122], v114 offset0:4 offset1:5
	s_add_i32 s19, s8, -1
	s_waitcnt lgkmcnt(2)
	v_fmac_f32_e32 v113, v123, v117
	s_set_gpr_idx_on s18, gpr_idx(SRC0)
	v_mov_b32_e32 v123, v34
	s_set_gpr_idx_off
	v_fmac_f32_e32 v113, v124, v118
	s_set_gpr_idx_on s19, gpr_idx(SRC0)
	v_mov_b32_e32 v124, v34
	s_set_gpr_idx_off
	ds_read2_b32 v[117:118], v114 offset0:6 offset1:7
	s_waitcnt lgkmcnt(2)
	v_fmac_f32_e32 v113, v125, v119
	s_set_gpr_idx_on s8, gpr_idx(SRC0)
	v_mov_b32_e32 v119, v34
	s_set_gpr_idx_off
	v_fmac_f32_e32 v113, v126, v120
	s_add_u32 s8, s8, 8
	s_waitcnt lgkmcnt(1)
	v_fmac_f32_e32 v113, v127, v121
	v_add_u32_e32 v114, s8, v116
	v_fmac_f32_e32 v113, v123, v122
	s_addc_u32 s9, s9, 0
	s_add_i32 s12, s12, 32
	s_add_i32 s13, s8, -7
	v_cmp_eq_u32_e32 vcc, 22, v114
	s_waitcnt lgkmcnt(0)
	v_fmac_f32_e32 v113, v124, v117
	v_mov_b32_e32 v114, s13
	s_or_b64 s[10:11], vcc, s[10:11]
	v_fmac_f32_e32 v113, v119, v118
	s_andn2_b64 exec, exec, s[10:11]
	s_cbranch_execnz .LBB86_105
; %bb.106:
	s_or_b64 exec, exec, s[10:11]
.LBB86_107:
	s_or_b64 exec, exec, s[0:1]
	v_and_b32_e32 v57, 7, v115
	v_cmp_ne_u32_e32 vcc, 0, v57
	s_and_saveexec_b64 s[8:9], vcc
	s_cbranch_execz .LBB86_111
; %bb.108:
	v_mov_b32_e32 v58, 0x60
	v_lshl_add_u32 v58, v114, 2, v58
	v_mov_b32_e32 v59, 0
	s_mov_b64 s[10:11], 0
.LBB86_109:                             ; =>This Inner Loop Header: Depth=1
	v_cmp_eq_u32_e32 vcc, 1, v114
	v_cndmask_b32_e32 v60, v34, v35, vcc
	v_add_u32_e32 v57, -1, v57
	v_cmp_eq_u32_e32 vcc, 2, v114
	v_cndmask_b32_e32 v60, v60, v36, vcc
	v_cmp_eq_u32_e32 vcc, 0, v57
	v_cmp_eq_u32_e64 s[0:1], 3, v114
	v_cndmask_b32_e64 v60, v60, v37, s[0:1]
	s_or_b64 s[10:11], vcc, s[10:11]
	v_cmp_eq_u32_e32 vcc, 4, v114
	v_cndmask_b32_e32 v60, v60, v38, vcc
	v_cmp_eq_u32_e32 vcc, 5, v114
	v_cndmask_b32_e32 v60, v60, v39, vcc
	v_cmp_eq_u32_e32 vcc, 6, v114
	v_cndmask_b32_e32 v60, v60, v40, vcc
	v_cmp_eq_u32_e32 vcc, 7, v114
	v_cndmask_b32_e32 v60, v60, v41, vcc
	v_cmp_eq_u32_e32 vcc, 8, v114
	v_cndmask_b32_e32 v60, v60, v42, vcc
	v_cmp_eq_u32_e32 vcc, 9, v114
	v_cndmask_b32_e32 v60, v60, v43, vcc
	v_cmp_eq_u32_e32 vcc, 10, v114
	v_cndmask_b32_e32 v60, v60, v44, vcc
	v_cmp_eq_u32_e32 vcc, 11, v114
	v_cndmask_b32_e32 v60, v60, v45, vcc
	v_cmp_eq_u32_e32 vcc, 12, v114
	v_cndmask_b32_e32 v60, v60, v46, vcc
	v_cmp_eq_u32_e32 vcc, 13, v114
	v_cndmask_b32_e32 v60, v60, v47, vcc
	v_cmp_eq_u32_e32 vcc, 14, v114
	v_cndmask_b32_e32 v60, v60, v48, vcc
	v_cmp_eq_u32_e32 vcc, 15, v114
	v_cndmask_b32_e32 v60, v60, v49, vcc
	v_cmp_eq_u32_e32 vcc, 16, v114
	v_cndmask_b32_e32 v60, v60, v50, vcc
	v_cmp_eq_u32_e32 vcc, 17, v114
	v_cndmask_b32_e32 v60, v60, v51, vcc
	v_cmp_eq_u32_e32 vcc, 18, v114
	ds_read_b32 v61, v58
	v_cndmask_b32_e32 v60, v60, v52, vcc
	v_cmp_eq_u32_e32 vcc, 19, v114
	v_cndmask_b32_e32 v60, v60, v53, vcc
	v_cmp_eq_u32_e32 vcc, 20, v114
	;; [unrolled: 2-line block ×4, first 2 shown]
	v_add_co_u32_e64 v114, s[0:1], 1, v114
	v_cndmask_b32_e32 v60, v60, v56, vcc
	v_add_u32_e32 v58, 4, v58
	v_addc_co_u32_e64 v59, s[0:1], 0, v59, s[0:1]
	s_waitcnt lgkmcnt(0)
	v_fmac_f32_e32 v113, v60, v61
	s_andn2_b64 exec, exec, s[10:11]
	s_cbranch_execnz .LBB86_109
; %bb.110:
	s_or_b64 exec, exec, s[10:11]
.LBB86_111:
	s_or_b64 exec, exec, s[8:9]
.LBB86_112:
	s_or_b64 exec, exec, s[6:7]
	v_mov_b32_e32 v48, 0
	ds_read_b32 v48, v48 offset:56
	s_waitcnt lgkmcnt(0)
	v_mul_f32_e32 v48, v113, v48
.LBB86_113:
	s_or_b64 exec, exec, s[4:5]
	v_cmp_lt_u32_e64 s[0:1], 13, v0
	ds_write_b32 v112, v47
	s_waitcnt lgkmcnt(0)
	; wave barrier
	s_and_saveexec_b64 s[4:5], s[0:1]
	s_cbranch_execz .LBB86_129
; %bb.114:
	s_andn2_b64 vcc, exec, s[50:51]
	s_cbranch_vccnz .LBB86_116
; %bb.115:
	v_cmp_eq_u32_e32 vcc, 1, v0
	v_cndmask_b32_e32 v113, v34, v35, vcc
	v_cmp_eq_u32_e32 vcc, 2, v0
	v_cndmask_b32_e32 v113, v113, v36, vcc
	;; [unrolled: 2-line block ×18, first 2 shown]
	v_cmp_eq_u32_e32 vcc, 19, v0
	ds_read_b32 v114, v112
	v_cndmask_b32_e32 v113, v113, v53, vcc
	v_cmp_eq_u32_e32 vcc, 20, v0
	v_cndmask_b32_e32 v113, v113, v54, vcc
	v_cmp_eq_u32_e32 vcc, 21, v0
	;; [unrolled: 2-line block ×3, first 2 shown]
	v_cndmask_b32_e32 v113, v113, v56, vcc
	s_waitcnt lgkmcnt(0)
	v_mul_f32_e32 v113, v113, v114
	s_cbranch_execz .LBB86_117
	s_branch .LBB86_118
.LBB86_116:
                                        ; implicit-def: $vgpr113
.LBB86_117:
	ds_read_b32 v113, v112
.LBB86_118:
	s_and_saveexec_b64 s[6:7], s[2:3]
	s_cbranch_execz .LBB86_128
; %bb.119:
	v_add_u32_e32 v114, -15, v0
	v_add_u32_e32 v115, -14, v0
	v_cmp_lt_u32_e32 vcc, 6, v114
	v_mov_b32_e32 v114, 14
	s_and_saveexec_b64 s[2:3], vcc
	s_cbranch_execz .LBB86_123
; %bb.120:
	v_and_b32_e32 v114, -8, v115
	v_sub_u32_e32 v116, 0, v114
	s_mov_b64 s[8:9], 21
	s_movk_i32 s12, 0x98
	s_mov_b64 s[10:11], 0
.LBB86_121:                             ; =>This Inner Loop Header: Depth=1
	s_add_i32 s13, s8, -7
	v_mov_b32_e32 v121, s12
	s_set_gpr_idx_on s13, gpr_idx(SRC0)
	v_mov_b32_e32 v114, v34
	s_set_gpr_idx_off
	ds_read2_b64 v[117:120], v121 offset1:1
	s_add_i32 s13, s8, -6
	s_waitcnt lgkmcnt(0)
	v_fmac_f32_e32 v113, v114, v117
	s_set_gpr_idx_on s13, gpr_idx(SRC0)
	v_mov_b32_e32 v114, v34
	s_set_gpr_idx_off
	s_add_i32 s13, s8, -5
	v_fmac_f32_e32 v113, v114, v118
	s_set_gpr_idx_on s13, gpr_idx(SRC0)
	v_mov_b32_e32 v114, v34
	s_set_gpr_idx_off
	s_add_i32 s13, s8, -4
	;; [unrolled: 5-line block ×3, first 2 shown]
	v_fmac_f32_e32 v113, v114, v120
	s_set_gpr_idx_on s13, gpr_idx(SRC0)
	v_mov_b32_e32 v114, v34
	s_set_gpr_idx_off
	ds_read2_b64 v[117:120], v121 offset0:2 offset1:3
	s_add_i32 s13, s8, -2
	s_waitcnt lgkmcnt(0)
	v_fmac_f32_e32 v113, v114, v117
	s_set_gpr_idx_on s13, gpr_idx(SRC0)
	v_mov_b32_e32 v114, v34
	s_set_gpr_idx_off
	s_add_i32 s13, s8, -1
	v_fmac_f32_e32 v113, v114, v118
	s_set_gpr_idx_on s13, gpr_idx(SRC0)
	v_mov_b32_e32 v114, v34
	s_set_gpr_idx_off
	v_fmac_f32_e32 v113, v114, v119
	s_set_gpr_idx_on s8, gpr_idx(SRC0)
	v_mov_b32_e32 v114, v34
	s_set_gpr_idx_off
	s_add_u32 s8, s8, 8
	v_fmac_f32_e32 v113, v114, v120
	v_add_u32_e32 v114, s8, v116
	s_addc_u32 s9, s9, 0
	s_add_i32 s12, s12, 32
	v_cmp_eq_u32_e32 vcc, 21, v114
	s_add_i32 s13, s8, -7
	s_or_b64 s[10:11], vcc, s[10:11]
	v_mov_b32_e32 v114, s13
	s_andn2_b64 exec, exec, s[10:11]
	s_cbranch_execnz .LBB86_121
; %bb.122:
	s_or_b64 exec, exec, s[10:11]
.LBB86_123:
	s_or_b64 exec, exec, s[2:3]
	v_and_b32_e32 v57, 7, v115
	v_cmp_ne_u32_e32 vcc, 0, v57
	s_and_saveexec_b64 s[8:9], vcc
	s_cbranch_execz .LBB86_127
; %bb.124:
	v_mov_b32_e32 v58, 0x60
	v_lshl_add_u32 v58, v114, 2, v58
	v_mov_b32_e32 v59, 0
	s_mov_b64 s[10:11], 0
.LBB86_125:                             ; =>This Inner Loop Header: Depth=1
	v_cmp_eq_u32_e32 vcc, 1, v114
	v_cndmask_b32_e32 v60, v34, v35, vcc
	v_add_u32_e32 v57, -1, v57
	v_cmp_eq_u32_e32 vcc, 2, v114
	v_cndmask_b32_e32 v60, v60, v36, vcc
	v_cmp_eq_u32_e32 vcc, 0, v57
	v_cmp_eq_u32_e64 s[2:3], 3, v114
	v_cndmask_b32_e64 v60, v60, v37, s[2:3]
	s_or_b64 s[10:11], vcc, s[10:11]
	v_cmp_eq_u32_e32 vcc, 4, v114
	v_cndmask_b32_e32 v60, v60, v38, vcc
	v_cmp_eq_u32_e32 vcc, 5, v114
	v_cndmask_b32_e32 v60, v60, v39, vcc
	;; [unrolled: 2-line block ×14, first 2 shown]
	v_cmp_eq_u32_e32 vcc, 18, v114
	ds_read_b32 v61, v58
	v_cndmask_b32_e32 v60, v60, v52, vcc
	v_cmp_eq_u32_e32 vcc, 19, v114
	v_cndmask_b32_e32 v60, v60, v53, vcc
	v_cmp_eq_u32_e32 vcc, 20, v114
	;; [unrolled: 2-line block ×4, first 2 shown]
	v_add_co_u32_e64 v114, s[2:3], 1, v114
	v_cndmask_b32_e32 v60, v60, v56, vcc
	v_add_u32_e32 v58, 4, v58
	v_addc_co_u32_e64 v59, s[2:3], 0, v59, s[2:3]
	s_waitcnt lgkmcnt(0)
	v_fmac_f32_e32 v113, v60, v61
	s_andn2_b64 exec, exec, s[10:11]
	s_cbranch_execnz .LBB86_125
; %bb.126:
	s_or_b64 exec, exec, s[10:11]
.LBB86_127:
	s_or_b64 exec, exec, s[8:9]
.LBB86_128:
	s_or_b64 exec, exec, s[6:7]
	v_mov_b32_e32 v47, 0
	ds_read_b32 v47, v47 offset:52
	s_waitcnt lgkmcnt(0)
	v_mul_f32_e32 v47, v113, v47
.LBB86_129:
	s_or_b64 exec, exec, s[4:5]
	v_cmp_lt_u32_e64 s[2:3], 12, v0
	ds_write_b32 v112, v46
	s_waitcnt lgkmcnt(0)
	; wave barrier
	s_and_saveexec_b64 s[4:5], s[2:3]
	s_cbranch_execz .LBB86_145
; %bb.130:
	s_andn2_b64 vcc, exec, s[50:51]
	s_cbranch_vccnz .LBB86_132
; %bb.131:
	v_cmp_eq_u32_e32 vcc, 1, v0
	v_cndmask_b32_e32 v113, v34, v35, vcc
	v_cmp_eq_u32_e32 vcc, 2, v0
	v_cndmask_b32_e32 v113, v113, v36, vcc
	;; [unrolled: 2-line block ×18, first 2 shown]
	v_cmp_eq_u32_e32 vcc, 19, v0
	ds_read_b32 v114, v112
	v_cndmask_b32_e32 v113, v113, v53, vcc
	v_cmp_eq_u32_e32 vcc, 20, v0
	v_cndmask_b32_e32 v113, v113, v54, vcc
	v_cmp_eq_u32_e32 vcc, 21, v0
	;; [unrolled: 2-line block ×3, first 2 shown]
	v_cndmask_b32_e32 v113, v113, v56, vcc
	s_waitcnt lgkmcnt(0)
	v_mul_f32_e32 v113, v113, v114
	s_cbranch_execz .LBB86_133
	s_branch .LBB86_134
.LBB86_132:
                                        ; implicit-def: $vgpr113
.LBB86_133:
	ds_read_b32 v113, v112
.LBB86_134:
	s_and_saveexec_b64 s[6:7], s[0:1]
	s_cbranch_execz .LBB86_144
; %bb.135:
	v_add_u32_e32 v114, -14, v0
	v_add_u32_e32 v115, -13, v0
	v_cmp_lt_u32_e32 vcc, 6, v114
	v_mov_b32_e32 v114, 13
	s_and_saveexec_b64 s[0:1], vcc
	s_cbranch_execz .LBB86_139
; %bb.136:
	v_and_b32_e32 v114, -8, v115
	v_sub_u32_e32 v116, 0, v114
	s_mov_b64 s[8:9], 20
	s_movk_i32 s12, 0x94
	s_mov_b64 s[10:11], 0
.LBB86_137:                             ; =>This Inner Loop Header: Depth=1
	s_add_i32 s13, s8, -7
	v_mov_b32_e32 v114, s12
	s_add_i32 s14, s8, -6
	s_set_gpr_idx_on s13, gpr_idx(SRC0)
	v_mov_b32_e32 v123, v34
	s_set_gpr_idx_off
	ds_read2_b32 v[117:118], v114 offset1:1
	s_add_i32 s15, s8, -5
	s_set_gpr_idx_on s14, gpr_idx(SRC0)
	v_mov_b32_e32 v124, v34
	s_set_gpr_idx_off
	s_add_i32 s16, s8, -4
	s_set_gpr_idx_on s15, gpr_idx(SRC0)
	v_mov_b32_e32 v125, v34
	s_set_gpr_idx_off
	ds_read2_b32 v[119:120], v114 offset0:2 offset1:3
	s_add_i32 s17, s8, -3
	s_set_gpr_idx_on s16, gpr_idx(SRC0)
	v_mov_b32_e32 v126, v34
	s_set_gpr_idx_off
	s_add_i32 s18, s8, -2
	s_set_gpr_idx_on s17, gpr_idx(SRC0)
	v_mov_b32_e32 v127, v34
	s_set_gpr_idx_off
	ds_read2_b32 v[121:122], v114 offset0:4 offset1:5
	s_add_i32 s19, s8, -1
	s_waitcnt lgkmcnt(2)
	v_fmac_f32_e32 v113, v123, v117
	s_set_gpr_idx_on s18, gpr_idx(SRC0)
	v_mov_b32_e32 v123, v34
	s_set_gpr_idx_off
	v_fmac_f32_e32 v113, v124, v118
	s_set_gpr_idx_on s19, gpr_idx(SRC0)
	v_mov_b32_e32 v124, v34
	s_set_gpr_idx_off
	ds_read2_b32 v[117:118], v114 offset0:6 offset1:7
	s_waitcnt lgkmcnt(2)
	v_fmac_f32_e32 v113, v125, v119
	s_set_gpr_idx_on s8, gpr_idx(SRC0)
	v_mov_b32_e32 v119, v34
	s_set_gpr_idx_off
	v_fmac_f32_e32 v113, v126, v120
	s_add_u32 s8, s8, 8
	s_waitcnt lgkmcnt(1)
	v_fmac_f32_e32 v113, v127, v121
	v_add_u32_e32 v114, s8, v116
	v_fmac_f32_e32 v113, v123, v122
	s_addc_u32 s9, s9, 0
	s_add_i32 s12, s12, 32
	s_add_i32 s13, s8, -7
	v_cmp_eq_u32_e32 vcc, 20, v114
	s_waitcnt lgkmcnt(0)
	v_fmac_f32_e32 v113, v124, v117
	v_mov_b32_e32 v114, s13
	s_or_b64 s[10:11], vcc, s[10:11]
	v_fmac_f32_e32 v113, v119, v118
	s_andn2_b64 exec, exec, s[10:11]
	s_cbranch_execnz .LBB86_137
; %bb.138:
	s_or_b64 exec, exec, s[10:11]
.LBB86_139:
	s_or_b64 exec, exec, s[0:1]
	v_and_b32_e32 v57, 7, v115
	v_cmp_ne_u32_e32 vcc, 0, v57
	s_and_saveexec_b64 s[8:9], vcc
	s_cbranch_execz .LBB86_143
; %bb.140:
	v_mov_b32_e32 v58, 0x60
	v_lshl_add_u32 v58, v114, 2, v58
	v_mov_b32_e32 v59, 0
	s_mov_b64 s[10:11], 0
.LBB86_141:                             ; =>This Inner Loop Header: Depth=1
	v_cmp_eq_u32_e32 vcc, 1, v114
	v_cndmask_b32_e32 v60, v34, v35, vcc
	v_add_u32_e32 v57, -1, v57
	v_cmp_eq_u32_e32 vcc, 2, v114
	v_cndmask_b32_e32 v60, v60, v36, vcc
	v_cmp_eq_u32_e32 vcc, 0, v57
	v_cmp_eq_u32_e64 s[0:1], 3, v114
	v_cndmask_b32_e64 v60, v60, v37, s[0:1]
	s_or_b64 s[10:11], vcc, s[10:11]
	v_cmp_eq_u32_e32 vcc, 4, v114
	v_cndmask_b32_e32 v60, v60, v38, vcc
	v_cmp_eq_u32_e32 vcc, 5, v114
	v_cndmask_b32_e32 v60, v60, v39, vcc
	;; [unrolled: 2-line block ×14, first 2 shown]
	v_cmp_eq_u32_e32 vcc, 18, v114
	ds_read_b32 v61, v58
	v_cndmask_b32_e32 v60, v60, v52, vcc
	v_cmp_eq_u32_e32 vcc, 19, v114
	v_cndmask_b32_e32 v60, v60, v53, vcc
	v_cmp_eq_u32_e32 vcc, 20, v114
	;; [unrolled: 2-line block ×4, first 2 shown]
	v_add_co_u32_e64 v114, s[0:1], 1, v114
	v_cndmask_b32_e32 v60, v60, v56, vcc
	v_add_u32_e32 v58, 4, v58
	v_addc_co_u32_e64 v59, s[0:1], 0, v59, s[0:1]
	s_waitcnt lgkmcnt(0)
	v_fmac_f32_e32 v113, v60, v61
	s_andn2_b64 exec, exec, s[10:11]
	s_cbranch_execnz .LBB86_141
; %bb.142:
	s_or_b64 exec, exec, s[10:11]
.LBB86_143:
	s_or_b64 exec, exec, s[8:9]
.LBB86_144:
	s_or_b64 exec, exec, s[6:7]
	v_mov_b32_e32 v46, 0
	ds_read_b32 v46, v46 offset:48
	s_waitcnt lgkmcnt(0)
	v_mul_f32_e32 v46, v113, v46
.LBB86_145:
	s_or_b64 exec, exec, s[4:5]
	v_cmp_lt_u32_e64 s[0:1], 11, v0
	ds_write_b32 v112, v45
	s_waitcnt lgkmcnt(0)
	; wave barrier
	s_and_saveexec_b64 s[4:5], s[0:1]
	s_cbranch_execz .LBB86_161
; %bb.146:
	s_andn2_b64 vcc, exec, s[50:51]
	s_cbranch_vccnz .LBB86_148
; %bb.147:
	v_cmp_eq_u32_e32 vcc, 1, v0
	v_cndmask_b32_e32 v113, v34, v35, vcc
	v_cmp_eq_u32_e32 vcc, 2, v0
	v_cndmask_b32_e32 v113, v113, v36, vcc
	;; [unrolled: 2-line block ×18, first 2 shown]
	v_cmp_eq_u32_e32 vcc, 19, v0
	ds_read_b32 v114, v112
	v_cndmask_b32_e32 v113, v113, v53, vcc
	v_cmp_eq_u32_e32 vcc, 20, v0
	v_cndmask_b32_e32 v113, v113, v54, vcc
	v_cmp_eq_u32_e32 vcc, 21, v0
	;; [unrolled: 2-line block ×3, first 2 shown]
	v_cndmask_b32_e32 v113, v113, v56, vcc
	s_waitcnt lgkmcnt(0)
	v_mul_f32_e32 v113, v113, v114
	s_cbranch_execz .LBB86_149
	s_branch .LBB86_150
.LBB86_148:
                                        ; implicit-def: $vgpr113
.LBB86_149:
	ds_read_b32 v113, v112
.LBB86_150:
	s_and_saveexec_b64 s[6:7], s[2:3]
	s_cbranch_execz .LBB86_160
; %bb.151:
	v_add_u32_e32 v114, -13, v0
	v_add_u32_e32 v115, -12, v0
	v_cmp_lt_u32_e32 vcc, 6, v114
	v_mov_b32_e32 v114, 12
	s_and_saveexec_b64 s[2:3], vcc
	s_cbranch_execz .LBB86_155
; %bb.152:
	v_and_b32_e32 v114, -8, v115
	v_sub_u32_e32 v116, 0, v114
	s_mov_b64 s[8:9], 19
	s_movk_i32 s12, 0x90
	s_mov_b64 s[10:11], 0
.LBB86_153:                             ; =>This Inner Loop Header: Depth=1
	s_add_i32 s13, s8, -7
	v_mov_b32_e32 v121, s12
	s_set_gpr_idx_on s13, gpr_idx(SRC0)
	v_mov_b32_e32 v114, v34
	s_set_gpr_idx_off
	ds_read_b128 v[117:120], v121
	ds_read_b128 v[121:124], v121 offset:16
	s_add_i32 s13, s8, -6
	s_waitcnt lgkmcnt(1)
	v_fmac_f32_e32 v113, v114, v117
	s_set_gpr_idx_on s13, gpr_idx(SRC0)
	v_mov_b32_e32 v114, v34
	s_set_gpr_idx_off
	s_add_i32 s13, s8, -5
	v_fmac_f32_e32 v113, v114, v118
	s_set_gpr_idx_on s13, gpr_idx(SRC0)
	v_mov_b32_e32 v114, v34
	s_set_gpr_idx_off
	s_add_i32 s13, s8, -4
	;; [unrolled: 5-line block ×4, first 2 shown]
	s_waitcnt lgkmcnt(0)
	v_fmac_f32_e32 v113, v114, v121
	s_set_gpr_idx_on s13, gpr_idx(SRC0)
	v_mov_b32_e32 v114, v34
	s_set_gpr_idx_off
	s_add_i32 s13, s8, -1
	v_fmac_f32_e32 v113, v114, v122
	s_set_gpr_idx_on s13, gpr_idx(SRC0)
	v_mov_b32_e32 v114, v34
	s_set_gpr_idx_off
	v_fmac_f32_e32 v113, v114, v123
	s_set_gpr_idx_on s8, gpr_idx(SRC0)
	v_mov_b32_e32 v114, v34
	s_set_gpr_idx_off
	s_add_u32 s8, s8, 8
	v_fmac_f32_e32 v113, v114, v124
	v_add_u32_e32 v114, s8, v116
	s_addc_u32 s9, s9, 0
	s_add_i32 s12, s12, 32
	v_cmp_eq_u32_e32 vcc, 19, v114
	s_add_i32 s13, s8, -7
	s_or_b64 s[10:11], vcc, s[10:11]
	v_mov_b32_e32 v114, s13
	s_andn2_b64 exec, exec, s[10:11]
	s_cbranch_execnz .LBB86_153
; %bb.154:
	s_or_b64 exec, exec, s[10:11]
.LBB86_155:
	s_or_b64 exec, exec, s[2:3]
	v_and_b32_e32 v57, 7, v115
	v_cmp_ne_u32_e32 vcc, 0, v57
	s_and_saveexec_b64 s[8:9], vcc
	s_cbranch_execz .LBB86_159
; %bb.156:
	v_mov_b32_e32 v58, 0x60
	v_lshl_add_u32 v58, v114, 2, v58
	v_mov_b32_e32 v59, 0
	s_mov_b64 s[10:11], 0
.LBB86_157:                             ; =>This Inner Loop Header: Depth=1
	v_cmp_eq_u32_e32 vcc, 1, v114
	v_cndmask_b32_e32 v60, v34, v35, vcc
	v_add_u32_e32 v57, -1, v57
	v_cmp_eq_u32_e32 vcc, 2, v114
	v_cndmask_b32_e32 v60, v60, v36, vcc
	v_cmp_eq_u32_e32 vcc, 0, v57
	v_cmp_eq_u32_e64 s[2:3], 3, v114
	v_cndmask_b32_e64 v60, v60, v37, s[2:3]
	s_or_b64 s[10:11], vcc, s[10:11]
	v_cmp_eq_u32_e32 vcc, 4, v114
	v_cndmask_b32_e32 v60, v60, v38, vcc
	v_cmp_eq_u32_e32 vcc, 5, v114
	v_cndmask_b32_e32 v60, v60, v39, vcc
	;; [unrolled: 2-line block ×14, first 2 shown]
	v_cmp_eq_u32_e32 vcc, 18, v114
	ds_read_b32 v61, v58
	v_cndmask_b32_e32 v60, v60, v52, vcc
	v_cmp_eq_u32_e32 vcc, 19, v114
	v_cndmask_b32_e32 v60, v60, v53, vcc
	v_cmp_eq_u32_e32 vcc, 20, v114
	v_cndmask_b32_e32 v60, v60, v54, vcc
	v_cmp_eq_u32_e32 vcc, 21, v114
	v_cndmask_b32_e32 v60, v60, v55, vcc
	v_cmp_eq_u32_e32 vcc, 22, v114
	v_add_co_u32_e64 v114, s[2:3], 1, v114
	v_cndmask_b32_e32 v60, v60, v56, vcc
	v_add_u32_e32 v58, 4, v58
	v_addc_co_u32_e64 v59, s[2:3], 0, v59, s[2:3]
	s_waitcnt lgkmcnt(0)
	v_fmac_f32_e32 v113, v60, v61
	s_andn2_b64 exec, exec, s[10:11]
	s_cbranch_execnz .LBB86_157
; %bb.158:
	s_or_b64 exec, exec, s[10:11]
.LBB86_159:
	s_or_b64 exec, exec, s[8:9]
.LBB86_160:
	s_or_b64 exec, exec, s[6:7]
	v_mov_b32_e32 v45, 0
	ds_read_b32 v45, v45 offset:44
	s_waitcnt lgkmcnt(0)
	v_mul_f32_e32 v45, v113, v45
.LBB86_161:
	s_or_b64 exec, exec, s[4:5]
	v_cmp_lt_u32_e64 s[2:3], 10, v0
	ds_write_b32 v112, v44
	s_waitcnt lgkmcnt(0)
	; wave barrier
	s_and_saveexec_b64 s[4:5], s[2:3]
	s_cbranch_execz .LBB86_177
; %bb.162:
	s_andn2_b64 vcc, exec, s[50:51]
	s_cbranch_vccnz .LBB86_164
; %bb.163:
	v_cmp_eq_u32_e32 vcc, 1, v0
	v_cndmask_b32_e32 v113, v34, v35, vcc
	v_cmp_eq_u32_e32 vcc, 2, v0
	v_cndmask_b32_e32 v113, v113, v36, vcc
	v_cmp_eq_u32_e32 vcc, 3, v0
	v_cndmask_b32_e32 v113, v113, v37, vcc
	v_cmp_eq_u32_e32 vcc, 4, v0
	v_cndmask_b32_e32 v113, v113, v38, vcc
	v_cmp_eq_u32_e32 vcc, 5, v0
	v_cndmask_b32_e32 v113, v113, v39, vcc
	v_cmp_eq_u32_e32 vcc, 6, v0
	v_cndmask_b32_e32 v113, v113, v40, vcc
	v_cmp_eq_u32_e32 vcc, 7, v0
	v_cndmask_b32_e32 v113, v113, v41, vcc
	v_cmp_eq_u32_e32 vcc, 8, v0
	v_cndmask_b32_e32 v113, v113, v42, vcc
	v_cmp_eq_u32_e32 vcc, 9, v0
	v_cndmask_b32_e32 v113, v113, v43, vcc
	v_cmp_eq_u32_e32 vcc, 10, v0
	v_cndmask_b32_e32 v113, v113, v44, vcc
	v_cmp_eq_u32_e32 vcc, 11, v0
	v_cndmask_b32_e32 v113, v113, v45, vcc
	v_cmp_eq_u32_e32 vcc, 12, v0
	v_cndmask_b32_e32 v113, v113, v46, vcc
	v_cmp_eq_u32_e32 vcc, 13, v0
	v_cndmask_b32_e32 v113, v113, v47, vcc
	v_cmp_eq_u32_e32 vcc, 14, v0
	v_cndmask_b32_e32 v113, v113, v48, vcc
	v_cmp_eq_u32_e32 vcc, 15, v0
	v_cndmask_b32_e32 v113, v113, v49, vcc
	v_cmp_eq_u32_e32 vcc, 16, v0
	v_cndmask_b32_e32 v113, v113, v50, vcc
	v_cmp_eq_u32_e32 vcc, 17, v0
	v_cndmask_b32_e32 v113, v113, v51, vcc
	v_cmp_eq_u32_e32 vcc, 18, v0
	v_cndmask_b32_e32 v113, v113, v52, vcc
	v_cmp_eq_u32_e32 vcc, 19, v0
	ds_read_b32 v114, v112
	v_cndmask_b32_e32 v113, v113, v53, vcc
	v_cmp_eq_u32_e32 vcc, 20, v0
	v_cndmask_b32_e32 v113, v113, v54, vcc
	v_cmp_eq_u32_e32 vcc, 21, v0
	;; [unrolled: 2-line block ×3, first 2 shown]
	v_cndmask_b32_e32 v113, v113, v56, vcc
	s_waitcnt lgkmcnt(0)
	v_mul_f32_e32 v113, v113, v114
	s_cbranch_execz .LBB86_165
	s_branch .LBB86_166
.LBB86_164:
                                        ; implicit-def: $vgpr113
.LBB86_165:
	ds_read_b32 v113, v112
.LBB86_166:
	s_and_saveexec_b64 s[6:7], s[0:1]
	s_cbranch_execz .LBB86_176
; %bb.167:
	v_add_u32_e32 v114, -12, v0
	v_add_u32_e32 v115, -11, v0
	v_cmp_lt_u32_e32 vcc, 6, v114
	v_mov_b32_e32 v114, 11
	s_and_saveexec_b64 s[0:1], vcc
	s_cbranch_execz .LBB86_171
; %bb.168:
	v_and_b32_e32 v114, -8, v115
	v_sub_u32_e32 v116, 0, v114
	s_mov_b64 s[8:9], 18
	s_movk_i32 s12, 0x8c
	s_mov_b64 s[10:11], 0
.LBB86_169:                             ; =>This Inner Loop Header: Depth=1
	s_add_i32 s13, s8, -7
	v_mov_b32_e32 v114, s12
	s_add_i32 s14, s8, -6
	s_set_gpr_idx_on s13, gpr_idx(SRC0)
	v_mov_b32_e32 v123, v34
	s_set_gpr_idx_off
	ds_read2_b32 v[117:118], v114 offset1:1
	s_add_i32 s15, s8, -5
	s_set_gpr_idx_on s14, gpr_idx(SRC0)
	v_mov_b32_e32 v124, v34
	s_set_gpr_idx_off
	s_add_i32 s16, s8, -4
	s_set_gpr_idx_on s15, gpr_idx(SRC0)
	v_mov_b32_e32 v125, v34
	s_set_gpr_idx_off
	ds_read2_b32 v[119:120], v114 offset0:2 offset1:3
	s_add_i32 s17, s8, -3
	s_set_gpr_idx_on s16, gpr_idx(SRC0)
	v_mov_b32_e32 v126, v34
	s_set_gpr_idx_off
	s_add_i32 s18, s8, -2
	s_set_gpr_idx_on s17, gpr_idx(SRC0)
	v_mov_b32_e32 v127, v34
	s_set_gpr_idx_off
	ds_read2_b32 v[121:122], v114 offset0:4 offset1:5
	s_add_i32 s19, s8, -1
	s_waitcnt lgkmcnt(2)
	v_fmac_f32_e32 v113, v123, v117
	s_set_gpr_idx_on s18, gpr_idx(SRC0)
	v_mov_b32_e32 v123, v34
	s_set_gpr_idx_off
	v_fmac_f32_e32 v113, v124, v118
	s_set_gpr_idx_on s19, gpr_idx(SRC0)
	v_mov_b32_e32 v124, v34
	s_set_gpr_idx_off
	ds_read2_b32 v[117:118], v114 offset0:6 offset1:7
	s_waitcnt lgkmcnt(2)
	v_fmac_f32_e32 v113, v125, v119
	s_set_gpr_idx_on s8, gpr_idx(SRC0)
	v_mov_b32_e32 v119, v34
	s_set_gpr_idx_off
	v_fmac_f32_e32 v113, v126, v120
	s_add_u32 s8, s8, 8
	s_waitcnt lgkmcnt(1)
	v_fmac_f32_e32 v113, v127, v121
	v_add_u32_e32 v114, s8, v116
	v_fmac_f32_e32 v113, v123, v122
	s_addc_u32 s9, s9, 0
	s_add_i32 s12, s12, 32
	s_add_i32 s13, s8, -7
	v_cmp_eq_u32_e32 vcc, 18, v114
	s_waitcnt lgkmcnt(0)
	v_fmac_f32_e32 v113, v124, v117
	v_mov_b32_e32 v114, s13
	s_or_b64 s[10:11], vcc, s[10:11]
	v_fmac_f32_e32 v113, v119, v118
	s_andn2_b64 exec, exec, s[10:11]
	s_cbranch_execnz .LBB86_169
; %bb.170:
	s_or_b64 exec, exec, s[10:11]
.LBB86_171:
	s_or_b64 exec, exec, s[0:1]
	v_and_b32_e32 v57, 7, v115
	v_cmp_ne_u32_e32 vcc, 0, v57
	s_and_saveexec_b64 s[8:9], vcc
	s_cbranch_execz .LBB86_175
; %bb.172:
	v_mov_b32_e32 v58, 0x60
	v_lshl_add_u32 v58, v114, 2, v58
	v_mov_b32_e32 v59, 0
	s_mov_b64 s[10:11], 0
.LBB86_173:                             ; =>This Inner Loop Header: Depth=1
	v_cmp_eq_u32_e32 vcc, 1, v114
	v_cndmask_b32_e32 v60, v34, v35, vcc
	v_add_u32_e32 v57, -1, v57
	v_cmp_eq_u32_e32 vcc, 2, v114
	v_cndmask_b32_e32 v60, v60, v36, vcc
	v_cmp_eq_u32_e32 vcc, 0, v57
	v_cmp_eq_u32_e64 s[0:1], 3, v114
	v_cndmask_b32_e64 v60, v60, v37, s[0:1]
	s_or_b64 s[10:11], vcc, s[10:11]
	v_cmp_eq_u32_e32 vcc, 4, v114
	v_cndmask_b32_e32 v60, v60, v38, vcc
	v_cmp_eq_u32_e32 vcc, 5, v114
	v_cndmask_b32_e32 v60, v60, v39, vcc
	;; [unrolled: 2-line block ×14, first 2 shown]
	v_cmp_eq_u32_e32 vcc, 18, v114
	ds_read_b32 v61, v58
	v_cndmask_b32_e32 v60, v60, v52, vcc
	v_cmp_eq_u32_e32 vcc, 19, v114
	v_cndmask_b32_e32 v60, v60, v53, vcc
	v_cmp_eq_u32_e32 vcc, 20, v114
	;; [unrolled: 2-line block ×4, first 2 shown]
	v_add_co_u32_e64 v114, s[0:1], 1, v114
	v_cndmask_b32_e32 v60, v60, v56, vcc
	v_add_u32_e32 v58, 4, v58
	v_addc_co_u32_e64 v59, s[0:1], 0, v59, s[0:1]
	s_waitcnt lgkmcnt(0)
	v_fmac_f32_e32 v113, v60, v61
	s_andn2_b64 exec, exec, s[10:11]
	s_cbranch_execnz .LBB86_173
; %bb.174:
	s_or_b64 exec, exec, s[10:11]
.LBB86_175:
	s_or_b64 exec, exec, s[8:9]
.LBB86_176:
	s_or_b64 exec, exec, s[6:7]
	v_mov_b32_e32 v44, 0
	ds_read_b32 v44, v44 offset:40
	s_waitcnt lgkmcnt(0)
	v_mul_f32_e32 v44, v113, v44
.LBB86_177:
	s_or_b64 exec, exec, s[4:5]
	v_cmp_lt_u32_e64 s[0:1], 9, v0
	ds_write_b32 v112, v43
	s_waitcnt lgkmcnt(0)
	; wave barrier
	s_and_saveexec_b64 s[4:5], s[0:1]
	s_cbranch_execz .LBB86_193
; %bb.178:
	s_andn2_b64 vcc, exec, s[50:51]
	s_cbranch_vccnz .LBB86_180
; %bb.179:
	v_cmp_eq_u32_e32 vcc, 1, v0
	v_cndmask_b32_e32 v113, v34, v35, vcc
	v_cmp_eq_u32_e32 vcc, 2, v0
	v_cndmask_b32_e32 v113, v113, v36, vcc
	v_cmp_eq_u32_e32 vcc, 3, v0
	v_cndmask_b32_e32 v113, v113, v37, vcc
	v_cmp_eq_u32_e32 vcc, 4, v0
	v_cndmask_b32_e32 v113, v113, v38, vcc
	v_cmp_eq_u32_e32 vcc, 5, v0
	v_cndmask_b32_e32 v113, v113, v39, vcc
	v_cmp_eq_u32_e32 vcc, 6, v0
	v_cndmask_b32_e32 v113, v113, v40, vcc
	v_cmp_eq_u32_e32 vcc, 7, v0
	v_cndmask_b32_e32 v113, v113, v41, vcc
	v_cmp_eq_u32_e32 vcc, 8, v0
	v_cndmask_b32_e32 v113, v113, v42, vcc
	v_cmp_eq_u32_e32 vcc, 9, v0
	v_cndmask_b32_e32 v113, v113, v43, vcc
	v_cmp_eq_u32_e32 vcc, 10, v0
	v_cndmask_b32_e32 v113, v113, v44, vcc
	v_cmp_eq_u32_e32 vcc, 11, v0
	v_cndmask_b32_e32 v113, v113, v45, vcc
	v_cmp_eq_u32_e32 vcc, 12, v0
	v_cndmask_b32_e32 v113, v113, v46, vcc
	v_cmp_eq_u32_e32 vcc, 13, v0
	v_cndmask_b32_e32 v113, v113, v47, vcc
	v_cmp_eq_u32_e32 vcc, 14, v0
	v_cndmask_b32_e32 v113, v113, v48, vcc
	v_cmp_eq_u32_e32 vcc, 15, v0
	v_cndmask_b32_e32 v113, v113, v49, vcc
	v_cmp_eq_u32_e32 vcc, 16, v0
	v_cndmask_b32_e32 v113, v113, v50, vcc
	v_cmp_eq_u32_e32 vcc, 17, v0
	v_cndmask_b32_e32 v113, v113, v51, vcc
	v_cmp_eq_u32_e32 vcc, 18, v0
	v_cndmask_b32_e32 v113, v113, v52, vcc
	v_cmp_eq_u32_e32 vcc, 19, v0
	ds_read_b32 v114, v112
	v_cndmask_b32_e32 v113, v113, v53, vcc
	v_cmp_eq_u32_e32 vcc, 20, v0
	v_cndmask_b32_e32 v113, v113, v54, vcc
	v_cmp_eq_u32_e32 vcc, 21, v0
	v_cndmask_b32_e32 v113, v113, v55, vcc
	v_cmp_eq_u32_e32 vcc, 22, v0
	v_cndmask_b32_e32 v113, v113, v56, vcc
	s_waitcnt lgkmcnt(0)
	v_mul_f32_e32 v113, v113, v114
	s_cbranch_execz .LBB86_181
	s_branch .LBB86_182
.LBB86_180:
                                        ; implicit-def: $vgpr113
.LBB86_181:
	ds_read_b32 v113, v112
.LBB86_182:
	s_and_saveexec_b64 s[6:7], s[2:3]
	s_cbranch_execz .LBB86_192
; %bb.183:
	v_add_u32_e32 v114, -11, v0
	v_add_u32_e32 v115, -10, v0
	v_cmp_lt_u32_e32 vcc, 6, v114
	v_mov_b32_e32 v114, 10
	s_and_saveexec_b64 s[2:3], vcc
	s_cbranch_execz .LBB86_187
; %bb.184:
	v_and_b32_e32 v114, -8, v115
	v_sub_u32_e32 v116, 0, v114
	s_mov_b64 s[8:9], 17
	s_movk_i32 s12, 0x88
	s_mov_b64 s[10:11], 0
.LBB86_185:                             ; =>This Inner Loop Header: Depth=1
	s_add_i32 s13, s8, -7
	v_mov_b32_e32 v121, s12
	s_set_gpr_idx_on s13, gpr_idx(SRC0)
	v_mov_b32_e32 v114, v34
	s_set_gpr_idx_off
	ds_read2_b64 v[117:120], v121 offset1:1
	s_add_i32 s13, s8, -6
	s_waitcnt lgkmcnt(0)
	v_fmac_f32_e32 v113, v114, v117
	s_set_gpr_idx_on s13, gpr_idx(SRC0)
	v_mov_b32_e32 v114, v34
	s_set_gpr_idx_off
	s_add_i32 s13, s8, -5
	v_fmac_f32_e32 v113, v114, v118
	s_set_gpr_idx_on s13, gpr_idx(SRC0)
	v_mov_b32_e32 v114, v34
	s_set_gpr_idx_off
	s_add_i32 s13, s8, -4
	;; [unrolled: 5-line block ×3, first 2 shown]
	v_fmac_f32_e32 v113, v114, v120
	s_set_gpr_idx_on s13, gpr_idx(SRC0)
	v_mov_b32_e32 v114, v34
	s_set_gpr_idx_off
	ds_read2_b64 v[117:120], v121 offset0:2 offset1:3
	s_add_i32 s13, s8, -2
	s_waitcnt lgkmcnt(0)
	v_fmac_f32_e32 v113, v114, v117
	s_set_gpr_idx_on s13, gpr_idx(SRC0)
	v_mov_b32_e32 v114, v34
	s_set_gpr_idx_off
	s_add_i32 s13, s8, -1
	v_fmac_f32_e32 v113, v114, v118
	s_set_gpr_idx_on s13, gpr_idx(SRC0)
	v_mov_b32_e32 v114, v34
	s_set_gpr_idx_off
	v_fmac_f32_e32 v113, v114, v119
	s_set_gpr_idx_on s8, gpr_idx(SRC0)
	v_mov_b32_e32 v114, v34
	s_set_gpr_idx_off
	s_add_u32 s8, s8, 8
	v_fmac_f32_e32 v113, v114, v120
	v_add_u32_e32 v114, s8, v116
	s_addc_u32 s9, s9, 0
	s_add_i32 s12, s12, 32
	v_cmp_eq_u32_e32 vcc, 17, v114
	s_add_i32 s13, s8, -7
	s_or_b64 s[10:11], vcc, s[10:11]
	v_mov_b32_e32 v114, s13
	s_andn2_b64 exec, exec, s[10:11]
	s_cbranch_execnz .LBB86_185
; %bb.186:
	s_or_b64 exec, exec, s[10:11]
.LBB86_187:
	s_or_b64 exec, exec, s[2:3]
	v_and_b32_e32 v57, 7, v115
	v_cmp_ne_u32_e32 vcc, 0, v57
	s_and_saveexec_b64 s[8:9], vcc
	s_cbranch_execz .LBB86_191
; %bb.188:
	v_mov_b32_e32 v58, 0x60
	v_lshl_add_u32 v58, v114, 2, v58
	v_mov_b32_e32 v59, 0
	s_mov_b64 s[10:11], 0
.LBB86_189:                             ; =>This Inner Loop Header: Depth=1
	v_cmp_eq_u32_e32 vcc, 1, v114
	v_cndmask_b32_e32 v60, v34, v35, vcc
	v_add_u32_e32 v57, -1, v57
	v_cmp_eq_u32_e32 vcc, 2, v114
	v_cndmask_b32_e32 v60, v60, v36, vcc
	v_cmp_eq_u32_e32 vcc, 0, v57
	v_cmp_eq_u32_e64 s[2:3], 3, v114
	v_cndmask_b32_e64 v60, v60, v37, s[2:3]
	s_or_b64 s[10:11], vcc, s[10:11]
	v_cmp_eq_u32_e32 vcc, 4, v114
	v_cndmask_b32_e32 v60, v60, v38, vcc
	v_cmp_eq_u32_e32 vcc, 5, v114
	v_cndmask_b32_e32 v60, v60, v39, vcc
	v_cmp_eq_u32_e32 vcc, 6, v114
	v_cndmask_b32_e32 v60, v60, v40, vcc
	v_cmp_eq_u32_e32 vcc, 7, v114
	v_cndmask_b32_e32 v60, v60, v41, vcc
	v_cmp_eq_u32_e32 vcc, 8, v114
	v_cndmask_b32_e32 v60, v60, v42, vcc
	v_cmp_eq_u32_e32 vcc, 9, v114
	v_cndmask_b32_e32 v60, v60, v43, vcc
	v_cmp_eq_u32_e32 vcc, 10, v114
	v_cndmask_b32_e32 v60, v60, v44, vcc
	v_cmp_eq_u32_e32 vcc, 11, v114
	v_cndmask_b32_e32 v60, v60, v45, vcc
	v_cmp_eq_u32_e32 vcc, 12, v114
	v_cndmask_b32_e32 v60, v60, v46, vcc
	v_cmp_eq_u32_e32 vcc, 13, v114
	v_cndmask_b32_e32 v60, v60, v47, vcc
	v_cmp_eq_u32_e32 vcc, 14, v114
	v_cndmask_b32_e32 v60, v60, v48, vcc
	v_cmp_eq_u32_e32 vcc, 15, v114
	v_cndmask_b32_e32 v60, v60, v49, vcc
	v_cmp_eq_u32_e32 vcc, 16, v114
	v_cndmask_b32_e32 v60, v60, v50, vcc
	v_cmp_eq_u32_e32 vcc, 17, v114
	v_cndmask_b32_e32 v60, v60, v51, vcc
	v_cmp_eq_u32_e32 vcc, 18, v114
	ds_read_b32 v61, v58
	v_cndmask_b32_e32 v60, v60, v52, vcc
	v_cmp_eq_u32_e32 vcc, 19, v114
	v_cndmask_b32_e32 v60, v60, v53, vcc
	v_cmp_eq_u32_e32 vcc, 20, v114
	;; [unrolled: 2-line block ×4, first 2 shown]
	v_add_co_u32_e64 v114, s[2:3], 1, v114
	v_cndmask_b32_e32 v60, v60, v56, vcc
	v_add_u32_e32 v58, 4, v58
	v_addc_co_u32_e64 v59, s[2:3], 0, v59, s[2:3]
	s_waitcnt lgkmcnt(0)
	v_fmac_f32_e32 v113, v60, v61
	s_andn2_b64 exec, exec, s[10:11]
	s_cbranch_execnz .LBB86_189
; %bb.190:
	s_or_b64 exec, exec, s[10:11]
.LBB86_191:
	s_or_b64 exec, exec, s[8:9]
.LBB86_192:
	s_or_b64 exec, exec, s[6:7]
	v_mov_b32_e32 v43, 0
	ds_read_b32 v43, v43 offset:36
	s_waitcnt lgkmcnt(0)
	v_mul_f32_e32 v43, v113, v43
.LBB86_193:
	s_or_b64 exec, exec, s[4:5]
	v_cmp_lt_u32_e64 s[2:3], 8, v0
	ds_write_b32 v112, v42
	s_waitcnt lgkmcnt(0)
	; wave barrier
	s_and_saveexec_b64 s[4:5], s[2:3]
	s_cbranch_execz .LBB86_209
; %bb.194:
	s_andn2_b64 vcc, exec, s[50:51]
	s_cbranch_vccnz .LBB86_196
; %bb.195:
	v_cmp_eq_u32_e32 vcc, 1, v0
	v_cndmask_b32_e32 v113, v34, v35, vcc
	v_cmp_eq_u32_e32 vcc, 2, v0
	v_cndmask_b32_e32 v113, v113, v36, vcc
	;; [unrolled: 2-line block ×18, first 2 shown]
	v_cmp_eq_u32_e32 vcc, 19, v0
	ds_read_b32 v114, v112
	v_cndmask_b32_e32 v113, v113, v53, vcc
	v_cmp_eq_u32_e32 vcc, 20, v0
	v_cndmask_b32_e32 v113, v113, v54, vcc
	v_cmp_eq_u32_e32 vcc, 21, v0
	;; [unrolled: 2-line block ×3, first 2 shown]
	v_cndmask_b32_e32 v113, v113, v56, vcc
	s_waitcnt lgkmcnt(0)
	v_mul_f32_e32 v113, v113, v114
	s_cbranch_execz .LBB86_197
	s_branch .LBB86_198
.LBB86_196:
                                        ; implicit-def: $vgpr113
.LBB86_197:
	ds_read_b32 v113, v112
.LBB86_198:
	s_and_saveexec_b64 s[6:7], s[0:1]
	s_cbranch_execz .LBB86_208
; %bb.199:
	v_add_u32_e32 v114, -10, v0
	v_add_u32_e32 v115, -9, v0
	v_cmp_lt_u32_e32 vcc, 6, v114
	v_mov_b32_e32 v114, 9
	s_and_saveexec_b64 s[0:1], vcc
	s_cbranch_execz .LBB86_203
; %bb.200:
	v_and_b32_e32 v114, -8, v115
	v_sub_u32_e32 v116, 0, v114
	s_mov_b64 s[8:9], 16
	s_movk_i32 s12, 0x84
	s_mov_b64 s[10:11], 0
.LBB86_201:                             ; =>This Inner Loop Header: Depth=1
	s_add_i32 s13, s8, -7
	v_mov_b32_e32 v114, s12
	s_add_i32 s14, s8, -6
	s_set_gpr_idx_on s13, gpr_idx(SRC0)
	v_mov_b32_e32 v123, v34
	s_set_gpr_idx_off
	ds_read2_b32 v[117:118], v114 offset1:1
	s_add_i32 s15, s8, -5
	s_set_gpr_idx_on s14, gpr_idx(SRC0)
	v_mov_b32_e32 v124, v34
	s_set_gpr_idx_off
	s_add_i32 s16, s8, -4
	s_set_gpr_idx_on s15, gpr_idx(SRC0)
	v_mov_b32_e32 v125, v34
	s_set_gpr_idx_off
	ds_read2_b32 v[119:120], v114 offset0:2 offset1:3
	s_add_i32 s17, s8, -3
	s_set_gpr_idx_on s16, gpr_idx(SRC0)
	v_mov_b32_e32 v126, v34
	s_set_gpr_idx_off
	s_add_i32 s18, s8, -2
	s_set_gpr_idx_on s17, gpr_idx(SRC0)
	v_mov_b32_e32 v127, v34
	s_set_gpr_idx_off
	ds_read2_b32 v[121:122], v114 offset0:4 offset1:5
	s_add_i32 s19, s8, -1
	s_waitcnt lgkmcnt(2)
	v_fmac_f32_e32 v113, v123, v117
	s_set_gpr_idx_on s18, gpr_idx(SRC0)
	v_mov_b32_e32 v123, v34
	s_set_gpr_idx_off
	v_fmac_f32_e32 v113, v124, v118
	s_set_gpr_idx_on s19, gpr_idx(SRC0)
	v_mov_b32_e32 v124, v34
	s_set_gpr_idx_off
	ds_read2_b32 v[117:118], v114 offset0:6 offset1:7
	s_waitcnt lgkmcnt(2)
	v_fmac_f32_e32 v113, v125, v119
	s_set_gpr_idx_on s8, gpr_idx(SRC0)
	v_mov_b32_e32 v119, v34
	s_set_gpr_idx_off
	v_fmac_f32_e32 v113, v126, v120
	s_add_u32 s8, s8, 8
	s_waitcnt lgkmcnt(1)
	v_fmac_f32_e32 v113, v127, v121
	v_add_u32_e32 v114, s8, v116
	v_fmac_f32_e32 v113, v123, v122
	s_addc_u32 s9, s9, 0
	s_add_i32 s12, s12, 32
	s_add_i32 s13, s8, -7
	v_cmp_eq_u32_e32 vcc, 16, v114
	s_waitcnt lgkmcnt(0)
	v_fmac_f32_e32 v113, v124, v117
	v_mov_b32_e32 v114, s13
	s_or_b64 s[10:11], vcc, s[10:11]
	v_fmac_f32_e32 v113, v119, v118
	s_andn2_b64 exec, exec, s[10:11]
	s_cbranch_execnz .LBB86_201
; %bb.202:
	s_or_b64 exec, exec, s[10:11]
.LBB86_203:
	s_or_b64 exec, exec, s[0:1]
	v_and_b32_e32 v57, 7, v115
	v_cmp_ne_u32_e32 vcc, 0, v57
	s_and_saveexec_b64 s[8:9], vcc
	s_cbranch_execz .LBB86_207
; %bb.204:
	v_mov_b32_e32 v58, 0x60
	v_lshl_add_u32 v58, v114, 2, v58
	v_mov_b32_e32 v59, 0
	s_mov_b64 s[10:11], 0
.LBB86_205:                             ; =>This Inner Loop Header: Depth=1
	v_cmp_eq_u32_e32 vcc, 1, v114
	v_cndmask_b32_e32 v60, v34, v35, vcc
	v_add_u32_e32 v57, -1, v57
	v_cmp_eq_u32_e32 vcc, 2, v114
	v_cndmask_b32_e32 v60, v60, v36, vcc
	v_cmp_eq_u32_e32 vcc, 0, v57
	v_cmp_eq_u32_e64 s[0:1], 3, v114
	v_cndmask_b32_e64 v60, v60, v37, s[0:1]
	s_or_b64 s[10:11], vcc, s[10:11]
	v_cmp_eq_u32_e32 vcc, 4, v114
	v_cndmask_b32_e32 v60, v60, v38, vcc
	v_cmp_eq_u32_e32 vcc, 5, v114
	v_cndmask_b32_e32 v60, v60, v39, vcc
	;; [unrolled: 2-line block ×14, first 2 shown]
	v_cmp_eq_u32_e32 vcc, 18, v114
	ds_read_b32 v61, v58
	v_cndmask_b32_e32 v60, v60, v52, vcc
	v_cmp_eq_u32_e32 vcc, 19, v114
	v_cndmask_b32_e32 v60, v60, v53, vcc
	v_cmp_eq_u32_e32 vcc, 20, v114
	;; [unrolled: 2-line block ×4, first 2 shown]
	v_add_co_u32_e64 v114, s[0:1], 1, v114
	v_cndmask_b32_e32 v60, v60, v56, vcc
	v_add_u32_e32 v58, 4, v58
	v_addc_co_u32_e64 v59, s[0:1], 0, v59, s[0:1]
	s_waitcnt lgkmcnt(0)
	v_fmac_f32_e32 v113, v60, v61
	s_andn2_b64 exec, exec, s[10:11]
	s_cbranch_execnz .LBB86_205
; %bb.206:
	s_or_b64 exec, exec, s[10:11]
.LBB86_207:
	s_or_b64 exec, exec, s[8:9]
.LBB86_208:
	s_or_b64 exec, exec, s[6:7]
	v_mov_b32_e32 v42, 0
	ds_read_b32 v42, v42 offset:32
	s_waitcnt lgkmcnt(0)
	v_mul_f32_e32 v42, v113, v42
.LBB86_209:
	s_or_b64 exec, exec, s[4:5]
	v_cmp_lt_u32_e64 s[0:1], 7, v0
	ds_write_b32 v112, v41
	s_waitcnt lgkmcnt(0)
	; wave barrier
	s_and_saveexec_b64 s[4:5], s[0:1]
	s_cbranch_execz .LBB86_225
; %bb.210:
	s_andn2_b64 vcc, exec, s[50:51]
	s_cbranch_vccnz .LBB86_212
; %bb.211:
	v_cmp_eq_u32_e32 vcc, 1, v0
	v_cndmask_b32_e32 v113, v34, v35, vcc
	v_cmp_eq_u32_e32 vcc, 2, v0
	v_cndmask_b32_e32 v113, v113, v36, vcc
	;; [unrolled: 2-line block ×18, first 2 shown]
	v_cmp_eq_u32_e32 vcc, 19, v0
	ds_read_b32 v114, v112
	v_cndmask_b32_e32 v113, v113, v53, vcc
	v_cmp_eq_u32_e32 vcc, 20, v0
	v_cndmask_b32_e32 v113, v113, v54, vcc
	v_cmp_eq_u32_e32 vcc, 21, v0
	;; [unrolled: 2-line block ×3, first 2 shown]
	v_cndmask_b32_e32 v113, v113, v56, vcc
	s_waitcnt lgkmcnt(0)
	v_mul_f32_e32 v113, v113, v114
	s_cbranch_execz .LBB86_213
	s_branch .LBB86_214
.LBB86_212:
                                        ; implicit-def: $vgpr113
.LBB86_213:
	ds_read_b32 v113, v112
.LBB86_214:
	s_and_saveexec_b64 s[6:7], s[2:3]
	s_cbranch_execz .LBB86_224
; %bb.215:
	v_add_u32_e32 v114, -9, v0
	v_cmp_lt_u32_e32 vcc, 6, v114
	v_mov_b32_e32 v114, 8
	s_and_saveexec_b64 s[2:3], vcc
	s_cbranch_execz .LBB86_219
; %bb.216:
	v_and_b32_e32 v114, 24, v0
	v_sub_u32_e32 v115, 0, v114
	s_mov_b64 s[8:9], 15
	s_movk_i32 s12, 0x80
	s_mov_b64 s[10:11], 0
.LBB86_217:                             ; =>This Inner Loop Header: Depth=1
	s_add_i32 s13, s8, -7
	v_mov_b32_e32 v114, s12
	s_add_i32 s14, s8, -6
	s_set_gpr_idx_on s13, gpr_idx(SRC0)
	v_mov_b32_e32 v124, v34
	s_set_gpr_idx_off
	s_add_i32 s15, s8, -5
	ds_read_b128 v[116:119], v114
	ds_read_b128 v[120:123], v114 offset:16
	s_set_gpr_idx_on s14, gpr_idx(SRC0)
	v_mov_b32_e32 v114, v34
	s_set_gpr_idx_off
	s_add_i32 s16, s8, -4
	s_set_gpr_idx_on s15, gpr_idx(SRC0)
	v_mov_b32_e32 v125, v34
	s_set_gpr_idx_off
	s_add_i32 s17, s8, -3
	;; [unrolled: 4-line block ×4, first 2 shown]
	s_waitcnt lgkmcnt(1)
	v_fmac_f32_e32 v113, v124, v116
	s_set_gpr_idx_on s18, gpr_idx(SRC0)
	v_mov_b32_e32 v116, v34
	s_set_gpr_idx_off
	v_fmac_f32_e32 v113, v114, v117
	s_set_gpr_idx_on s19, gpr_idx(SRC0)
	v_mov_b32_e32 v117, v34
	s_set_gpr_idx_off
	v_fmac_f32_e32 v113, v125, v118
	s_set_gpr_idx_on s8, gpr_idx(SRC0)
	v_mov_b32_e32 v118, v34
	s_set_gpr_idx_off
	v_fmac_f32_e32 v113, v126, v119
	s_add_u32 s8, s8, 8
	s_waitcnt lgkmcnt(0)
	v_fmac_f32_e32 v113, v127, v120
	v_add_u32_e32 v114, s8, v115
	v_fmac_f32_e32 v113, v116, v121
	s_addc_u32 s9, s9, 0
	s_add_i32 s12, s12, 32
	s_add_i32 s13, s8, -7
	v_cmp_eq_u32_e32 vcc, 7, v114
	v_fmac_f32_e32 v113, v117, v122
	v_mov_b32_e32 v114, s13
	s_or_b64 s[10:11], vcc, s[10:11]
	v_fmac_f32_e32 v113, v118, v123
	s_andn2_b64 exec, exec, s[10:11]
	s_cbranch_execnz .LBB86_217
; %bb.218:
	s_or_b64 exec, exec, s[10:11]
.LBB86_219:
	s_or_b64 exec, exec, s[2:3]
	v_and_b32_e32 v57, 7, v0
	v_cmp_ne_u32_e32 vcc, 0, v57
	s_and_saveexec_b64 s[8:9], vcc
	s_cbranch_execz .LBB86_223
; %bb.220:
	v_mov_b32_e32 v58, 0x60
	v_lshl_add_u32 v58, v114, 2, v58
	v_mov_b32_e32 v59, 0
	s_mov_b64 s[10:11], 0
.LBB86_221:                             ; =>This Inner Loop Header: Depth=1
	v_cmp_eq_u32_e32 vcc, 1, v114
	v_cndmask_b32_e32 v60, v34, v35, vcc
	v_add_u32_e32 v57, -1, v57
	v_cmp_eq_u32_e32 vcc, 2, v114
	v_cndmask_b32_e32 v60, v60, v36, vcc
	v_cmp_eq_u32_e32 vcc, 0, v57
	v_cmp_eq_u32_e64 s[2:3], 3, v114
	v_cndmask_b32_e64 v60, v60, v37, s[2:3]
	s_or_b64 s[10:11], vcc, s[10:11]
	v_cmp_eq_u32_e32 vcc, 4, v114
	v_cndmask_b32_e32 v60, v60, v38, vcc
	v_cmp_eq_u32_e32 vcc, 5, v114
	v_cndmask_b32_e32 v60, v60, v39, vcc
	;; [unrolled: 2-line block ×14, first 2 shown]
	v_cmp_eq_u32_e32 vcc, 18, v114
	ds_read_b32 v61, v58
	v_cndmask_b32_e32 v60, v60, v52, vcc
	v_cmp_eq_u32_e32 vcc, 19, v114
	v_cndmask_b32_e32 v60, v60, v53, vcc
	v_cmp_eq_u32_e32 vcc, 20, v114
	;; [unrolled: 2-line block ×4, first 2 shown]
	v_add_co_u32_e64 v114, s[2:3], 1, v114
	v_cndmask_b32_e32 v60, v60, v56, vcc
	v_add_u32_e32 v58, 4, v58
	v_addc_co_u32_e64 v59, s[2:3], 0, v59, s[2:3]
	s_waitcnt lgkmcnt(0)
	v_fmac_f32_e32 v113, v60, v61
	s_andn2_b64 exec, exec, s[10:11]
	s_cbranch_execnz .LBB86_221
; %bb.222:
	s_or_b64 exec, exec, s[10:11]
.LBB86_223:
	s_or_b64 exec, exec, s[8:9]
.LBB86_224:
	s_or_b64 exec, exec, s[6:7]
	v_mov_b32_e32 v41, 0
	ds_read_b32 v41, v41 offset:28
	s_waitcnt lgkmcnt(0)
	v_mul_f32_e32 v41, v113, v41
.LBB86_225:
	s_or_b64 exec, exec, s[4:5]
	v_cmp_lt_u32_e64 s[2:3], 6, v0
	ds_write_b32 v112, v40
	s_waitcnt lgkmcnt(0)
	; wave barrier
	s_and_saveexec_b64 s[4:5], s[2:3]
	s_cbranch_execz .LBB86_241
; %bb.226:
	s_andn2_b64 vcc, exec, s[50:51]
	s_cbranch_vccnz .LBB86_228
; %bb.227:
	v_cmp_eq_u32_e32 vcc, 1, v0
	v_cndmask_b32_e32 v113, v34, v35, vcc
	v_cmp_eq_u32_e32 vcc, 2, v0
	v_cndmask_b32_e32 v113, v113, v36, vcc
	;; [unrolled: 2-line block ×18, first 2 shown]
	v_cmp_eq_u32_e32 vcc, 19, v0
	ds_read_b32 v114, v112
	v_cndmask_b32_e32 v113, v113, v53, vcc
	v_cmp_eq_u32_e32 vcc, 20, v0
	v_cndmask_b32_e32 v113, v113, v54, vcc
	v_cmp_eq_u32_e32 vcc, 21, v0
	;; [unrolled: 2-line block ×3, first 2 shown]
	v_cndmask_b32_e32 v113, v113, v56, vcc
	s_waitcnt lgkmcnt(0)
	v_mul_f32_e32 v113, v113, v114
	s_cbranch_execz .LBB86_229
	s_branch .LBB86_230
.LBB86_228:
                                        ; implicit-def: $vgpr113
.LBB86_229:
	ds_read_b32 v113, v112
.LBB86_230:
	s_and_saveexec_b64 s[6:7], s[0:1]
	s_cbranch_execz .LBB86_240
; %bb.231:
	v_add_u32_e32 v114, -8, v0
	v_add_u32_e32 v115, -7, v0
	v_cmp_lt_u32_e32 vcc, 6, v114
	v_mov_b32_e32 v114, 7
	s_and_saveexec_b64 s[0:1], vcc
	s_cbranch_execz .LBB86_235
; %bb.232:
	v_and_b32_e32 v114, -8, v115
	v_sub_u32_e32 v116, 0, v114
	s_mov_b64 s[8:9], 14
	s_movk_i32 s12, 0x7c
	s_mov_b64 s[10:11], 0
.LBB86_233:                             ; =>This Inner Loop Header: Depth=1
	s_add_i32 s13, s8, -7
	v_mov_b32_e32 v114, s12
	s_add_i32 s14, s8, -6
	s_set_gpr_idx_on s13, gpr_idx(SRC0)
	v_mov_b32_e32 v123, v34
	s_set_gpr_idx_off
	ds_read2_b32 v[117:118], v114 offset1:1
	s_add_i32 s15, s8, -5
	s_set_gpr_idx_on s14, gpr_idx(SRC0)
	v_mov_b32_e32 v124, v34
	s_set_gpr_idx_off
	s_add_i32 s16, s8, -4
	s_set_gpr_idx_on s15, gpr_idx(SRC0)
	v_mov_b32_e32 v125, v34
	s_set_gpr_idx_off
	ds_read2_b32 v[119:120], v114 offset0:2 offset1:3
	s_add_i32 s17, s8, -3
	s_set_gpr_idx_on s16, gpr_idx(SRC0)
	v_mov_b32_e32 v126, v34
	s_set_gpr_idx_off
	s_add_i32 s18, s8, -2
	s_set_gpr_idx_on s17, gpr_idx(SRC0)
	v_mov_b32_e32 v127, v34
	s_set_gpr_idx_off
	ds_read2_b32 v[121:122], v114 offset0:4 offset1:5
	s_add_i32 s19, s8, -1
	s_waitcnt lgkmcnt(2)
	v_fmac_f32_e32 v113, v123, v117
	s_set_gpr_idx_on s18, gpr_idx(SRC0)
	v_mov_b32_e32 v123, v34
	s_set_gpr_idx_off
	v_fmac_f32_e32 v113, v124, v118
	s_set_gpr_idx_on s19, gpr_idx(SRC0)
	v_mov_b32_e32 v124, v34
	s_set_gpr_idx_off
	ds_read2_b32 v[117:118], v114 offset0:6 offset1:7
	s_waitcnt lgkmcnt(2)
	v_fmac_f32_e32 v113, v125, v119
	s_set_gpr_idx_on s8, gpr_idx(SRC0)
	v_mov_b32_e32 v119, v34
	s_set_gpr_idx_off
	v_fmac_f32_e32 v113, v126, v120
	s_add_u32 s8, s8, 8
	s_waitcnt lgkmcnt(1)
	v_fmac_f32_e32 v113, v127, v121
	v_add_u32_e32 v114, s8, v116
	v_fmac_f32_e32 v113, v123, v122
	s_addc_u32 s9, s9, 0
	s_add_i32 s12, s12, 32
	s_add_i32 s13, s8, -7
	v_cmp_eq_u32_e32 vcc, 14, v114
	s_waitcnt lgkmcnt(0)
	v_fmac_f32_e32 v113, v124, v117
	v_mov_b32_e32 v114, s13
	s_or_b64 s[10:11], vcc, s[10:11]
	v_fmac_f32_e32 v113, v119, v118
	s_andn2_b64 exec, exec, s[10:11]
	s_cbranch_execnz .LBB86_233
; %bb.234:
	s_or_b64 exec, exec, s[10:11]
.LBB86_235:
	s_or_b64 exec, exec, s[0:1]
	v_and_b32_e32 v57, 7, v115
	v_cmp_ne_u32_e32 vcc, 0, v57
	s_and_saveexec_b64 s[8:9], vcc
	s_cbranch_execz .LBB86_239
; %bb.236:
	v_mov_b32_e32 v58, 0x60
	v_lshl_add_u32 v58, v114, 2, v58
	v_mov_b32_e32 v59, 0
	s_mov_b64 s[10:11], 0
.LBB86_237:                             ; =>This Inner Loop Header: Depth=1
	v_cmp_eq_u32_e32 vcc, 1, v114
	v_cndmask_b32_e32 v60, v34, v35, vcc
	v_add_u32_e32 v57, -1, v57
	v_cmp_eq_u32_e32 vcc, 2, v114
	v_cndmask_b32_e32 v60, v60, v36, vcc
	v_cmp_eq_u32_e32 vcc, 0, v57
	v_cmp_eq_u32_e64 s[0:1], 3, v114
	v_cndmask_b32_e64 v60, v60, v37, s[0:1]
	s_or_b64 s[10:11], vcc, s[10:11]
	v_cmp_eq_u32_e32 vcc, 4, v114
	v_cndmask_b32_e32 v60, v60, v38, vcc
	v_cmp_eq_u32_e32 vcc, 5, v114
	v_cndmask_b32_e32 v60, v60, v39, vcc
	;; [unrolled: 2-line block ×14, first 2 shown]
	v_cmp_eq_u32_e32 vcc, 18, v114
	ds_read_b32 v61, v58
	v_cndmask_b32_e32 v60, v60, v52, vcc
	v_cmp_eq_u32_e32 vcc, 19, v114
	v_cndmask_b32_e32 v60, v60, v53, vcc
	v_cmp_eq_u32_e32 vcc, 20, v114
	;; [unrolled: 2-line block ×4, first 2 shown]
	v_add_co_u32_e64 v114, s[0:1], 1, v114
	v_cndmask_b32_e32 v60, v60, v56, vcc
	v_add_u32_e32 v58, 4, v58
	v_addc_co_u32_e64 v59, s[0:1], 0, v59, s[0:1]
	s_waitcnt lgkmcnt(0)
	v_fmac_f32_e32 v113, v60, v61
	s_andn2_b64 exec, exec, s[10:11]
	s_cbranch_execnz .LBB86_237
; %bb.238:
	s_or_b64 exec, exec, s[10:11]
.LBB86_239:
	s_or_b64 exec, exec, s[8:9]
.LBB86_240:
	s_or_b64 exec, exec, s[6:7]
	v_mov_b32_e32 v40, 0
	ds_read_b32 v40, v40 offset:24
	s_waitcnt lgkmcnt(0)
	v_mul_f32_e32 v40, v113, v40
.LBB86_241:
	s_or_b64 exec, exec, s[4:5]
	v_cmp_lt_u32_e64 s[0:1], 5, v0
	ds_write_b32 v112, v39
	s_waitcnt lgkmcnt(0)
	; wave barrier
	s_and_saveexec_b64 s[4:5], s[0:1]
	s_cbranch_execz .LBB86_257
; %bb.242:
	s_andn2_b64 vcc, exec, s[50:51]
	s_cbranch_vccnz .LBB86_244
; %bb.243:
	v_cmp_eq_u32_e32 vcc, 1, v0
	v_cndmask_b32_e32 v113, v34, v35, vcc
	v_cmp_eq_u32_e32 vcc, 2, v0
	v_cndmask_b32_e32 v113, v113, v36, vcc
	;; [unrolled: 2-line block ×18, first 2 shown]
	v_cmp_eq_u32_e32 vcc, 19, v0
	ds_read_b32 v114, v112
	v_cndmask_b32_e32 v113, v113, v53, vcc
	v_cmp_eq_u32_e32 vcc, 20, v0
	v_cndmask_b32_e32 v113, v113, v54, vcc
	v_cmp_eq_u32_e32 vcc, 21, v0
	;; [unrolled: 2-line block ×3, first 2 shown]
	v_cndmask_b32_e32 v113, v113, v56, vcc
	s_waitcnt lgkmcnt(0)
	v_mul_f32_e32 v113, v113, v114
	s_cbranch_execz .LBB86_245
	s_branch .LBB86_246
.LBB86_244:
                                        ; implicit-def: $vgpr113
.LBB86_245:
	ds_read_b32 v113, v112
.LBB86_246:
	s_and_saveexec_b64 s[6:7], s[2:3]
	s_cbranch_execz .LBB86_256
; %bb.247:
	v_add_u32_e32 v116, -7, v0
	v_add_u32_e32 v115, -6, v0
	v_mov_b32_e32 v114, 6
	v_cmp_lt_u32_e32 vcc, 6, v116
	s_and_saveexec_b64 s[2:3], vcc
	s_cbranch_execz .LBB86_251
; %bb.248:
	v_and_b32_e32 v114, -8, v115
	v_sub_u32_e32 v116, 0, v114
	s_mov_b64 s[8:9], 13
	s_movk_i32 s12, 0x78
	s_mov_b64 s[10:11], 0
.LBB86_249:                             ; =>This Inner Loop Header: Depth=1
	s_add_i32 s13, s8, -7
	v_mov_b32_e32 v121, s12
	s_set_gpr_idx_on s13, gpr_idx(SRC0)
	v_mov_b32_e32 v114, v34
	s_set_gpr_idx_off
	ds_read2_b64 v[117:120], v121 offset1:1
	s_add_i32 s13, s8, -6
	s_waitcnt lgkmcnt(0)
	v_fmac_f32_e32 v113, v114, v117
	s_set_gpr_idx_on s13, gpr_idx(SRC0)
	v_mov_b32_e32 v114, v34
	s_set_gpr_idx_off
	s_add_i32 s13, s8, -5
	v_fmac_f32_e32 v113, v114, v118
	s_set_gpr_idx_on s13, gpr_idx(SRC0)
	v_mov_b32_e32 v114, v34
	s_set_gpr_idx_off
	s_add_i32 s13, s8, -4
	;; [unrolled: 5-line block ×3, first 2 shown]
	v_fmac_f32_e32 v113, v114, v120
	s_set_gpr_idx_on s13, gpr_idx(SRC0)
	v_mov_b32_e32 v114, v34
	s_set_gpr_idx_off
	ds_read2_b64 v[117:120], v121 offset0:2 offset1:3
	s_add_i32 s13, s8, -2
	s_waitcnt lgkmcnt(0)
	v_fmac_f32_e32 v113, v114, v117
	s_set_gpr_idx_on s13, gpr_idx(SRC0)
	v_mov_b32_e32 v114, v34
	s_set_gpr_idx_off
	s_add_i32 s13, s8, -1
	v_fmac_f32_e32 v113, v114, v118
	s_set_gpr_idx_on s13, gpr_idx(SRC0)
	v_mov_b32_e32 v114, v34
	s_set_gpr_idx_off
	v_fmac_f32_e32 v113, v114, v119
	s_set_gpr_idx_on s8, gpr_idx(SRC0)
	v_mov_b32_e32 v114, v34
	s_set_gpr_idx_off
	s_add_u32 s8, s8, 8
	v_fmac_f32_e32 v113, v114, v120
	v_add_u32_e32 v114, s8, v116
	s_addc_u32 s9, s9, 0
	s_add_i32 s12, s12, 32
	v_cmp_eq_u32_e32 vcc, 13, v114
	s_add_i32 s13, s8, -7
	s_or_b64 s[10:11], vcc, s[10:11]
	v_mov_b32_e32 v114, s13
	s_andn2_b64 exec, exec, s[10:11]
	s_cbranch_execnz .LBB86_249
; %bb.250:
	s_or_b64 exec, exec, s[10:11]
.LBB86_251:
	s_or_b64 exec, exec, s[2:3]
	v_and_b32_e32 v57, 7, v115
	v_cmp_ne_u32_e32 vcc, 0, v57
	s_and_saveexec_b64 s[8:9], vcc
	s_cbranch_execz .LBB86_255
; %bb.252:
	v_mov_b32_e32 v58, 0x60
	v_lshl_add_u32 v58, v114, 2, v58
	v_mov_b32_e32 v59, 0
	s_mov_b64 s[10:11], 0
.LBB86_253:                             ; =>This Inner Loop Header: Depth=1
	v_cmp_eq_u32_e32 vcc, 1, v114
	v_cndmask_b32_e32 v60, v34, v35, vcc
	v_add_u32_e32 v57, -1, v57
	v_cmp_eq_u32_e32 vcc, 2, v114
	v_cndmask_b32_e32 v60, v60, v36, vcc
	v_cmp_eq_u32_e32 vcc, 0, v57
	v_cmp_eq_u32_e64 s[2:3], 3, v114
	v_cndmask_b32_e64 v60, v60, v37, s[2:3]
	s_or_b64 s[10:11], vcc, s[10:11]
	v_cmp_eq_u32_e32 vcc, 4, v114
	v_cndmask_b32_e32 v60, v60, v38, vcc
	v_cmp_eq_u32_e32 vcc, 5, v114
	v_cndmask_b32_e32 v60, v60, v39, vcc
	;; [unrolled: 2-line block ×14, first 2 shown]
	v_cmp_eq_u32_e32 vcc, 18, v114
	ds_read_b32 v61, v58
	v_cndmask_b32_e32 v60, v60, v52, vcc
	v_cmp_eq_u32_e32 vcc, 19, v114
	v_cndmask_b32_e32 v60, v60, v53, vcc
	v_cmp_eq_u32_e32 vcc, 20, v114
	;; [unrolled: 2-line block ×4, first 2 shown]
	v_add_co_u32_e64 v114, s[2:3], 1, v114
	v_cndmask_b32_e32 v60, v60, v56, vcc
	v_add_u32_e32 v58, 4, v58
	v_addc_co_u32_e64 v59, s[2:3], 0, v59, s[2:3]
	s_waitcnt lgkmcnt(0)
	v_fmac_f32_e32 v113, v60, v61
	s_andn2_b64 exec, exec, s[10:11]
	s_cbranch_execnz .LBB86_253
; %bb.254:
	s_or_b64 exec, exec, s[10:11]
.LBB86_255:
	s_or_b64 exec, exec, s[8:9]
.LBB86_256:
	s_or_b64 exec, exec, s[6:7]
	v_mov_b32_e32 v39, 0
	ds_read_b32 v39, v39 offset:20
	s_waitcnt lgkmcnt(0)
	v_mul_f32_e32 v39, v113, v39
.LBB86_257:
	s_or_b64 exec, exec, s[4:5]
	v_cmp_lt_u32_e64 s[2:3], 4, v0
	ds_write_b32 v112, v38
	s_waitcnt lgkmcnt(0)
	; wave barrier
	s_and_saveexec_b64 s[4:5], s[2:3]
	s_cbranch_execz .LBB86_273
; %bb.258:
	s_andn2_b64 vcc, exec, s[50:51]
	s_cbranch_vccnz .LBB86_260
; %bb.259:
	v_cmp_eq_u32_e32 vcc, 1, v0
	v_cndmask_b32_e32 v113, v34, v35, vcc
	v_cmp_eq_u32_e32 vcc, 2, v0
	v_cndmask_b32_e32 v113, v113, v36, vcc
	;; [unrolled: 2-line block ×18, first 2 shown]
	v_cmp_eq_u32_e32 vcc, 19, v0
	ds_read_b32 v114, v112
	v_cndmask_b32_e32 v113, v113, v53, vcc
	v_cmp_eq_u32_e32 vcc, 20, v0
	v_cndmask_b32_e32 v113, v113, v54, vcc
	v_cmp_eq_u32_e32 vcc, 21, v0
	;; [unrolled: 2-line block ×3, first 2 shown]
	v_cndmask_b32_e32 v113, v113, v56, vcc
	s_waitcnt lgkmcnt(0)
	v_mul_f32_e32 v113, v113, v114
	s_cbranch_execz .LBB86_261
	s_branch .LBB86_262
.LBB86_260:
                                        ; implicit-def: $vgpr113
.LBB86_261:
	ds_read_b32 v113, v112
.LBB86_262:
	s_and_saveexec_b64 s[6:7], s[0:1]
	s_cbranch_execz .LBB86_272
; %bb.263:
	v_add_u32_e32 v114, -6, v0
	v_add_u32_e32 v115, -5, v0
	v_cmp_lt_u32_e32 vcc, 6, v114
	v_mov_b32_e32 v114, 5
	s_and_saveexec_b64 s[0:1], vcc
	s_cbranch_execz .LBB86_267
; %bb.264:
	v_and_b32_e32 v114, -8, v115
	v_sub_u32_e32 v116, 0, v114
	s_mov_b64 s[8:9], 12
	s_movk_i32 s12, 0x74
	s_mov_b64 s[10:11], 0
.LBB86_265:                             ; =>This Inner Loop Header: Depth=1
	s_add_i32 s13, s8, -7
	v_mov_b32_e32 v114, s12
	s_add_i32 s14, s8, -6
	s_set_gpr_idx_on s13, gpr_idx(SRC0)
	v_mov_b32_e32 v123, v34
	s_set_gpr_idx_off
	ds_read2_b32 v[117:118], v114 offset1:1
	s_add_i32 s15, s8, -5
	s_set_gpr_idx_on s14, gpr_idx(SRC0)
	v_mov_b32_e32 v124, v34
	s_set_gpr_idx_off
	s_add_i32 s16, s8, -4
	s_set_gpr_idx_on s15, gpr_idx(SRC0)
	v_mov_b32_e32 v125, v34
	s_set_gpr_idx_off
	ds_read2_b32 v[119:120], v114 offset0:2 offset1:3
	s_add_i32 s17, s8, -3
	s_set_gpr_idx_on s16, gpr_idx(SRC0)
	v_mov_b32_e32 v126, v34
	s_set_gpr_idx_off
	s_add_i32 s18, s8, -2
	s_set_gpr_idx_on s17, gpr_idx(SRC0)
	v_mov_b32_e32 v127, v34
	s_set_gpr_idx_off
	ds_read2_b32 v[121:122], v114 offset0:4 offset1:5
	s_add_i32 s19, s8, -1
	s_waitcnt lgkmcnt(2)
	v_fmac_f32_e32 v113, v123, v117
	s_set_gpr_idx_on s18, gpr_idx(SRC0)
	v_mov_b32_e32 v123, v34
	s_set_gpr_idx_off
	v_fmac_f32_e32 v113, v124, v118
	s_set_gpr_idx_on s19, gpr_idx(SRC0)
	v_mov_b32_e32 v124, v34
	s_set_gpr_idx_off
	ds_read2_b32 v[117:118], v114 offset0:6 offset1:7
	s_waitcnt lgkmcnt(2)
	v_fmac_f32_e32 v113, v125, v119
	s_set_gpr_idx_on s8, gpr_idx(SRC0)
	v_mov_b32_e32 v119, v34
	s_set_gpr_idx_off
	v_fmac_f32_e32 v113, v126, v120
	s_add_u32 s8, s8, 8
	s_waitcnt lgkmcnt(1)
	v_fmac_f32_e32 v113, v127, v121
	v_add_u32_e32 v114, s8, v116
	v_fmac_f32_e32 v113, v123, v122
	s_addc_u32 s9, s9, 0
	s_add_i32 s12, s12, 32
	s_add_i32 s13, s8, -7
	v_cmp_eq_u32_e32 vcc, 12, v114
	s_waitcnt lgkmcnt(0)
	v_fmac_f32_e32 v113, v124, v117
	v_mov_b32_e32 v114, s13
	s_or_b64 s[10:11], vcc, s[10:11]
	v_fmac_f32_e32 v113, v119, v118
	s_andn2_b64 exec, exec, s[10:11]
	s_cbranch_execnz .LBB86_265
; %bb.266:
	s_or_b64 exec, exec, s[10:11]
.LBB86_267:
	s_or_b64 exec, exec, s[0:1]
	v_and_b32_e32 v57, 7, v115
	v_cmp_ne_u32_e32 vcc, 0, v57
	s_and_saveexec_b64 s[8:9], vcc
	s_cbranch_execz .LBB86_271
; %bb.268:
	v_mov_b32_e32 v58, 0x60
	v_lshl_add_u32 v58, v114, 2, v58
	v_mov_b32_e32 v59, 0
	s_mov_b64 s[10:11], 0
.LBB86_269:                             ; =>This Inner Loop Header: Depth=1
	v_cmp_eq_u32_e32 vcc, 1, v114
	v_cndmask_b32_e32 v60, v34, v35, vcc
	v_add_u32_e32 v57, -1, v57
	v_cmp_eq_u32_e32 vcc, 2, v114
	v_cndmask_b32_e32 v60, v60, v36, vcc
	v_cmp_eq_u32_e32 vcc, 0, v57
	v_cmp_eq_u32_e64 s[0:1], 3, v114
	v_cndmask_b32_e64 v60, v60, v37, s[0:1]
	s_or_b64 s[10:11], vcc, s[10:11]
	v_cmp_eq_u32_e32 vcc, 4, v114
	v_cndmask_b32_e32 v60, v60, v38, vcc
	v_cmp_eq_u32_e32 vcc, 5, v114
	v_cndmask_b32_e32 v60, v60, v39, vcc
	;; [unrolled: 2-line block ×14, first 2 shown]
	v_cmp_eq_u32_e32 vcc, 18, v114
	ds_read_b32 v61, v58
	v_cndmask_b32_e32 v60, v60, v52, vcc
	v_cmp_eq_u32_e32 vcc, 19, v114
	v_cndmask_b32_e32 v60, v60, v53, vcc
	v_cmp_eq_u32_e32 vcc, 20, v114
	;; [unrolled: 2-line block ×4, first 2 shown]
	v_add_co_u32_e64 v114, s[0:1], 1, v114
	v_cndmask_b32_e32 v60, v60, v56, vcc
	v_add_u32_e32 v58, 4, v58
	v_addc_co_u32_e64 v59, s[0:1], 0, v59, s[0:1]
	s_waitcnt lgkmcnt(0)
	v_fmac_f32_e32 v113, v60, v61
	s_andn2_b64 exec, exec, s[10:11]
	s_cbranch_execnz .LBB86_269
; %bb.270:
	s_or_b64 exec, exec, s[10:11]
.LBB86_271:
	s_or_b64 exec, exec, s[8:9]
.LBB86_272:
	s_or_b64 exec, exec, s[6:7]
	v_mov_b32_e32 v38, 0
	ds_read_b32 v38, v38 offset:16
	s_waitcnt lgkmcnt(0)
	v_mul_f32_e32 v38, v113, v38
.LBB86_273:
	s_or_b64 exec, exec, s[4:5]
	v_cmp_lt_u32_e64 s[0:1], 3, v0
	ds_write_b32 v112, v37
	s_waitcnt lgkmcnt(0)
	; wave barrier
	s_and_saveexec_b64 s[4:5], s[0:1]
	s_cbranch_execz .LBB86_289
; %bb.274:
	s_andn2_b64 vcc, exec, s[50:51]
	s_cbranch_vccnz .LBB86_276
; %bb.275:
	v_cmp_eq_u32_e32 vcc, 1, v0
	v_cndmask_b32_e32 v113, v34, v35, vcc
	v_cmp_eq_u32_e32 vcc, 2, v0
	v_cndmask_b32_e32 v113, v113, v36, vcc
	;; [unrolled: 2-line block ×18, first 2 shown]
	v_cmp_eq_u32_e32 vcc, 19, v0
	ds_read_b32 v114, v112
	v_cndmask_b32_e32 v113, v113, v53, vcc
	v_cmp_eq_u32_e32 vcc, 20, v0
	v_cndmask_b32_e32 v113, v113, v54, vcc
	v_cmp_eq_u32_e32 vcc, 21, v0
	;; [unrolled: 2-line block ×3, first 2 shown]
	v_cndmask_b32_e32 v113, v113, v56, vcc
	s_waitcnt lgkmcnt(0)
	v_mul_f32_e32 v113, v113, v114
	s_cbranch_execz .LBB86_277
	s_branch .LBB86_278
.LBB86_276:
                                        ; implicit-def: $vgpr113
.LBB86_277:
	ds_read_b32 v113, v112
.LBB86_278:
	s_and_saveexec_b64 s[6:7], s[2:3]
	s_cbranch_execz .LBB86_288
; %bb.279:
	v_add_u32_e32 v114, -5, v0
	v_add_u32_e32 v115, -4, v0
	v_cmp_lt_u32_e32 vcc, 6, v114
	v_mov_b32_e32 v114, 4
	s_and_saveexec_b64 s[2:3], vcc
	s_cbranch_execz .LBB86_283
; %bb.280:
	v_and_b32_e32 v114, -8, v115
	v_sub_u32_e32 v116, 0, v114
	s_mov_b64 s[8:9], 5
	s_movk_i32 s12, 0x70
	s_mov_b64 s[10:11], 0
.LBB86_281:                             ; =>This Inner Loop Header: Depth=1
	s_add_i32 s13, s8, -1
	v_mov_b32_e32 v121, s12
	s_set_gpr_idx_on s13, gpr_idx(SRC0)
	v_mov_b32_e32 v114, v34
	s_set_gpr_idx_off
	ds_read_b128 v[117:120], v121
	ds_read_b128 v[121:124], v121 offset:16
	s_add_i32 s13, s8, 1
	s_waitcnt lgkmcnt(1)
	v_fmac_f32_e32 v113, v114, v117
	s_set_gpr_idx_on s8, gpr_idx(SRC0)
	v_mov_b32_e32 v114, v34
	s_set_gpr_idx_off
	v_fmac_f32_e32 v113, v114, v118
	s_set_gpr_idx_on s13, gpr_idx(SRC0)
	v_mov_b32_e32 v114, v34
	s_set_gpr_idx_off
	s_add_i32 s13, s8, 2
	v_fmac_f32_e32 v113, v114, v119
	s_set_gpr_idx_on s13, gpr_idx(SRC0)
	v_mov_b32_e32 v114, v34
	s_set_gpr_idx_off
	s_add_i32 s13, s8, 3
	;; [unrolled: 5-line block ×3, first 2 shown]
	s_waitcnt lgkmcnt(0)
	v_fmac_f32_e32 v113, v114, v121
	s_set_gpr_idx_on s13, gpr_idx(SRC0)
	v_mov_b32_e32 v114, v34
	s_set_gpr_idx_off
	s_add_i32 s13, s8, 5
	v_fmac_f32_e32 v113, v114, v122
	s_set_gpr_idx_on s13, gpr_idx(SRC0)
	v_mov_b32_e32 v114, v34
	s_set_gpr_idx_off
	s_add_i32 s13, s8, 6
	v_fmac_f32_e32 v113, v114, v123
	s_set_gpr_idx_on s13, gpr_idx(SRC0)
	v_mov_b32_e32 v114, v34
	s_set_gpr_idx_off
	s_add_u32 s8, s8, 8
	v_fmac_f32_e32 v113, v114, v124
	v_add_u32_e32 v114, s8, v116
	s_addc_u32 s9, s9, 0
	s_add_i32 s12, s12, 32
	v_cmp_eq_u32_e32 vcc, 5, v114
	s_add_i32 s13, s8, -1
	s_or_b64 s[10:11], vcc, s[10:11]
	v_mov_b32_e32 v114, s13
	s_andn2_b64 exec, exec, s[10:11]
	s_cbranch_execnz .LBB86_281
; %bb.282:
	s_or_b64 exec, exec, s[10:11]
.LBB86_283:
	s_or_b64 exec, exec, s[2:3]
	v_and_b32_e32 v57, 7, v115
	v_cmp_ne_u32_e32 vcc, 0, v57
	s_and_saveexec_b64 s[8:9], vcc
	s_cbranch_execz .LBB86_287
; %bb.284:
	v_mov_b32_e32 v58, 0x60
	v_lshl_add_u32 v58, v114, 2, v58
	v_mov_b32_e32 v59, 0
	s_mov_b64 s[10:11], 0
.LBB86_285:                             ; =>This Inner Loop Header: Depth=1
	v_cmp_eq_u32_e32 vcc, 1, v114
	v_cndmask_b32_e32 v60, v34, v35, vcc
	v_add_u32_e32 v57, -1, v57
	v_cmp_eq_u32_e32 vcc, 2, v114
	v_cndmask_b32_e32 v60, v60, v36, vcc
	v_cmp_eq_u32_e32 vcc, 0, v57
	v_cmp_eq_u32_e64 s[2:3], 3, v114
	v_cndmask_b32_e64 v60, v60, v37, s[2:3]
	s_or_b64 s[10:11], vcc, s[10:11]
	v_cmp_eq_u32_e32 vcc, 4, v114
	v_cndmask_b32_e32 v60, v60, v38, vcc
	v_cmp_eq_u32_e32 vcc, 5, v114
	v_cndmask_b32_e32 v60, v60, v39, vcc
	;; [unrolled: 2-line block ×14, first 2 shown]
	v_cmp_eq_u32_e32 vcc, 18, v114
	ds_read_b32 v61, v58
	v_cndmask_b32_e32 v60, v60, v52, vcc
	v_cmp_eq_u32_e32 vcc, 19, v114
	v_cndmask_b32_e32 v60, v60, v53, vcc
	v_cmp_eq_u32_e32 vcc, 20, v114
	;; [unrolled: 2-line block ×4, first 2 shown]
	v_add_co_u32_e64 v114, s[2:3], 1, v114
	v_cndmask_b32_e32 v60, v60, v56, vcc
	v_add_u32_e32 v58, 4, v58
	v_addc_co_u32_e64 v59, s[2:3], 0, v59, s[2:3]
	s_waitcnt lgkmcnt(0)
	v_fmac_f32_e32 v113, v60, v61
	s_andn2_b64 exec, exec, s[10:11]
	s_cbranch_execnz .LBB86_285
; %bb.286:
	s_or_b64 exec, exec, s[10:11]
.LBB86_287:
	s_or_b64 exec, exec, s[8:9]
.LBB86_288:
	s_or_b64 exec, exec, s[6:7]
	v_mov_b32_e32 v37, 0
	ds_read_b32 v37, v37 offset:12
	s_waitcnt lgkmcnt(0)
	v_mul_f32_e32 v37, v113, v37
.LBB86_289:
	s_or_b64 exec, exec, s[4:5]
	v_cmp_lt_u32_e64 s[2:3], 2, v0
	ds_write_b32 v112, v36
	s_waitcnt lgkmcnt(0)
	; wave barrier
	s_and_saveexec_b64 s[4:5], s[2:3]
	s_cbranch_execz .LBB86_305
; %bb.290:
	s_andn2_b64 vcc, exec, s[50:51]
	s_cbranch_vccnz .LBB86_292
; %bb.291:
	v_cmp_eq_u32_e32 vcc, 1, v0
	v_cndmask_b32_e32 v113, v34, v35, vcc
	v_cmp_eq_u32_e32 vcc, 2, v0
	v_cndmask_b32_e32 v113, v113, v36, vcc
	;; [unrolled: 2-line block ×18, first 2 shown]
	v_cmp_eq_u32_e32 vcc, 19, v0
	ds_read_b32 v114, v112
	v_cndmask_b32_e32 v113, v113, v53, vcc
	v_cmp_eq_u32_e32 vcc, 20, v0
	v_cndmask_b32_e32 v113, v113, v54, vcc
	v_cmp_eq_u32_e32 vcc, 21, v0
	;; [unrolled: 2-line block ×3, first 2 shown]
	v_cndmask_b32_e32 v113, v113, v56, vcc
	s_waitcnt lgkmcnt(0)
	v_mul_f32_e32 v113, v113, v114
	s_cbranch_execz .LBB86_293
	s_branch .LBB86_294
.LBB86_292:
                                        ; implicit-def: $vgpr113
.LBB86_293:
	ds_read_b32 v113, v112
.LBB86_294:
	s_and_saveexec_b64 s[6:7], s[0:1]
	s_cbranch_execz .LBB86_304
; %bb.295:
	v_add_u32_e32 v114, -4, v0
	v_add_u32_e32 v115, -3, v0
	v_cmp_lt_u32_e32 vcc, 6, v114
	v_mov_b32_e32 v114, 3
	s_and_saveexec_b64 s[0:1], vcc
	s_cbranch_execz .LBB86_299
; %bb.296:
	v_and_b32_e32 v114, -8, v115
	v_sub_u32_e32 v116, 0, v114
	s_mov_b64 s[8:9], 10
	s_movk_i32 s12, 0x6c
	s_mov_b64 s[10:11], 0
.LBB86_297:                             ; =>This Inner Loop Header: Depth=1
	s_add_i32 s13, s8, -7
	v_mov_b32_e32 v114, s12
	s_add_i32 s14, s8, -6
	s_set_gpr_idx_on s13, gpr_idx(SRC0)
	v_mov_b32_e32 v123, v34
	s_set_gpr_idx_off
	ds_read2_b32 v[117:118], v114 offset1:1
	s_add_i32 s15, s8, -5
	s_set_gpr_idx_on s14, gpr_idx(SRC0)
	v_mov_b32_e32 v124, v34
	s_set_gpr_idx_off
	s_add_i32 s16, s8, -4
	s_set_gpr_idx_on s15, gpr_idx(SRC0)
	v_mov_b32_e32 v125, v34
	s_set_gpr_idx_off
	ds_read2_b32 v[119:120], v114 offset0:2 offset1:3
	s_add_i32 s17, s8, -3
	s_set_gpr_idx_on s16, gpr_idx(SRC0)
	v_mov_b32_e32 v126, v34
	s_set_gpr_idx_off
	s_add_i32 s18, s8, -2
	s_set_gpr_idx_on s17, gpr_idx(SRC0)
	v_mov_b32_e32 v127, v34
	s_set_gpr_idx_off
	ds_read2_b32 v[121:122], v114 offset0:4 offset1:5
	s_add_i32 s19, s8, -1
	s_waitcnt lgkmcnt(2)
	v_fmac_f32_e32 v113, v123, v117
	s_set_gpr_idx_on s18, gpr_idx(SRC0)
	v_mov_b32_e32 v123, v34
	s_set_gpr_idx_off
	v_fmac_f32_e32 v113, v124, v118
	s_set_gpr_idx_on s19, gpr_idx(SRC0)
	v_mov_b32_e32 v124, v34
	s_set_gpr_idx_off
	ds_read2_b32 v[117:118], v114 offset0:6 offset1:7
	s_waitcnt lgkmcnt(2)
	v_fmac_f32_e32 v113, v125, v119
	s_set_gpr_idx_on s8, gpr_idx(SRC0)
	v_mov_b32_e32 v119, v34
	s_set_gpr_idx_off
	v_fmac_f32_e32 v113, v126, v120
	s_add_u32 s8, s8, 8
	s_waitcnt lgkmcnt(1)
	v_fmac_f32_e32 v113, v127, v121
	v_add_u32_e32 v114, s8, v116
	v_fmac_f32_e32 v113, v123, v122
	s_addc_u32 s9, s9, 0
	s_add_i32 s12, s12, 32
	s_add_i32 s13, s8, -7
	v_cmp_eq_u32_e32 vcc, 10, v114
	s_waitcnt lgkmcnt(0)
	v_fmac_f32_e32 v113, v124, v117
	v_mov_b32_e32 v114, s13
	s_or_b64 s[10:11], vcc, s[10:11]
	v_fmac_f32_e32 v113, v119, v118
	s_andn2_b64 exec, exec, s[10:11]
	s_cbranch_execnz .LBB86_297
; %bb.298:
	s_or_b64 exec, exec, s[10:11]
.LBB86_299:
	s_or_b64 exec, exec, s[0:1]
	v_and_b32_e32 v57, 7, v115
	v_cmp_ne_u32_e32 vcc, 0, v57
	s_and_saveexec_b64 s[8:9], vcc
	s_cbranch_execz .LBB86_303
; %bb.300:
	v_mov_b32_e32 v58, 0x60
	v_lshl_add_u32 v58, v114, 2, v58
	v_mov_b32_e32 v59, 0
	s_mov_b64 s[10:11], 0
.LBB86_301:                             ; =>This Inner Loop Header: Depth=1
	v_cmp_eq_u32_e32 vcc, 1, v114
	v_cndmask_b32_e32 v60, v34, v35, vcc
	v_add_u32_e32 v57, -1, v57
	v_cmp_eq_u32_e32 vcc, 2, v114
	v_cndmask_b32_e32 v60, v60, v36, vcc
	v_cmp_eq_u32_e32 vcc, 0, v57
	v_cmp_eq_u32_e64 s[0:1], 3, v114
	v_cndmask_b32_e64 v60, v60, v37, s[0:1]
	s_or_b64 s[10:11], vcc, s[10:11]
	v_cmp_eq_u32_e32 vcc, 4, v114
	v_cndmask_b32_e32 v60, v60, v38, vcc
	v_cmp_eq_u32_e32 vcc, 5, v114
	v_cndmask_b32_e32 v60, v60, v39, vcc
	;; [unrolled: 2-line block ×14, first 2 shown]
	v_cmp_eq_u32_e32 vcc, 18, v114
	ds_read_b32 v61, v58
	v_cndmask_b32_e32 v60, v60, v52, vcc
	v_cmp_eq_u32_e32 vcc, 19, v114
	v_cndmask_b32_e32 v60, v60, v53, vcc
	v_cmp_eq_u32_e32 vcc, 20, v114
	;; [unrolled: 2-line block ×4, first 2 shown]
	v_add_co_u32_e64 v114, s[0:1], 1, v114
	v_cndmask_b32_e32 v60, v60, v56, vcc
	v_add_u32_e32 v58, 4, v58
	v_addc_co_u32_e64 v59, s[0:1], 0, v59, s[0:1]
	s_waitcnt lgkmcnt(0)
	v_fmac_f32_e32 v113, v60, v61
	s_andn2_b64 exec, exec, s[10:11]
	s_cbranch_execnz .LBB86_301
; %bb.302:
	s_or_b64 exec, exec, s[10:11]
.LBB86_303:
	s_or_b64 exec, exec, s[8:9]
.LBB86_304:
	s_or_b64 exec, exec, s[6:7]
	v_mov_b32_e32 v36, 0
	ds_read_b32 v36, v36 offset:8
	s_waitcnt lgkmcnt(0)
	v_mul_f32_e32 v36, v113, v36
.LBB86_305:
	s_or_b64 exec, exec, s[4:5]
	v_cmp_lt_u32_e64 s[0:1], 1, v0
	ds_write_b32 v112, v35
	s_waitcnt lgkmcnt(0)
	; wave barrier
	s_and_saveexec_b64 s[4:5], s[0:1]
	s_cbranch_execz .LBB86_321
; %bb.306:
	s_andn2_b64 vcc, exec, s[50:51]
	s_cbranch_vccnz .LBB86_308
; %bb.307:
	v_cmp_eq_u32_e32 vcc, 1, v0
	v_cndmask_b32_e32 v113, v34, v35, vcc
	v_cmp_eq_u32_e32 vcc, 2, v0
	v_cndmask_b32_e32 v113, v113, v36, vcc
	;; [unrolled: 2-line block ×18, first 2 shown]
	v_cmp_eq_u32_e32 vcc, 19, v0
	ds_read_b32 v114, v112
	v_cndmask_b32_e32 v113, v113, v53, vcc
	v_cmp_eq_u32_e32 vcc, 20, v0
	v_cndmask_b32_e32 v113, v113, v54, vcc
	v_cmp_eq_u32_e32 vcc, 21, v0
	;; [unrolled: 2-line block ×3, first 2 shown]
	v_cndmask_b32_e32 v113, v113, v56, vcc
	s_waitcnt lgkmcnt(0)
	v_mul_f32_e32 v113, v113, v114
	s_cbranch_execz .LBB86_309
	s_branch .LBB86_310
.LBB86_308:
                                        ; implicit-def: $vgpr113
.LBB86_309:
	ds_read_b32 v113, v112
.LBB86_310:
	s_and_saveexec_b64 s[6:7], s[2:3]
	s_cbranch_execz .LBB86_320
; %bb.311:
	v_add_u32_e32 v114, -3, v0
	v_add_u32_e32 v115, -2, v0
	v_cmp_lt_u32_e32 vcc, 6, v114
	v_mov_b32_e32 v114, 2
	s_and_saveexec_b64 s[2:3], vcc
	s_cbranch_execz .LBB86_315
; %bb.312:
	v_and_b32_e32 v114, -8, v115
	v_sub_u32_e32 v116, 0, v114
	s_mov_b64 s[8:9], 9
	s_movk_i32 s12, 0x68
	s_mov_b64 s[10:11], 0
.LBB86_313:                             ; =>This Inner Loop Header: Depth=1
	s_add_i32 s13, s8, -7
	v_mov_b32_e32 v121, s12
	s_set_gpr_idx_on s13, gpr_idx(SRC0)
	v_mov_b32_e32 v114, v34
	s_set_gpr_idx_off
	ds_read2_b64 v[117:120], v121 offset1:1
	s_add_i32 s13, s8, -6
	s_waitcnt lgkmcnt(0)
	v_fmac_f32_e32 v113, v114, v117
	s_set_gpr_idx_on s13, gpr_idx(SRC0)
	v_mov_b32_e32 v114, v34
	s_set_gpr_idx_off
	s_add_i32 s13, s8, -5
	v_fmac_f32_e32 v113, v114, v118
	s_set_gpr_idx_on s13, gpr_idx(SRC0)
	v_mov_b32_e32 v114, v34
	s_set_gpr_idx_off
	s_add_i32 s13, s8, -4
	;; [unrolled: 5-line block ×3, first 2 shown]
	v_fmac_f32_e32 v113, v114, v120
	s_set_gpr_idx_on s13, gpr_idx(SRC0)
	v_mov_b32_e32 v114, v34
	s_set_gpr_idx_off
	ds_read2_b64 v[117:120], v121 offset0:2 offset1:3
	s_add_i32 s13, s8, -2
	s_waitcnt lgkmcnt(0)
	v_fmac_f32_e32 v113, v114, v117
	s_set_gpr_idx_on s13, gpr_idx(SRC0)
	v_mov_b32_e32 v114, v34
	s_set_gpr_idx_off
	s_add_i32 s13, s8, -1
	v_fmac_f32_e32 v113, v114, v118
	s_set_gpr_idx_on s13, gpr_idx(SRC0)
	v_mov_b32_e32 v114, v34
	s_set_gpr_idx_off
	v_fmac_f32_e32 v113, v114, v119
	s_set_gpr_idx_on s8, gpr_idx(SRC0)
	v_mov_b32_e32 v114, v34
	s_set_gpr_idx_off
	s_add_u32 s8, s8, 8
	v_fmac_f32_e32 v113, v114, v120
	v_add_u32_e32 v114, s8, v116
	s_addc_u32 s9, s9, 0
	s_add_i32 s12, s12, 32
	v_cmp_eq_u32_e32 vcc, 9, v114
	s_add_i32 s13, s8, -7
	s_or_b64 s[10:11], vcc, s[10:11]
	v_mov_b32_e32 v114, s13
	s_andn2_b64 exec, exec, s[10:11]
	s_cbranch_execnz .LBB86_313
; %bb.314:
	s_or_b64 exec, exec, s[10:11]
.LBB86_315:
	s_or_b64 exec, exec, s[2:3]
	v_and_b32_e32 v57, 7, v115
	v_cmp_ne_u32_e32 vcc, 0, v57
	s_and_saveexec_b64 s[8:9], vcc
	s_cbranch_execz .LBB86_319
; %bb.316:
	v_mov_b32_e32 v58, 0x60
	v_lshl_add_u32 v58, v114, 2, v58
	v_mov_b32_e32 v59, 0
	s_mov_b64 s[10:11], 0
.LBB86_317:                             ; =>This Inner Loop Header: Depth=1
	v_cmp_eq_u32_e32 vcc, 1, v114
	v_cndmask_b32_e32 v60, v34, v35, vcc
	v_add_u32_e32 v57, -1, v57
	v_cmp_eq_u32_e32 vcc, 2, v114
	v_cndmask_b32_e32 v60, v60, v36, vcc
	v_cmp_eq_u32_e32 vcc, 0, v57
	v_cmp_eq_u32_e64 s[2:3], 3, v114
	v_cndmask_b32_e64 v60, v60, v37, s[2:3]
	s_or_b64 s[10:11], vcc, s[10:11]
	v_cmp_eq_u32_e32 vcc, 4, v114
	v_cndmask_b32_e32 v60, v60, v38, vcc
	v_cmp_eq_u32_e32 vcc, 5, v114
	v_cndmask_b32_e32 v60, v60, v39, vcc
	;; [unrolled: 2-line block ×14, first 2 shown]
	v_cmp_eq_u32_e32 vcc, 18, v114
	ds_read_b32 v61, v58
	v_cndmask_b32_e32 v60, v60, v52, vcc
	v_cmp_eq_u32_e32 vcc, 19, v114
	v_cndmask_b32_e32 v60, v60, v53, vcc
	v_cmp_eq_u32_e32 vcc, 20, v114
	;; [unrolled: 2-line block ×4, first 2 shown]
	v_add_co_u32_e64 v114, s[2:3], 1, v114
	v_cndmask_b32_e32 v60, v60, v56, vcc
	v_add_u32_e32 v58, 4, v58
	v_addc_co_u32_e64 v59, s[2:3], 0, v59, s[2:3]
	s_waitcnt lgkmcnt(0)
	v_fmac_f32_e32 v113, v60, v61
	s_andn2_b64 exec, exec, s[10:11]
	s_cbranch_execnz .LBB86_317
; %bb.318:
	s_or_b64 exec, exec, s[10:11]
.LBB86_319:
	s_or_b64 exec, exec, s[8:9]
.LBB86_320:
	s_or_b64 exec, exec, s[6:7]
	v_mov_b32_e32 v35, 0
	ds_read_b32 v35, v35 offset:4
	s_waitcnt lgkmcnt(0)
	v_mul_f32_e32 v35, v113, v35
.LBB86_321:
	s_or_b64 exec, exec, s[4:5]
	v_cmp_ne_u32_e32 vcc, 0, v0
	ds_write_b32 v112, v34
	s_waitcnt lgkmcnt(0)
	; wave barrier
	s_and_saveexec_b64 s[2:3], vcc
	s_cbranch_execz .LBB86_337
; %bb.322:
	s_andn2_b64 vcc, exec, s[50:51]
	s_cbranch_vccnz .LBB86_324
; %bb.323:
	v_cmp_eq_u32_e32 vcc, 1, v0
	v_cndmask_b32_e32 v113, v34, v35, vcc
	v_cmp_eq_u32_e32 vcc, 2, v0
	v_cndmask_b32_e32 v113, v113, v36, vcc
	;; [unrolled: 2-line block ×18, first 2 shown]
	v_cmp_eq_u32_e32 vcc, 19, v0
	ds_read_b32 v114, v112
	v_cndmask_b32_e32 v113, v113, v53, vcc
	v_cmp_eq_u32_e32 vcc, 20, v0
	v_cndmask_b32_e32 v113, v113, v54, vcc
	v_cmp_eq_u32_e32 vcc, 21, v0
	;; [unrolled: 2-line block ×3, first 2 shown]
	v_cndmask_b32_e32 v113, v113, v56, vcc
	s_waitcnt lgkmcnt(0)
	v_mul_f32_e32 v113, v113, v114
	s_cbranch_execz .LBB86_325
	s_branch .LBB86_326
.LBB86_324:
                                        ; implicit-def: $vgpr113
.LBB86_325:
	ds_read_b32 v113, v112
.LBB86_326:
	s_and_saveexec_b64 s[4:5], s[0:1]
	s_cbranch_execz .LBB86_336
; %bb.327:
	v_add_u32_e32 v114, -2, v0
	v_add_u32_e32 v115, -1, v0
	v_cmp_lt_u32_e32 vcc, 6, v114
	v_mov_b32_e32 v114, 1
	s_and_saveexec_b64 s[0:1], vcc
	s_cbranch_execz .LBB86_331
; %bb.328:
	v_and_b32_e32 v114, -8, v115
	v_sub_u32_e32 v116, 0, v114
	s_mov_b64 s[6:7], 8
	s_movk_i32 s10, 0x64
	s_mov_b64 s[8:9], 0
.LBB86_329:                             ; =>This Inner Loop Header: Depth=1
	s_add_i32 s11, s6, -7
	v_mov_b32_e32 v114, s10
	s_add_i32 s12, s6, -6
	s_set_gpr_idx_on s11, gpr_idx(SRC0)
	v_mov_b32_e32 v123, v34
	s_set_gpr_idx_off
	ds_read2_b32 v[117:118], v114 offset1:1
	s_add_i32 s13, s6, -5
	s_set_gpr_idx_on s12, gpr_idx(SRC0)
	v_mov_b32_e32 v124, v34
	s_set_gpr_idx_off
	s_add_i32 s14, s6, -4
	s_set_gpr_idx_on s13, gpr_idx(SRC0)
	v_mov_b32_e32 v125, v34
	s_set_gpr_idx_off
	ds_read2_b32 v[119:120], v114 offset0:2 offset1:3
	s_add_i32 s15, s6, -3
	s_set_gpr_idx_on s14, gpr_idx(SRC0)
	v_mov_b32_e32 v126, v34
	s_set_gpr_idx_off
	s_add_i32 s16, s6, -2
	s_set_gpr_idx_on s15, gpr_idx(SRC0)
	v_mov_b32_e32 v127, v34
	s_set_gpr_idx_off
	ds_read2_b32 v[121:122], v114 offset0:4 offset1:5
	s_add_i32 s17, s6, -1
	s_waitcnt lgkmcnt(2)
	v_fmac_f32_e32 v113, v123, v117
	s_set_gpr_idx_on s16, gpr_idx(SRC0)
	v_mov_b32_e32 v123, v34
	s_set_gpr_idx_off
	v_fmac_f32_e32 v113, v124, v118
	s_set_gpr_idx_on s17, gpr_idx(SRC0)
	v_mov_b32_e32 v124, v34
	s_set_gpr_idx_off
	ds_read2_b32 v[117:118], v114 offset0:6 offset1:7
	s_waitcnt lgkmcnt(2)
	v_fmac_f32_e32 v113, v125, v119
	s_set_gpr_idx_on s6, gpr_idx(SRC0)
	v_mov_b32_e32 v119, v34
	s_set_gpr_idx_off
	v_fmac_f32_e32 v113, v126, v120
	s_add_u32 s6, s6, 8
	s_waitcnt lgkmcnt(1)
	v_fmac_f32_e32 v113, v127, v121
	v_add_u32_e32 v114, s6, v116
	v_fmac_f32_e32 v113, v123, v122
	s_addc_u32 s7, s7, 0
	s_add_i32 s10, s10, 32
	s_add_i32 s11, s6, -7
	v_cmp_eq_u32_e32 vcc, 8, v114
	s_waitcnt lgkmcnt(0)
	v_fmac_f32_e32 v113, v124, v117
	v_mov_b32_e32 v114, s11
	s_or_b64 s[8:9], vcc, s[8:9]
	v_fmac_f32_e32 v113, v119, v118
	s_andn2_b64 exec, exec, s[8:9]
	s_cbranch_execnz .LBB86_329
; %bb.330:
	s_or_b64 exec, exec, s[8:9]
.LBB86_331:
	s_or_b64 exec, exec, s[0:1]
	v_and_b32_e32 v57, 7, v115
	v_cmp_ne_u32_e32 vcc, 0, v57
	s_and_saveexec_b64 s[6:7], vcc
	s_cbranch_execz .LBB86_335
; %bb.332:
	v_mov_b32_e32 v58, 0x60
	v_lshl_add_u32 v58, v114, 2, v58
	v_mov_b32_e32 v59, 0
	s_mov_b64 s[8:9], 0
.LBB86_333:                             ; =>This Inner Loop Header: Depth=1
	v_cmp_eq_u32_e32 vcc, 1, v114
	v_cndmask_b32_e32 v60, v34, v35, vcc
	v_add_u32_e32 v57, -1, v57
	v_cmp_eq_u32_e32 vcc, 2, v114
	v_cndmask_b32_e32 v60, v60, v36, vcc
	v_cmp_eq_u32_e32 vcc, 0, v57
	v_cmp_eq_u32_e64 s[0:1], 3, v114
	v_cndmask_b32_e64 v60, v60, v37, s[0:1]
	s_or_b64 s[8:9], vcc, s[8:9]
	v_cmp_eq_u32_e32 vcc, 4, v114
	v_cndmask_b32_e32 v60, v60, v38, vcc
	v_cmp_eq_u32_e32 vcc, 5, v114
	v_cndmask_b32_e32 v60, v60, v39, vcc
	;; [unrolled: 2-line block ×14, first 2 shown]
	v_cmp_eq_u32_e32 vcc, 18, v114
	ds_read_b32 v61, v58
	v_cndmask_b32_e32 v60, v60, v52, vcc
	v_cmp_eq_u32_e32 vcc, 19, v114
	v_cndmask_b32_e32 v60, v60, v53, vcc
	v_cmp_eq_u32_e32 vcc, 20, v114
	;; [unrolled: 2-line block ×4, first 2 shown]
	v_add_co_u32_e64 v114, s[0:1], 1, v114
	v_cndmask_b32_e32 v60, v60, v56, vcc
	v_add_u32_e32 v58, 4, v58
	v_addc_co_u32_e64 v59, s[0:1], 0, v59, s[0:1]
	s_waitcnt lgkmcnt(0)
	v_fmac_f32_e32 v113, v60, v61
	s_andn2_b64 exec, exec, s[8:9]
	s_cbranch_execnz .LBB86_333
; %bb.334:
	s_or_b64 exec, exec, s[8:9]
.LBB86_335:
	s_or_b64 exec, exec, s[6:7]
.LBB86_336:
	s_or_b64 exec, exec, s[4:5]
	v_mov_b32_e32 v34, 0
	ds_read_b32 v34, v34
	s_waitcnt lgkmcnt(0)
	v_mul_f32_e32 v34, v113, v34
.LBB86_337:
	s_or_b64 exec, exec, s[2:3]
	s_branch .LBB86_561
.LBB86_338:
	v_cmp_eq_u32_e64 s[2:3], 0, v0
	s_waitcnt vmcnt(0) lgkmcnt(0)
	ds_write_b32 v112, v3
	s_waitcnt lgkmcnt(0)
	; wave barrier
	s_and_saveexec_b64 s[0:1], s[2:3]
	s_cbranch_execz .LBB86_344
; %bb.339:
	s_and_b64 vcc, exec, s[50:51]
	s_cbranch_vccz .LBB86_341
; %bb.340:
	v_cmp_eq_u32_e32 vcc, 1, v0
	v_cndmask_b32_e32 v3, v2, v3, vcc
	v_cmp_eq_u32_e32 vcc, 2, v0
	v_cndmask_b32_e32 v3, v3, v4, vcc
	v_cmp_eq_u32_e32 vcc, 3, v0
	v_cndmask_b32_e32 v3, v3, v5, vcc
	v_cmp_eq_u32_e32 vcc, 4, v0
	v_cndmask_b32_e32 v3, v3, v6, vcc
	v_cmp_eq_u32_e32 vcc, 5, v0
	v_cndmask_b32_e32 v3, v3, v7, vcc
	v_cmp_eq_u32_e32 vcc, 6, v0
	v_cndmask_b32_e32 v3, v3, v8, vcc
	v_cmp_eq_u32_e32 vcc, 7, v0
	v_cndmask_b32_e32 v3, v3, v9, vcc
	v_cmp_eq_u32_e32 vcc, 8, v0
	v_cndmask_b32_e32 v3, v3, v10, vcc
	v_cmp_eq_u32_e32 vcc, 9, v0
	v_cndmask_b32_e32 v3, v3, v11, vcc
	v_cmp_eq_u32_e32 vcc, 10, v0
	v_cndmask_b32_e32 v3, v3, v12, vcc
	v_cmp_eq_u32_e32 vcc, 11, v0
	v_cndmask_b32_e32 v3, v3, v13, vcc
	v_cmp_eq_u32_e32 vcc, 12, v0
	v_cndmask_b32_e32 v3, v3, v14, vcc
	v_cmp_eq_u32_e32 vcc, 13, v0
	v_cndmask_b32_e32 v3, v3, v15, vcc
	v_cmp_eq_u32_e32 vcc, 14, v0
	v_cndmask_b32_e32 v3, v3, v16, vcc
	v_cmp_eq_u32_e32 vcc, 15, v0
	v_cndmask_b32_e32 v3, v3, v17, vcc
	v_cmp_eq_u32_e32 vcc, 16, v0
	v_cndmask_b32_e32 v3, v3, v18, vcc
	v_cmp_eq_u32_e32 vcc, 17, v0
	v_cndmask_b32_e32 v3, v3, v19, vcc
	v_cmp_eq_u32_e32 vcc, 18, v0
	v_cndmask_b32_e32 v3, v3, v20, vcc
	v_cmp_eq_u32_e32 vcc, 19, v0
	ds_read_b32 v25, v112
	v_cndmask_b32_e32 v3, v3, v21, vcc
	v_cmp_eq_u32_e32 vcc, 20, v0
	v_cndmask_b32_e32 v3, v3, v22, vcc
	v_cmp_eq_u32_e32 vcc, 21, v0
	v_cndmask_b32_e32 v3, v3, v23, vcc
	v_cmp_eq_u32_e32 vcc, 22, v0
	v_cndmask_b32_e32 v3, v3, v24, vcc
	s_waitcnt lgkmcnt(0)
	v_mul_f32_e32 v3, v3, v25
	s_cbranch_execz .LBB86_342
	s_branch .LBB86_343
.LBB86_341:
                                        ; implicit-def: $vgpr3
.LBB86_342:
	ds_read_b32 v3, v112
.LBB86_343:
	v_mov_b32_e32 v25, 0
	ds_read_b32 v25, v25 offset:4
	s_waitcnt lgkmcnt(0)
	v_mul_f32_e32 v3, v3, v25
.LBB86_344:
	s_or_b64 exec, exec, s[0:1]
	v_cndmask_b32_e64 v34, 0, 1, s[50:51]
	v_cmp_gt_u32_e32 vcc, 2, v0
	v_cmp_ne_u32_e64 s[0:1], 1, v34
	ds_write_b32 v112, v4
	s_waitcnt lgkmcnt(0)
	; wave barrier
	s_and_saveexec_b64 s[4:5], vcc
	s_cbranch_execz .LBB86_350
; %bb.345:
	s_and_b64 vcc, exec, s[0:1]
	s_cbranch_vccnz .LBB86_347
; %bb.346:
	v_cmp_eq_u32_e32 vcc, 1, v0
	v_cndmask_b32_e32 v25, v2, v3, vcc
	v_cmp_eq_u32_e32 vcc, 2, v0
	v_cndmask_b32_e32 v4, v25, v4, vcc
	;; [unrolled: 2-line block ×18, first 2 shown]
	v_cmp_eq_u32_e32 vcc, 19, v0
	ds_read_b32 v25, v112
	v_cndmask_b32_e32 v4, v4, v21, vcc
	v_cmp_eq_u32_e32 vcc, 20, v0
	v_cndmask_b32_e32 v4, v4, v22, vcc
	v_cmp_eq_u32_e32 vcc, 21, v0
	;; [unrolled: 2-line block ×3, first 2 shown]
	v_cndmask_b32_e32 v4, v4, v24, vcc
	s_waitcnt lgkmcnt(0)
	v_mul_f32_e32 v4, v4, v25
	s_cbranch_execz .LBB86_348
	s_branch .LBB86_349
.LBB86_347:
                                        ; implicit-def: $vgpr4
.LBB86_348:
	ds_read_b32 v4, v112
.LBB86_349:
	v_mov_b32_e32 v25, 0
	ds_read2_b32 v[25:26], v25 offset0:2 offset1:25
	s_waitcnt lgkmcnt(0)
	v_fma_f32 v26, v3, v26, v4
	v_cndmask_b32_e64 v4, v4, v26, s[2:3]
	v_mul_f32_e32 v4, v4, v25
.LBB86_350:
	s_or_b64 exec, exec, s[4:5]
	v_add_u32_e32 v34, 1, v0
	v_cmp_gt_u32_e64 s[4:5], 3, v0
	ds_write_b32 v112, v5
	s_waitcnt lgkmcnt(0)
	; wave barrier
	s_and_saveexec_b64 s[6:7], s[4:5]
	s_cbranch_execz .LBB86_358
; %bb.351:
	s_and_b64 vcc, exec, s[0:1]
	s_cbranch_vccnz .LBB86_353
; %bb.352:
	v_cmp_eq_u32_e32 vcc, 1, v0
	v_cndmask_b32_e32 v25, v2, v3, vcc
	v_cmp_eq_u32_e32 vcc, 2, v0
	v_cndmask_b32_e32 v25, v25, v4, vcc
	;; [unrolled: 2-line block ×18, first 2 shown]
	v_cmp_eq_u32_e32 vcc, 19, v0
	ds_read_b32 v26, v112
	v_cndmask_b32_e32 v25, v25, v21, vcc
	v_cmp_eq_u32_e32 vcc, 20, v0
	v_cndmask_b32_e32 v25, v25, v22, vcc
	v_cmp_eq_u32_e32 vcc, 21, v0
	;; [unrolled: 2-line block ×3, first 2 shown]
	v_cndmask_b32_e32 v25, v25, v24, vcc
	s_waitcnt lgkmcnt(0)
	v_mul_f32_e32 v25, v25, v26
	s_cbranch_execz .LBB86_354
	s_branch .LBB86_355
.LBB86_353:
                                        ; implicit-def: $vgpr25
.LBB86_354:
	ds_read_b32 v25, v112
.LBB86_355:
	v_cmp_ne_u32_e32 vcc, 2, v0
	s_and_saveexec_b64 s[8:9], vcc
	s_cbranch_execz .LBB86_357
; %bb.356:
	v_cmp_eq_u32_e32 vcc, 1, v34
	v_cndmask_b32_e32 v26, v2, v3, vcc
	v_cmp_eq_u32_e32 vcc, 2, v34
	v_cndmask_b32_e32 v26, v26, v4, vcc
	;; [unrolled: 2-line block ×18, first 2 shown]
	v_cmp_eq_u32_e32 vcc, 19, v34
	v_mov_b32_e32 v26, 0
	v_cndmask_b32_e32 v5, v5, v21, vcc
	v_cmp_eq_u32_e32 vcc, 20, v34
	ds_read_b32 v27, v112 offset:4
	ds_read_b32 v26, v26 offset:104
	v_cndmask_b32_e32 v5, v5, v22, vcc
	v_cmp_eq_u32_e32 vcc, 21, v34
	v_cndmask_b32_e32 v5, v5, v23, vcc
	v_cmp_eq_u32_e32 vcc, 22, v34
	v_cndmask_b32_e32 v5, v5, v24, vcc
	s_waitcnt lgkmcnt(1)
	v_fmac_f32_e32 v25, v5, v27
	s_waitcnt lgkmcnt(0)
	v_fma_f32 v5, v4, v26, v25
	v_cndmask_b32_e64 v25, v25, v5, s[2:3]
.LBB86_357:
	s_or_b64 exec, exec, s[8:9]
	v_mov_b32_e32 v5, 0
	ds_read_b32 v5, v5 offset:12
	s_waitcnt lgkmcnt(0)
	v_mul_f32_e32 v5, v25, v5
.LBB86_358:
	s_or_b64 exec, exec, s[6:7]
	v_cmp_gt_u32_e32 vcc, 4, v0
	ds_write_b32 v112, v6
	s_waitcnt lgkmcnt(0)
	; wave barrier
	s_and_saveexec_b64 s[8:9], vcc
	s_cbranch_execz .LBB86_368
; %bb.359:
	s_and_b64 vcc, exec, s[0:1]
	s_cbranch_vccnz .LBB86_361
; %bb.360:
	v_cmp_eq_u32_e32 vcc, 1, v0
	v_cndmask_b32_e32 v25, v2, v3, vcc
	v_cmp_eq_u32_e32 vcc, 2, v0
	v_cndmask_b32_e32 v25, v25, v4, vcc
	;; [unrolled: 2-line block ×18, first 2 shown]
	v_cmp_eq_u32_e32 vcc, 19, v0
	ds_read_b32 v26, v112
	v_cndmask_b32_e32 v25, v25, v21, vcc
	v_cmp_eq_u32_e32 vcc, 20, v0
	v_cndmask_b32_e32 v25, v25, v22, vcc
	v_cmp_eq_u32_e32 vcc, 21, v0
	;; [unrolled: 2-line block ×3, first 2 shown]
	v_cndmask_b32_e32 v25, v25, v24, vcc
	s_waitcnt lgkmcnt(0)
	v_mul_f32_e32 v27, v25, v26
	s_cbranch_execz .LBB86_362
	s_branch .LBB86_363
.LBB86_361:
                                        ; implicit-def: $vgpr27
.LBB86_362:
	ds_read_b32 v27, v112
.LBB86_363:
	v_cmp_ne_u32_e32 vcc, 3, v0
	s_and_saveexec_b64 s[10:11], vcc
	s_cbranch_execz .LBB86_367
; %bb.364:
	v_mov_b32_e32 v25, 0x64
	v_lshl_add_u32 v28, v0, 2, v25
	v_mov_b32_e32 v26, v1
	s_mov_b64 s[12:13], 0
	v_mov_b32_e32 v25, v0
.LBB86_365:                             ; =>This Inner Loop Header: Depth=1
	v_add_co_u32_e32 v25, vcc, 1, v25
	v_addc_co_u32_e32 v26, vcc, 0, v26, vcc
	v_cmp_eq_u32_e32 vcc, 1, v25
	v_cndmask_b32_e32 v30, v2, v3, vcc
	v_cmp_lt_u32_e32 vcc, 2, v25
	v_cmp_eq_u32_e64 s[6:7], 2, v25
	v_cndmask_b32_e64 v30, v30, v4, s[6:7]
	s_or_b64 s[12:13], vcc, s[12:13]
	v_cmp_eq_u32_e32 vcc, 3, v25
	v_cndmask_b32_e32 v30, v30, v5, vcc
	v_cmp_eq_u32_e32 vcc, 4, v25
	v_cndmask_b32_e32 v30, v30, v6, vcc
	;; [unrolled: 2-line block ×15, first 2 shown]
	v_cmp_eq_u32_e32 vcc, 18, v25
	ds_read_b32 v29, v28
	v_cndmask_b32_e32 v30, v30, v20, vcc
	v_cmp_eq_u32_e32 vcc, 19, v25
	v_cndmask_b32_e32 v30, v30, v21, vcc
	v_cmp_eq_u32_e32 vcc, 20, v25
	;; [unrolled: 2-line block ×4, first 2 shown]
	v_cndmask_b32_e32 v30, v30, v24, vcc
	v_add_u32_e32 v28, 4, v28
	s_waitcnt lgkmcnt(0)
	v_fmac_f32_e32 v27, v30, v29
	s_andn2_b64 exec, exec, s[12:13]
	s_cbranch_execnz .LBB86_365
; %bb.366:
	s_or_b64 exec, exec, s[12:13]
.LBB86_367:
	s_or_b64 exec, exec, s[10:11]
	v_mov_b32_e32 v6, 0
	ds_read_b32 v6, v6 offset:16
	s_waitcnt lgkmcnt(0)
	v_mul_f32_e32 v6, v27, v6
.LBB86_368:
	s_or_b64 exec, exec, s[8:9]
	v_cmp_gt_u32_e64 s[6:7], 5, v0
	ds_write_b32 v112, v7
	s_waitcnt lgkmcnt(0)
	; wave barrier
	s_and_saveexec_b64 s[10:11], s[6:7]
	s_cbranch_execz .LBB86_378
; %bb.369:
	s_and_b64 vcc, exec, s[0:1]
	s_cbranch_vccnz .LBB86_371
; %bb.370:
	v_cmp_eq_u32_e32 vcc, 1, v0
	v_cndmask_b32_e32 v25, v2, v3, vcc
	v_cmp_eq_u32_e32 vcc, 2, v0
	v_cndmask_b32_e32 v25, v25, v4, vcc
	;; [unrolled: 2-line block ×18, first 2 shown]
	v_cmp_eq_u32_e32 vcc, 19, v0
	ds_read_b32 v26, v112
	v_cndmask_b32_e32 v25, v25, v21, vcc
	v_cmp_eq_u32_e32 vcc, 20, v0
	v_cndmask_b32_e32 v25, v25, v22, vcc
	v_cmp_eq_u32_e32 vcc, 21, v0
	;; [unrolled: 2-line block ×3, first 2 shown]
	v_cndmask_b32_e32 v25, v25, v24, vcc
	s_waitcnt lgkmcnt(0)
	v_mul_f32_e32 v27, v25, v26
	s_cbranch_execz .LBB86_372
	s_branch .LBB86_373
.LBB86_371:
                                        ; implicit-def: $vgpr27
.LBB86_372:
	ds_read_b32 v27, v112
.LBB86_373:
	v_cmp_ne_u32_e32 vcc, 4, v0
	s_and_saveexec_b64 s[12:13], vcc
	s_cbranch_execz .LBB86_377
; %bb.374:
	v_mov_b32_e32 v25, 0x64
	v_lshl_add_u32 v28, v0, 2, v25
	v_mov_b32_e32 v26, v1
	s_mov_b64 s[14:15], 0
	v_mov_b32_e32 v25, v0
.LBB86_375:                             ; =>This Inner Loop Header: Depth=1
	v_add_co_u32_e32 v25, vcc, 1, v25
	v_addc_co_u32_e32 v26, vcc, 0, v26, vcc
	v_cmp_eq_u32_e32 vcc, 1, v25
	v_cndmask_b32_e32 v30, v2, v3, vcc
	v_cmp_lt_u32_e32 vcc, 3, v25
	v_cmp_eq_u32_e64 s[8:9], 2, v25
	v_cndmask_b32_e64 v30, v30, v4, s[8:9]
	s_or_b64 s[14:15], vcc, s[14:15]
	v_cmp_eq_u32_e32 vcc, 3, v25
	v_cndmask_b32_e32 v30, v30, v5, vcc
	v_cmp_eq_u32_e32 vcc, 4, v25
	v_cndmask_b32_e32 v30, v30, v6, vcc
	;; [unrolled: 2-line block ×15, first 2 shown]
	v_cmp_eq_u32_e32 vcc, 18, v25
	ds_read_b32 v29, v28
	v_cndmask_b32_e32 v30, v30, v20, vcc
	v_cmp_eq_u32_e32 vcc, 19, v25
	v_cndmask_b32_e32 v30, v30, v21, vcc
	v_cmp_eq_u32_e32 vcc, 20, v25
	;; [unrolled: 2-line block ×4, first 2 shown]
	v_cndmask_b32_e32 v30, v30, v24, vcc
	v_add_u32_e32 v28, 4, v28
	s_waitcnt lgkmcnt(0)
	v_fmac_f32_e32 v27, v30, v29
	s_andn2_b64 exec, exec, s[14:15]
	s_cbranch_execnz .LBB86_375
; %bb.376:
	s_or_b64 exec, exec, s[14:15]
.LBB86_377:
	s_or_b64 exec, exec, s[12:13]
	v_mov_b32_e32 v7, 0
	ds_read_b32 v7, v7 offset:20
	s_waitcnt lgkmcnt(0)
	v_mul_f32_e32 v7, v27, v7
.LBB86_378:
	s_or_b64 exec, exec, s[10:11]
	v_cmp_gt_u32_e32 vcc, 6, v0
	ds_write_b32 v112, v8
	s_waitcnt lgkmcnt(0)
	; wave barrier
	s_and_saveexec_b64 s[10:11], vcc
	s_cbranch_execz .LBB86_388
; %bb.379:
	s_and_b64 vcc, exec, s[0:1]
	s_cbranch_vccnz .LBB86_381
; %bb.380:
	v_cmp_eq_u32_e32 vcc, 1, v0
	v_cndmask_b32_e32 v25, v2, v3, vcc
	v_cmp_eq_u32_e32 vcc, 2, v0
	v_cndmask_b32_e32 v25, v25, v4, vcc
	;; [unrolled: 2-line block ×18, first 2 shown]
	v_cmp_eq_u32_e32 vcc, 19, v0
	ds_read_b32 v26, v112
	v_cndmask_b32_e32 v25, v25, v21, vcc
	v_cmp_eq_u32_e32 vcc, 20, v0
	v_cndmask_b32_e32 v25, v25, v22, vcc
	v_cmp_eq_u32_e32 vcc, 21, v0
	;; [unrolled: 2-line block ×3, first 2 shown]
	v_cndmask_b32_e32 v25, v25, v24, vcc
	s_waitcnt lgkmcnt(0)
	v_mul_f32_e32 v27, v25, v26
	s_cbranch_execz .LBB86_382
	s_branch .LBB86_383
.LBB86_381:
                                        ; implicit-def: $vgpr27
.LBB86_382:
	ds_read_b32 v27, v112
.LBB86_383:
	v_cmp_ne_u32_e32 vcc, 5, v0
	s_and_saveexec_b64 s[12:13], vcc
	s_cbranch_execz .LBB86_387
; %bb.384:
	v_mov_b32_e32 v25, 0x64
	v_lshl_add_u32 v28, v0, 2, v25
	v_mov_b32_e32 v26, v1
	s_mov_b64 s[14:15], 0
	v_mov_b32_e32 v25, v0
.LBB86_385:                             ; =>This Inner Loop Header: Depth=1
	v_add_co_u32_e32 v25, vcc, 1, v25
	v_addc_co_u32_e32 v26, vcc, 0, v26, vcc
	v_cmp_eq_u32_e32 vcc, 1, v25
	v_cndmask_b32_e32 v30, v2, v3, vcc
	v_cmp_lt_u32_e32 vcc, 4, v25
	v_cmp_eq_u32_e64 s[8:9], 2, v25
	v_cndmask_b32_e64 v30, v30, v4, s[8:9]
	s_or_b64 s[14:15], vcc, s[14:15]
	v_cmp_eq_u32_e32 vcc, 3, v25
	v_cndmask_b32_e32 v30, v30, v5, vcc
	v_cmp_eq_u32_e32 vcc, 4, v25
	v_cndmask_b32_e32 v30, v30, v6, vcc
	;; [unrolled: 2-line block ×15, first 2 shown]
	v_cmp_eq_u32_e32 vcc, 18, v25
	ds_read_b32 v29, v28
	v_cndmask_b32_e32 v30, v30, v20, vcc
	v_cmp_eq_u32_e32 vcc, 19, v25
	v_cndmask_b32_e32 v30, v30, v21, vcc
	v_cmp_eq_u32_e32 vcc, 20, v25
	;; [unrolled: 2-line block ×4, first 2 shown]
	v_cndmask_b32_e32 v30, v30, v24, vcc
	v_add_u32_e32 v28, 4, v28
	s_waitcnt lgkmcnt(0)
	v_fmac_f32_e32 v27, v30, v29
	s_andn2_b64 exec, exec, s[14:15]
	s_cbranch_execnz .LBB86_385
; %bb.386:
	s_or_b64 exec, exec, s[14:15]
.LBB86_387:
	s_or_b64 exec, exec, s[12:13]
	v_mov_b32_e32 v8, 0
	ds_read_b32 v8, v8 offset:24
	s_waitcnt lgkmcnt(0)
	v_mul_f32_e32 v8, v27, v8
.LBB86_388:
	s_or_b64 exec, exec, s[10:11]
	v_cmp_gt_u32_e64 s[8:9], 7, v0
	ds_write_b32 v112, v9
	s_waitcnt lgkmcnt(0)
	; wave barrier
	s_and_saveexec_b64 s[12:13], s[8:9]
	s_cbranch_execz .LBB86_398
; %bb.389:
	s_and_b64 vcc, exec, s[0:1]
	s_cbranch_vccnz .LBB86_391
; %bb.390:
	v_cmp_eq_u32_e32 vcc, 1, v0
	v_cndmask_b32_e32 v25, v2, v3, vcc
	v_cmp_eq_u32_e32 vcc, 2, v0
	v_cndmask_b32_e32 v25, v25, v4, vcc
	;; [unrolled: 2-line block ×18, first 2 shown]
	v_cmp_eq_u32_e32 vcc, 19, v0
	ds_read_b32 v26, v112
	v_cndmask_b32_e32 v25, v25, v21, vcc
	v_cmp_eq_u32_e32 vcc, 20, v0
	v_cndmask_b32_e32 v25, v25, v22, vcc
	v_cmp_eq_u32_e32 vcc, 21, v0
	;; [unrolled: 2-line block ×3, first 2 shown]
	v_cndmask_b32_e32 v25, v25, v24, vcc
	s_waitcnt lgkmcnt(0)
	v_mul_f32_e32 v27, v25, v26
	s_cbranch_execz .LBB86_392
	s_branch .LBB86_393
.LBB86_391:
                                        ; implicit-def: $vgpr27
.LBB86_392:
	ds_read_b32 v27, v112
.LBB86_393:
	v_cmp_ne_u32_e32 vcc, 6, v0
	s_and_saveexec_b64 s[14:15], vcc
	s_cbranch_execz .LBB86_397
; %bb.394:
	v_mov_b32_e32 v25, 0x64
	v_lshl_add_u32 v28, v0, 2, v25
	v_mov_b32_e32 v26, v1
	s_mov_b64 s[16:17], 0
	v_mov_b32_e32 v25, v0
.LBB86_395:                             ; =>This Inner Loop Header: Depth=1
	v_add_co_u32_e32 v25, vcc, 1, v25
	v_addc_co_u32_e32 v26, vcc, 0, v26, vcc
	v_cmp_eq_u32_e32 vcc, 1, v25
	v_cndmask_b32_e32 v30, v2, v3, vcc
	v_cmp_lt_u32_e32 vcc, 5, v25
	v_cmp_eq_u32_e64 s[10:11], 2, v25
	v_cndmask_b32_e64 v30, v30, v4, s[10:11]
	s_or_b64 s[16:17], vcc, s[16:17]
	v_cmp_eq_u32_e32 vcc, 3, v25
	v_cndmask_b32_e32 v30, v30, v5, vcc
	v_cmp_eq_u32_e32 vcc, 4, v25
	v_cndmask_b32_e32 v30, v30, v6, vcc
	;; [unrolled: 2-line block ×15, first 2 shown]
	v_cmp_eq_u32_e32 vcc, 18, v25
	ds_read_b32 v29, v28
	v_cndmask_b32_e32 v30, v30, v20, vcc
	v_cmp_eq_u32_e32 vcc, 19, v25
	v_cndmask_b32_e32 v30, v30, v21, vcc
	v_cmp_eq_u32_e32 vcc, 20, v25
	v_cndmask_b32_e32 v30, v30, v22, vcc
	v_cmp_eq_u32_e32 vcc, 21, v25
	v_cndmask_b32_e32 v30, v30, v23, vcc
	v_cmp_eq_u32_e32 vcc, 22, v25
	v_cndmask_b32_e32 v30, v30, v24, vcc
	v_add_u32_e32 v28, 4, v28
	s_waitcnt lgkmcnt(0)
	v_fmac_f32_e32 v27, v30, v29
	s_andn2_b64 exec, exec, s[16:17]
	s_cbranch_execnz .LBB86_395
; %bb.396:
	s_or_b64 exec, exec, s[16:17]
.LBB86_397:
	s_or_b64 exec, exec, s[14:15]
	v_mov_b32_e32 v9, 0
	ds_read_b32 v9, v9 offset:28
	s_waitcnt lgkmcnt(0)
	v_mul_f32_e32 v9, v27, v9
.LBB86_398:
	s_or_b64 exec, exec, s[12:13]
	v_cmp_gt_u32_e32 vcc, 8, v0
	ds_write_b32 v112, v10
	s_waitcnt lgkmcnt(0)
	; wave barrier
	s_and_saveexec_b64 s[12:13], vcc
	s_cbranch_execz .LBB86_408
; %bb.399:
	s_and_b64 vcc, exec, s[0:1]
	s_cbranch_vccnz .LBB86_401
; %bb.400:
	v_cmp_eq_u32_e32 vcc, 1, v0
	v_cndmask_b32_e32 v25, v2, v3, vcc
	v_cmp_eq_u32_e32 vcc, 2, v0
	v_cndmask_b32_e32 v25, v25, v4, vcc
	;; [unrolled: 2-line block ×18, first 2 shown]
	v_cmp_eq_u32_e32 vcc, 19, v0
	ds_read_b32 v26, v112
	v_cndmask_b32_e32 v25, v25, v21, vcc
	v_cmp_eq_u32_e32 vcc, 20, v0
	v_cndmask_b32_e32 v25, v25, v22, vcc
	v_cmp_eq_u32_e32 vcc, 21, v0
	;; [unrolled: 2-line block ×3, first 2 shown]
	v_cndmask_b32_e32 v25, v25, v24, vcc
	s_waitcnt lgkmcnt(0)
	v_mul_f32_e32 v27, v25, v26
	s_cbranch_execz .LBB86_402
	s_branch .LBB86_403
.LBB86_401:
                                        ; implicit-def: $vgpr27
.LBB86_402:
	ds_read_b32 v27, v112
.LBB86_403:
	v_cmp_ne_u32_e32 vcc, 7, v0
	s_and_saveexec_b64 s[14:15], vcc
	s_cbranch_execz .LBB86_407
; %bb.404:
	v_mov_b32_e32 v25, 0x64
	v_lshl_add_u32 v28, v0, 2, v25
	v_mov_b32_e32 v26, v1
	s_mov_b64 s[16:17], 0
	v_mov_b32_e32 v25, v0
.LBB86_405:                             ; =>This Inner Loop Header: Depth=1
	v_add_co_u32_e32 v25, vcc, 1, v25
	v_addc_co_u32_e32 v26, vcc, 0, v26, vcc
	v_cmp_eq_u32_e32 vcc, 1, v25
	v_cndmask_b32_e32 v30, v2, v3, vcc
	v_cmp_lt_u32_e32 vcc, 6, v25
	v_cmp_eq_u32_e64 s[10:11], 2, v25
	v_cndmask_b32_e64 v30, v30, v4, s[10:11]
	s_or_b64 s[16:17], vcc, s[16:17]
	v_cmp_eq_u32_e32 vcc, 3, v25
	v_cndmask_b32_e32 v30, v30, v5, vcc
	v_cmp_eq_u32_e32 vcc, 4, v25
	v_cndmask_b32_e32 v30, v30, v6, vcc
	;; [unrolled: 2-line block ×15, first 2 shown]
	v_cmp_eq_u32_e32 vcc, 18, v25
	ds_read_b32 v29, v28
	v_cndmask_b32_e32 v30, v30, v20, vcc
	v_cmp_eq_u32_e32 vcc, 19, v25
	v_cndmask_b32_e32 v30, v30, v21, vcc
	v_cmp_eq_u32_e32 vcc, 20, v25
	;; [unrolled: 2-line block ×4, first 2 shown]
	v_cndmask_b32_e32 v30, v30, v24, vcc
	v_add_u32_e32 v28, 4, v28
	s_waitcnt lgkmcnt(0)
	v_fmac_f32_e32 v27, v30, v29
	s_andn2_b64 exec, exec, s[16:17]
	s_cbranch_execnz .LBB86_405
; %bb.406:
	s_or_b64 exec, exec, s[16:17]
.LBB86_407:
	s_or_b64 exec, exec, s[14:15]
	v_mov_b32_e32 v10, 0
	ds_read_b32 v10, v10 offset:32
	s_waitcnt lgkmcnt(0)
	v_mul_f32_e32 v10, v27, v10
.LBB86_408:
	s_or_b64 exec, exec, s[12:13]
	v_cmp_gt_u32_e32 vcc, 9, v0
	ds_write_b32 v112, v11
	s_waitcnt lgkmcnt(0)
	; wave barrier
	s_and_saveexec_b64 s[10:11], vcc
	s_cbranch_execz .LBB86_430
; %bb.409:
	s_and_b64 vcc, exec, s[0:1]
	s_cbranch_vccnz .LBB86_411
; %bb.410:
	v_cmp_eq_u32_e32 vcc, 1, v0
	v_cndmask_b32_e32 v25, v2, v3, vcc
	v_cmp_eq_u32_e32 vcc, 2, v0
	v_cndmask_b32_e32 v25, v25, v4, vcc
	;; [unrolled: 2-line block ×18, first 2 shown]
	v_cmp_eq_u32_e32 vcc, 19, v0
	ds_read_b32 v26, v112
	v_cndmask_b32_e32 v25, v25, v21, vcc
	v_cmp_eq_u32_e32 vcc, 20, v0
	v_cndmask_b32_e32 v25, v25, v22, vcc
	v_cmp_eq_u32_e32 vcc, 21, v0
	;; [unrolled: 2-line block ×3, first 2 shown]
	v_cndmask_b32_e32 v25, v25, v24, vcc
	s_waitcnt lgkmcnt(0)
	v_mul_f32_e32 v25, v25, v26
	s_cbranch_execz .LBB86_412
	s_branch .LBB86_413
.LBB86_411:
                                        ; implicit-def: $vgpr25
.LBB86_412:
	ds_read_b32 v25, v112
.LBB86_413:
	v_cmp_ne_u32_e32 vcc, 8, v0
	s_and_saveexec_b64 s[12:13], vcc
	s_cbranch_execz .LBB86_429
; %bb.414:
	v_cmp_eq_u32_e32 vcc, 1, v34
	v_cndmask_b32_e32 v26, v2, v3, vcc
	v_cmp_eq_u32_e32 vcc, 2, v34
	v_cndmask_b32_e32 v26, v26, v4, vcc
	;; [unrolled: 2-line block ×18, first 2 shown]
	v_cmp_eq_u32_e32 vcc, 19, v34
	ds_read_b32 v27, v112 offset:4
	v_cndmask_b32_e32 v26, v26, v21, vcc
	v_cmp_eq_u32_e32 vcc, 20, v34
	v_cndmask_b32_e32 v26, v26, v22, vcc
	v_cmp_eq_u32_e32 vcc, 21, v34
	;; [unrolled: 2-line block ×3, first 2 shown]
	v_cndmask_b32_e32 v26, v26, v24, vcc
	s_waitcnt lgkmcnt(0)
	v_fmac_f32_e32 v25, v26, v27
	s_and_saveexec_b64 s[14:15], s[8:9]
	s_cbranch_execz .LBB86_428
; %bb.415:
	v_add_u32_e32 v26, 2, v0
	v_cmp_eq_u32_e32 vcc, 1, v26
	v_cndmask_b32_e32 v27, v2, v3, vcc
	v_cmp_eq_u32_e32 vcc, 2, v26
	v_cndmask_b32_e32 v27, v27, v4, vcc
	;; [unrolled: 2-line block ×18, first 2 shown]
	v_cmp_eq_u32_e32 vcc, 19, v26
	ds_read_b32 v28, v112 offset:8
	v_cndmask_b32_e32 v27, v27, v21, vcc
	v_cmp_eq_u32_e32 vcc, 20, v26
	v_cndmask_b32_e32 v27, v27, v22, vcc
	v_cmp_eq_u32_e32 vcc, 21, v26
	;; [unrolled: 2-line block ×3, first 2 shown]
	v_cndmask_b32_e32 v26, v27, v24, vcc
	s_waitcnt lgkmcnt(0)
	v_fmac_f32_e32 v25, v26, v28
	v_cmp_ne_u32_e32 vcc, 6, v0
	s_and_saveexec_b64 s[8:9], vcc
	s_cbranch_execz .LBB86_427
; %bb.416:
	v_add_u32_e32 v26, 3, v0
	v_cmp_eq_u32_e32 vcc, 1, v26
	v_cndmask_b32_e32 v27, v2, v3, vcc
	v_cmp_eq_u32_e32 vcc, 2, v26
	v_cndmask_b32_e32 v27, v27, v4, vcc
	;; [unrolled: 2-line block ×18, first 2 shown]
	v_cmp_eq_u32_e32 vcc, 19, v26
	ds_read_b32 v28, v112 offset:12
	v_cndmask_b32_e32 v27, v27, v21, vcc
	v_cmp_eq_u32_e32 vcc, 20, v26
	v_cndmask_b32_e32 v27, v27, v22, vcc
	v_cmp_eq_u32_e32 vcc, 21, v26
	;; [unrolled: 2-line block ×3, first 2 shown]
	v_cndmask_b32_e32 v26, v27, v24, vcc
	s_waitcnt lgkmcnt(0)
	v_fmac_f32_e32 v25, v26, v28
	s_and_saveexec_b64 s[16:17], s[6:7]
	s_cbranch_execz .LBB86_426
; %bb.417:
	v_add_u32_e32 v26, 4, v0
	v_cmp_eq_u32_e32 vcc, 1, v26
	v_cndmask_b32_e32 v27, v2, v3, vcc
	v_cmp_eq_u32_e32 vcc, 2, v26
	v_cndmask_b32_e32 v27, v27, v4, vcc
	;; [unrolled: 2-line block ×18, first 2 shown]
	v_cmp_eq_u32_e32 vcc, 19, v26
	ds_read_b32 v28, v112 offset:16
	v_cndmask_b32_e32 v27, v27, v21, vcc
	v_cmp_eq_u32_e32 vcc, 20, v26
	v_cndmask_b32_e32 v27, v27, v22, vcc
	v_cmp_eq_u32_e32 vcc, 21, v26
	;; [unrolled: 2-line block ×3, first 2 shown]
	v_cndmask_b32_e32 v26, v27, v24, vcc
	s_waitcnt lgkmcnt(0)
	v_fmac_f32_e32 v25, v26, v28
	v_cmp_ne_u32_e32 vcc, 4, v0
	s_and_saveexec_b64 s[6:7], vcc
	s_cbranch_execz .LBB86_425
; %bb.418:
	v_add_u32_e32 v26, 5, v0
	v_cmp_eq_u32_e32 vcc, 1, v26
	v_cndmask_b32_e32 v27, v2, v3, vcc
	v_cmp_eq_u32_e32 vcc, 2, v26
	v_cndmask_b32_e32 v27, v27, v4, vcc
	;; [unrolled: 2-line block ×18, first 2 shown]
	v_cmp_eq_u32_e32 vcc, 19, v26
	ds_read_b32 v28, v112 offset:20
	v_cndmask_b32_e32 v27, v27, v21, vcc
	v_cmp_eq_u32_e32 vcc, 20, v26
	v_cndmask_b32_e32 v27, v27, v22, vcc
	v_cmp_eq_u32_e32 vcc, 21, v26
	;; [unrolled: 2-line block ×3, first 2 shown]
	v_cndmask_b32_e32 v26, v27, v24, vcc
	s_waitcnt lgkmcnt(0)
	v_fmac_f32_e32 v25, v26, v28
	s_and_saveexec_b64 s[18:19], s[4:5]
	s_cbranch_execz .LBB86_424
; %bb.419:
	v_add_u32_e32 v26, 6, v0
	v_cmp_eq_u32_e32 vcc, 1, v26
	v_cndmask_b32_e32 v27, v2, v3, vcc
	v_cmp_eq_u32_e32 vcc, 2, v26
	v_cndmask_b32_e32 v27, v27, v4, vcc
	;; [unrolled: 2-line block ×18, first 2 shown]
	v_cmp_eq_u32_e32 vcc, 19, v26
	ds_read_b32 v28, v112 offset:24
	v_cndmask_b32_e32 v27, v27, v21, vcc
	v_cmp_eq_u32_e32 vcc, 20, v26
	v_cndmask_b32_e32 v27, v27, v22, vcc
	v_cmp_eq_u32_e32 vcc, 21, v26
	;; [unrolled: 2-line block ×3, first 2 shown]
	v_cndmask_b32_e32 v26, v27, v24, vcc
	s_waitcnt lgkmcnt(0)
	v_fmac_f32_e32 v25, v26, v28
	v_cmp_ne_u32_e32 vcc, 2, v0
	s_and_saveexec_b64 s[4:5], vcc
	s_cbranch_execz .LBB86_423
; %bb.420:
	v_add_u32_e32 v26, 7, v0
	v_cmp_eq_u32_e32 vcc, 1, v26
	v_cndmask_b32_e32 v27, v2, v3, vcc
	v_cmp_eq_u32_e32 vcc, 2, v26
	v_cndmask_b32_e32 v27, v27, v4, vcc
	;; [unrolled: 2-line block ×18, first 2 shown]
	v_cmp_eq_u32_e32 vcc, 19, v26
	ds_read_b32 v27, v112 offset:28
	v_cndmask_b32_e32 v11, v11, v21, vcc
	v_cmp_eq_u32_e32 vcc, 20, v26
	v_cndmask_b32_e32 v11, v11, v22, vcc
	v_cmp_eq_u32_e32 vcc, 21, v26
	;; [unrolled: 2-line block ×3, first 2 shown]
	v_cndmask_b32_e32 v11, v11, v24, vcc
	s_waitcnt lgkmcnt(0)
	v_fmac_f32_e32 v25, v11, v27
	s_and_saveexec_b64 s[20:21], s[2:3]
	s_cbranch_execz .LBB86_422
; %bb.421:
	ds_read_b32 v11, v112 offset:32
	s_waitcnt lgkmcnt(0)
	v_fmac_f32_e32 v25, v10, v11
.LBB86_422:
	s_or_b64 exec, exec, s[20:21]
.LBB86_423:
	s_or_b64 exec, exec, s[4:5]
.LBB86_424:
	s_or_b64 exec, exec, s[18:19]
.LBB86_425:
	s_or_b64 exec, exec, s[6:7]
.LBB86_426:
	s_or_b64 exec, exec, s[16:17]
.LBB86_427:
	s_or_b64 exec, exec, s[8:9]
.LBB86_428:
	s_or_b64 exec, exec, s[14:15]
.LBB86_429:
	s_or_b64 exec, exec, s[12:13]
	v_mov_b32_e32 v11, 0
	ds_read_b32 v11, v11 offset:36
	s_waitcnt lgkmcnt(0)
	v_mul_f32_e32 v11, v25, v11
.LBB86_430:
	s_or_b64 exec, exec, s[10:11]
	v_cmp_gt_u32_e32 vcc, 10, v0
	ds_write_b32 v112, v12
	s_waitcnt lgkmcnt(0)
	; wave barrier
	s_and_saveexec_b64 s[4:5], vcc
	s_cbranch_execz .LBB86_440
; %bb.431:
	s_and_b64 vcc, exec, s[0:1]
	s_cbranch_vccnz .LBB86_433
; %bb.432:
	v_cmp_eq_u32_e32 vcc, 1, v0
	v_cndmask_b32_e32 v25, v2, v3, vcc
	v_cmp_eq_u32_e32 vcc, 2, v0
	v_cndmask_b32_e32 v25, v25, v4, vcc
	;; [unrolled: 2-line block ×18, first 2 shown]
	v_cmp_eq_u32_e32 vcc, 19, v0
	ds_read_b32 v26, v112
	v_cndmask_b32_e32 v25, v25, v21, vcc
	v_cmp_eq_u32_e32 vcc, 20, v0
	v_cndmask_b32_e32 v25, v25, v22, vcc
	v_cmp_eq_u32_e32 vcc, 21, v0
	;; [unrolled: 2-line block ×3, first 2 shown]
	v_cndmask_b32_e32 v25, v25, v24, vcc
	s_waitcnt lgkmcnt(0)
	v_mul_f32_e32 v27, v25, v26
	s_cbranch_execz .LBB86_434
	s_branch .LBB86_435
.LBB86_433:
                                        ; implicit-def: $vgpr27
.LBB86_434:
	ds_read_b32 v27, v112
.LBB86_435:
	v_cmp_ne_u32_e32 vcc, 9, v0
	s_and_saveexec_b64 s[6:7], vcc
	s_cbranch_execz .LBB86_439
; %bb.436:
	v_mov_b32_e32 v25, 0x64
	v_lshl_add_u32 v28, v0, 2, v25
	v_mov_b32_e32 v26, v1
	s_mov_b64 s[8:9], 0
	v_mov_b32_e32 v25, v0
.LBB86_437:                             ; =>This Inner Loop Header: Depth=1
	v_add_co_u32_e32 v25, vcc, 1, v25
	v_addc_co_u32_e32 v26, vcc, 0, v26, vcc
	v_cmp_eq_u32_e32 vcc, 1, v25
	v_cndmask_b32_e32 v30, v2, v3, vcc
	v_cmp_lt_u32_e32 vcc, 8, v25
	v_cmp_eq_u32_e64 s[2:3], 2, v25
	v_cndmask_b32_e64 v30, v30, v4, s[2:3]
	s_or_b64 s[8:9], vcc, s[8:9]
	v_cmp_eq_u32_e32 vcc, 3, v25
	v_cndmask_b32_e32 v30, v30, v5, vcc
	v_cmp_eq_u32_e32 vcc, 4, v25
	v_cndmask_b32_e32 v30, v30, v6, vcc
	;; [unrolled: 2-line block ×15, first 2 shown]
	v_cmp_eq_u32_e32 vcc, 18, v25
	ds_read_b32 v29, v28
	v_cndmask_b32_e32 v30, v30, v20, vcc
	v_cmp_eq_u32_e32 vcc, 19, v25
	v_cndmask_b32_e32 v30, v30, v21, vcc
	v_cmp_eq_u32_e32 vcc, 20, v25
	;; [unrolled: 2-line block ×4, first 2 shown]
	v_cndmask_b32_e32 v30, v30, v24, vcc
	v_add_u32_e32 v28, 4, v28
	s_waitcnt lgkmcnt(0)
	v_fmac_f32_e32 v27, v30, v29
	s_andn2_b64 exec, exec, s[8:9]
	s_cbranch_execnz .LBB86_437
; %bb.438:
	s_or_b64 exec, exec, s[8:9]
.LBB86_439:
	s_or_b64 exec, exec, s[6:7]
	v_mov_b32_e32 v12, 0
	ds_read_b32 v12, v12 offset:40
	s_waitcnt lgkmcnt(0)
	v_mul_f32_e32 v12, v27, v12
.LBB86_440:
	s_or_b64 exec, exec, s[4:5]
	v_cmp_gt_u32_e32 vcc, 11, v0
	ds_write_b32 v112, v13
	s_waitcnt lgkmcnt(0)
	; wave barrier
	s_and_saveexec_b64 s[4:5], vcc
	s_cbranch_execz .LBB86_450
; %bb.441:
	s_and_b64 vcc, exec, s[0:1]
	s_cbranch_vccnz .LBB86_443
; %bb.442:
	v_cmp_eq_u32_e32 vcc, 1, v0
	v_cndmask_b32_e32 v25, v2, v3, vcc
	v_cmp_eq_u32_e32 vcc, 2, v0
	v_cndmask_b32_e32 v25, v25, v4, vcc
	;; [unrolled: 2-line block ×18, first 2 shown]
	v_cmp_eq_u32_e32 vcc, 19, v0
	ds_read_b32 v26, v112
	v_cndmask_b32_e32 v25, v25, v21, vcc
	v_cmp_eq_u32_e32 vcc, 20, v0
	v_cndmask_b32_e32 v25, v25, v22, vcc
	v_cmp_eq_u32_e32 vcc, 21, v0
	;; [unrolled: 2-line block ×3, first 2 shown]
	v_cndmask_b32_e32 v25, v25, v24, vcc
	s_waitcnt lgkmcnt(0)
	v_mul_f32_e32 v27, v25, v26
	s_cbranch_execz .LBB86_444
	s_branch .LBB86_445
.LBB86_443:
                                        ; implicit-def: $vgpr27
.LBB86_444:
	ds_read_b32 v27, v112
.LBB86_445:
	v_cmp_ne_u32_e32 vcc, 10, v0
	s_and_saveexec_b64 s[6:7], vcc
	s_cbranch_execz .LBB86_449
; %bb.446:
	v_mov_b32_e32 v25, 0x64
	v_lshl_add_u32 v28, v0, 2, v25
	v_mov_b32_e32 v26, v1
	s_mov_b64 s[8:9], 0
	v_mov_b32_e32 v25, v0
.LBB86_447:                             ; =>This Inner Loop Header: Depth=1
	v_add_co_u32_e32 v25, vcc, 1, v25
	v_addc_co_u32_e32 v26, vcc, 0, v26, vcc
	v_cmp_eq_u32_e32 vcc, 1, v25
	v_cndmask_b32_e32 v30, v2, v3, vcc
	v_cmp_lt_u32_e32 vcc, 9, v25
	v_cmp_eq_u32_e64 s[2:3], 2, v25
	v_cndmask_b32_e64 v30, v30, v4, s[2:3]
	s_or_b64 s[8:9], vcc, s[8:9]
	v_cmp_eq_u32_e32 vcc, 3, v25
	v_cndmask_b32_e32 v30, v30, v5, vcc
	v_cmp_eq_u32_e32 vcc, 4, v25
	v_cndmask_b32_e32 v30, v30, v6, vcc
	;; [unrolled: 2-line block ×15, first 2 shown]
	v_cmp_eq_u32_e32 vcc, 18, v25
	ds_read_b32 v29, v28
	v_cndmask_b32_e32 v30, v30, v20, vcc
	v_cmp_eq_u32_e32 vcc, 19, v25
	v_cndmask_b32_e32 v30, v30, v21, vcc
	v_cmp_eq_u32_e32 vcc, 20, v25
	;; [unrolled: 2-line block ×4, first 2 shown]
	v_cndmask_b32_e32 v30, v30, v24, vcc
	v_add_u32_e32 v28, 4, v28
	s_waitcnt lgkmcnt(0)
	v_fmac_f32_e32 v27, v30, v29
	s_andn2_b64 exec, exec, s[8:9]
	s_cbranch_execnz .LBB86_447
; %bb.448:
	s_or_b64 exec, exec, s[8:9]
.LBB86_449:
	s_or_b64 exec, exec, s[6:7]
	v_mov_b32_e32 v13, 0
	ds_read_b32 v13, v13 offset:44
	s_waitcnt lgkmcnt(0)
	v_mul_f32_e32 v13, v27, v13
.LBB86_450:
	s_or_b64 exec, exec, s[4:5]
	v_cmp_gt_u32_e32 vcc, 12, v0
	ds_write_b32 v112, v14
	s_waitcnt lgkmcnt(0)
	; wave barrier
	s_and_saveexec_b64 s[4:5], vcc
	s_cbranch_execz .LBB86_460
; %bb.451:
	s_and_b64 vcc, exec, s[0:1]
	s_cbranch_vccnz .LBB86_453
; %bb.452:
	v_cmp_eq_u32_e32 vcc, 1, v0
	v_cndmask_b32_e32 v25, v2, v3, vcc
	v_cmp_eq_u32_e32 vcc, 2, v0
	v_cndmask_b32_e32 v25, v25, v4, vcc
	;; [unrolled: 2-line block ×18, first 2 shown]
	v_cmp_eq_u32_e32 vcc, 19, v0
	ds_read_b32 v26, v112
	v_cndmask_b32_e32 v25, v25, v21, vcc
	v_cmp_eq_u32_e32 vcc, 20, v0
	v_cndmask_b32_e32 v25, v25, v22, vcc
	v_cmp_eq_u32_e32 vcc, 21, v0
	;; [unrolled: 2-line block ×3, first 2 shown]
	v_cndmask_b32_e32 v25, v25, v24, vcc
	s_waitcnt lgkmcnt(0)
	v_mul_f32_e32 v27, v25, v26
	s_cbranch_execz .LBB86_454
	s_branch .LBB86_455
.LBB86_453:
                                        ; implicit-def: $vgpr27
.LBB86_454:
	ds_read_b32 v27, v112
.LBB86_455:
	v_cmp_ne_u32_e32 vcc, 11, v0
	s_and_saveexec_b64 s[6:7], vcc
	s_cbranch_execz .LBB86_459
; %bb.456:
	v_mov_b32_e32 v25, 0x64
	v_lshl_add_u32 v28, v0, 2, v25
	v_mov_b32_e32 v26, v1
	s_mov_b64 s[8:9], 0
	v_mov_b32_e32 v25, v0
.LBB86_457:                             ; =>This Inner Loop Header: Depth=1
	v_add_co_u32_e32 v25, vcc, 1, v25
	v_addc_co_u32_e32 v26, vcc, 0, v26, vcc
	v_cmp_eq_u32_e32 vcc, 1, v25
	v_cndmask_b32_e32 v30, v2, v3, vcc
	v_cmp_lt_u32_e32 vcc, 10, v25
	v_cmp_eq_u32_e64 s[2:3], 2, v25
	v_cndmask_b32_e64 v30, v30, v4, s[2:3]
	s_or_b64 s[8:9], vcc, s[8:9]
	v_cmp_eq_u32_e32 vcc, 3, v25
	v_cndmask_b32_e32 v30, v30, v5, vcc
	v_cmp_eq_u32_e32 vcc, 4, v25
	v_cndmask_b32_e32 v30, v30, v6, vcc
	;; [unrolled: 2-line block ×15, first 2 shown]
	v_cmp_eq_u32_e32 vcc, 18, v25
	ds_read_b32 v29, v28
	v_cndmask_b32_e32 v30, v30, v20, vcc
	v_cmp_eq_u32_e32 vcc, 19, v25
	v_cndmask_b32_e32 v30, v30, v21, vcc
	v_cmp_eq_u32_e32 vcc, 20, v25
	;; [unrolled: 2-line block ×4, first 2 shown]
	v_cndmask_b32_e32 v30, v30, v24, vcc
	v_add_u32_e32 v28, 4, v28
	s_waitcnt lgkmcnt(0)
	v_fmac_f32_e32 v27, v30, v29
	s_andn2_b64 exec, exec, s[8:9]
	s_cbranch_execnz .LBB86_457
; %bb.458:
	s_or_b64 exec, exec, s[8:9]
.LBB86_459:
	s_or_b64 exec, exec, s[6:7]
	v_mov_b32_e32 v14, 0
	ds_read_b32 v14, v14 offset:48
	s_waitcnt lgkmcnt(0)
	v_mul_f32_e32 v14, v27, v14
.LBB86_460:
	s_or_b64 exec, exec, s[4:5]
	v_cmp_gt_u32_e32 vcc, 13, v0
	ds_write_b32 v112, v15
	s_waitcnt lgkmcnt(0)
	; wave barrier
	s_and_saveexec_b64 s[4:5], vcc
	s_cbranch_execz .LBB86_470
; %bb.461:
	s_and_b64 vcc, exec, s[0:1]
	s_cbranch_vccnz .LBB86_463
; %bb.462:
	v_cmp_eq_u32_e32 vcc, 1, v0
	v_cndmask_b32_e32 v25, v2, v3, vcc
	v_cmp_eq_u32_e32 vcc, 2, v0
	v_cndmask_b32_e32 v25, v25, v4, vcc
	;; [unrolled: 2-line block ×18, first 2 shown]
	v_cmp_eq_u32_e32 vcc, 19, v0
	ds_read_b32 v26, v112
	v_cndmask_b32_e32 v25, v25, v21, vcc
	v_cmp_eq_u32_e32 vcc, 20, v0
	v_cndmask_b32_e32 v25, v25, v22, vcc
	v_cmp_eq_u32_e32 vcc, 21, v0
	;; [unrolled: 2-line block ×3, first 2 shown]
	v_cndmask_b32_e32 v25, v25, v24, vcc
	s_waitcnt lgkmcnt(0)
	v_mul_f32_e32 v27, v25, v26
	s_cbranch_execz .LBB86_464
	s_branch .LBB86_465
.LBB86_463:
                                        ; implicit-def: $vgpr27
.LBB86_464:
	ds_read_b32 v27, v112
.LBB86_465:
	v_cmp_ne_u32_e32 vcc, 12, v0
	s_and_saveexec_b64 s[6:7], vcc
	s_cbranch_execz .LBB86_469
; %bb.466:
	v_mov_b32_e32 v25, 0x64
	v_lshl_add_u32 v28, v0, 2, v25
	v_mov_b32_e32 v26, v1
	s_mov_b64 s[8:9], 0
	v_mov_b32_e32 v25, v0
.LBB86_467:                             ; =>This Inner Loop Header: Depth=1
	v_add_co_u32_e32 v25, vcc, 1, v25
	v_addc_co_u32_e32 v26, vcc, 0, v26, vcc
	v_cmp_eq_u32_e32 vcc, 1, v25
	v_cndmask_b32_e32 v30, v2, v3, vcc
	v_cmp_lt_u32_e32 vcc, 11, v25
	v_cmp_eq_u32_e64 s[2:3], 2, v25
	v_cndmask_b32_e64 v30, v30, v4, s[2:3]
	s_or_b64 s[8:9], vcc, s[8:9]
	v_cmp_eq_u32_e32 vcc, 3, v25
	v_cndmask_b32_e32 v30, v30, v5, vcc
	v_cmp_eq_u32_e32 vcc, 4, v25
	v_cndmask_b32_e32 v30, v30, v6, vcc
	v_cmp_eq_u32_e32 vcc, 5, v25
	v_cndmask_b32_e32 v30, v30, v7, vcc
	v_cmp_eq_u32_e32 vcc, 6, v25
	v_cndmask_b32_e32 v30, v30, v8, vcc
	v_cmp_eq_u32_e32 vcc, 7, v25
	v_cndmask_b32_e32 v30, v30, v9, vcc
	v_cmp_eq_u32_e32 vcc, 8, v25
	v_cndmask_b32_e32 v30, v30, v10, vcc
	v_cmp_eq_u32_e32 vcc, 9, v25
	v_cndmask_b32_e32 v30, v30, v11, vcc
	v_cmp_eq_u32_e32 vcc, 10, v25
	v_cndmask_b32_e32 v30, v30, v12, vcc
	v_cmp_eq_u32_e32 vcc, 11, v25
	v_cndmask_b32_e32 v30, v30, v13, vcc
	v_cmp_eq_u32_e32 vcc, 12, v25
	v_cndmask_b32_e32 v30, v30, v14, vcc
	v_cmp_eq_u32_e32 vcc, 13, v25
	v_cndmask_b32_e32 v30, v30, v15, vcc
	v_cmp_eq_u32_e32 vcc, 14, v25
	v_cndmask_b32_e32 v30, v30, v16, vcc
	v_cmp_eq_u32_e32 vcc, 15, v25
	v_cndmask_b32_e32 v30, v30, v17, vcc
	v_cmp_eq_u32_e32 vcc, 16, v25
	v_cndmask_b32_e32 v30, v30, v18, vcc
	v_cmp_eq_u32_e32 vcc, 17, v25
	v_cndmask_b32_e32 v30, v30, v19, vcc
	v_cmp_eq_u32_e32 vcc, 18, v25
	ds_read_b32 v29, v28
	v_cndmask_b32_e32 v30, v30, v20, vcc
	v_cmp_eq_u32_e32 vcc, 19, v25
	v_cndmask_b32_e32 v30, v30, v21, vcc
	v_cmp_eq_u32_e32 vcc, 20, v25
	;; [unrolled: 2-line block ×4, first 2 shown]
	v_cndmask_b32_e32 v30, v30, v24, vcc
	v_add_u32_e32 v28, 4, v28
	s_waitcnt lgkmcnt(0)
	v_fmac_f32_e32 v27, v30, v29
	s_andn2_b64 exec, exec, s[8:9]
	s_cbranch_execnz .LBB86_467
; %bb.468:
	s_or_b64 exec, exec, s[8:9]
.LBB86_469:
	s_or_b64 exec, exec, s[6:7]
	v_mov_b32_e32 v15, 0
	ds_read_b32 v15, v15 offset:52
	s_waitcnt lgkmcnt(0)
	v_mul_f32_e32 v15, v27, v15
.LBB86_470:
	s_or_b64 exec, exec, s[4:5]
	v_cmp_gt_u32_e32 vcc, 14, v0
	ds_write_b32 v112, v16
	s_waitcnt lgkmcnt(0)
	; wave barrier
	s_and_saveexec_b64 s[4:5], vcc
	s_cbranch_execz .LBB86_480
; %bb.471:
	s_and_b64 vcc, exec, s[0:1]
	s_cbranch_vccnz .LBB86_473
; %bb.472:
	v_cmp_eq_u32_e32 vcc, 1, v0
	v_cndmask_b32_e32 v25, v2, v3, vcc
	v_cmp_eq_u32_e32 vcc, 2, v0
	v_cndmask_b32_e32 v25, v25, v4, vcc
	v_cmp_eq_u32_e32 vcc, 3, v0
	v_cndmask_b32_e32 v25, v25, v5, vcc
	v_cmp_eq_u32_e32 vcc, 4, v0
	v_cndmask_b32_e32 v25, v25, v6, vcc
	v_cmp_eq_u32_e32 vcc, 5, v0
	v_cndmask_b32_e32 v25, v25, v7, vcc
	v_cmp_eq_u32_e32 vcc, 6, v0
	v_cndmask_b32_e32 v25, v25, v8, vcc
	v_cmp_eq_u32_e32 vcc, 7, v0
	v_cndmask_b32_e32 v25, v25, v9, vcc
	v_cmp_eq_u32_e32 vcc, 8, v0
	v_cndmask_b32_e32 v25, v25, v10, vcc
	v_cmp_eq_u32_e32 vcc, 9, v0
	v_cndmask_b32_e32 v25, v25, v11, vcc
	v_cmp_eq_u32_e32 vcc, 10, v0
	v_cndmask_b32_e32 v25, v25, v12, vcc
	v_cmp_eq_u32_e32 vcc, 11, v0
	v_cndmask_b32_e32 v25, v25, v13, vcc
	v_cmp_eq_u32_e32 vcc, 12, v0
	v_cndmask_b32_e32 v25, v25, v14, vcc
	v_cmp_eq_u32_e32 vcc, 13, v0
	v_cndmask_b32_e32 v25, v25, v15, vcc
	v_cmp_eq_u32_e32 vcc, 14, v0
	v_cndmask_b32_e32 v25, v25, v16, vcc
	v_cmp_eq_u32_e32 vcc, 15, v0
	v_cndmask_b32_e32 v25, v25, v17, vcc
	v_cmp_eq_u32_e32 vcc, 16, v0
	v_cndmask_b32_e32 v25, v25, v18, vcc
	v_cmp_eq_u32_e32 vcc, 17, v0
	v_cndmask_b32_e32 v25, v25, v19, vcc
	v_cmp_eq_u32_e32 vcc, 18, v0
	v_cndmask_b32_e32 v25, v25, v20, vcc
	v_cmp_eq_u32_e32 vcc, 19, v0
	ds_read_b32 v26, v112
	v_cndmask_b32_e32 v25, v25, v21, vcc
	v_cmp_eq_u32_e32 vcc, 20, v0
	v_cndmask_b32_e32 v25, v25, v22, vcc
	v_cmp_eq_u32_e32 vcc, 21, v0
	;; [unrolled: 2-line block ×3, first 2 shown]
	v_cndmask_b32_e32 v25, v25, v24, vcc
	s_waitcnt lgkmcnt(0)
	v_mul_f32_e32 v27, v25, v26
	s_cbranch_execz .LBB86_474
	s_branch .LBB86_475
.LBB86_473:
                                        ; implicit-def: $vgpr27
.LBB86_474:
	ds_read_b32 v27, v112
.LBB86_475:
	v_cmp_ne_u32_e32 vcc, 13, v0
	s_and_saveexec_b64 s[6:7], vcc
	s_cbranch_execz .LBB86_479
; %bb.476:
	v_mov_b32_e32 v25, 0x64
	v_lshl_add_u32 v28, v0, 2, v25
	v_mov_b32_e32 v26, v1
	s_mov_b64 s[8:9], 0
	v_mov_b32_e32 v25, v0
.LBB86_477:                             ; =>This Inner Loop Header: Depth=1
	v_add_co_u32_e32 v25, vcc, 1, v25
	v_addc_co_u32_e32 v26, vcc, 0, v26, vcc
	v_cmp_eq_u32_e32 vcc, 1, v25
	v_cndmask_b32_e32 v30, v2, v3, vcc
	v_cmp_lt_u32_e32 vcc, 12, v25
	v_cmp_eq_u32_e64 s[2:3], 2, v25
	v_cndmask_b32_e64 v30, v30, v4, s[2:3]
	s_or_b64 s[8:9], vcc, s[8:9]
	v_cmp_eq_u32_e32 vcc, 3, v25
	v_cndmask_b32_e32 v30, v30, v5, vcc
	v_cmp_eq_u32_e32 vcc, 4, v25
	v_cndmask_b32_e32 v30, v30, v6, vcc
	;; [unrolled: 2-line block ×15, first 2 shown]
	v_cmp_eq_u32_e32 vcc, 18, v25
	ds_read_b32 v29, v28
	v_cndmask_b32_e32 v30, v30, v20, vcc
	v_cmp_eq_u32_e32 vcc, 19, v25
	v_cndmask_b32_e32 v30, v30, v21, vcc
	v_cmp_eq_u32_e32 vcc, 20, v25
	;; [unrolled: 2-line block ×4, first 2 shown]
	v_cndmask_b32_e32 v30, v30, v24, vcc
	v_add_u32_e32 v28, 4, v28
	s_waitcnt lgkmcnt(0)
	v_fmac_f32_e32 v27, v30, v29
	s_andn2_b64 exec, exec, s[8:9]
	s_cbranch_execnz .LBB86_477
; %bb.478:
	s_or_b64 exec, exec, s[8:9]
.LBB86_479:
	s_or_b64 exec, exec, s[6:7]
	v_mov_b32_e32 v16, 0
	ds_read_b32 v16, v16 offset:56
	s_waitcnt lgkmcnt(0)
	v_mul_f32_e32 v16, v27, v16
.LBB86_480:
	s_or_b64 exec, exec, s[4:5]
	v_cmp_gt_u32_e32 vcc, 15, v0
	ds_write_b32 v112, v17
	s_waitcnt lgkmcnt(0)
	; wave barrier
	s_and_saveexec_b64 s[4:5], vcc
	s_cbranch_execz .LBB86_490
; %bb.481:
	s_and_b64 vcc, exec, s[0:1]
	s_cbranch_vccnz .LBB86_483
; %bb.482:
	v_cmp_eq_u32_e32 vcc, 1, v0
	v_cndmask_b32_e32 v25, v2, v3, vcc
	v_cmp_eq_u32_e32 vcc, 2, v0
	v_cndmask_b32_e32 v25, v25, v4, vcc
	;; [unrolled: 2-line block ×18, first 2 shown]
	v_cmp_eq_u32_e32 vcc, 19, v0
	ds_read_b32 v26, v112
	v_cndmask_b32_e32 v25, v25, v21, vcc
	v_cmp_eq_u32_e32 vcc, 20, v0
	v_cndmask_b32_e32 v25, v25, v22, vcc
	v_cmp_eq_u32_e32 vcc, 21, v0
	;; [unrolled: 2-line block ×3, first 2 shown]
	v_cndmask_b32_e32 v25, v25, v24, vcc
	s_waitcnt lgkmcnt(0)
	v_mul_f32_e32 v27, v25, v26
	s_cbranch_execz .LBB86_484
	s_branch .LBB86_485
.LBB86_483:
                                        ; implicit-def: $vgpr27
.LBB86_484:
	ds_read_b32 v27, v112
.LBB86_485:
	v_cmp_ne_u32_e32 vcc, 14, v0
	s_and_saveexec_b64 s[6:7], vcc
	s_cbranch_execz .LBB86_489
; %bb.486:
	v_mov_b32_e32 v25, 0x64
	v_lshl_add_u32 v28, v0, 2, v25
	v_mov_b32_e32 v26, v1
	s_mov_b64 s[8:9], 0
	v_mov_b32_e32 v25, v0
.LBB86_487:                             ; =>This Inner Loop Header: Depth=1
	v_add_co_u32_e32 v25, vcc, 1, v25
	v_addc_co_u32_e32 v26, vcc, 0, v26, vcc
	v_cmp_eq_u32_e32 vcc, 1, v25
	v_cndmask_b32_e32 v30, v2, v3, vcc
	v_cmp_lt_u32_e32 vcc, 13, v25
	v_cmp_eq_u32_e64 s[2:3], 2, v25
	v_cndmask_b32_e64 v30, v30, v4, s[2:3]
	s_or_b64 s[8:9], vcc, s[8:9]
	v_cmp_eq_u32_e32 vcc, 3, v25
	v_cndmask_b32_e32 v30, v30, v5, vcc
	v_cmp_eq_u32_e32 vcc, 4, v25
	v_cndmask_b32_e32 v30, v30, v6, vcc
	;; [unrolled: 2-line block ×15, first 2 shown]
	v_cmp_eq_u32_e32 vcc, 18, v25
	ds_read_b32 v29, v28
	v_cndmask_b32_e32 v30, v30, v20, vcc
	v_cmp_eq_u32_e32 vcc, 19, v25
	v_cndmask_b32_e32 v30, v30, v21, vcc
	v_cmp_eq_u32_e32 vcc, 20, v25
	;; [unrolled: 2-line block ×4, first 2 shown]
	v_cndmask_b32_e32 v30, v30, v24, vcc
	v_add_u32_e32 v28, 4, v28
	s_waitcnt lgkmcnt(0)
	v_fmac_f32_e32 v27, v30, v29
	s_andn2_b64 exec, exec, s[8:9]
	s_cbranch_execnz .LBB86_487
; %bb.488:
	s_or_b64 exec, exec, s[8:9]
.LBB86_489:
	s_or_b64 exec, exec, s[6:7]
	v_mov_b32_e32 v17, 0
	ds_read_b32 v17, v17 offset:60
	s_waitcnt lgkmcnt(0)
	v_mul_f32_e32 v17, v27, v17
.LBB86_490:
	s_or_b64 exec, exec, s[4:5]
	v_cmp_gt_u32_e32 vcc, 16, v0
	ds_write_b32 v112, v18
	s_waitcnt lgkmcnt(0)
	; wave barrier
	s_and_saveexec_b64 s[4:5], vcc
	s_cbranch_execz .LBB86_500
; %bb.491:
	s_and_b64 vcc, exec, s[0:1]
	s_cbranch_vccnz .LBB86_493
; %bb.492:
	v_cmp_eq_u32_e32 vcc, 1, v0
	v_cndmask_b32_e32 v25, v2, v3, vcc
	v_cmp_eq_u32_e32 vcc, 2, v0
	v_cndmask_b32_e32 v25, v25, v4, vcc
	;; [unrolled: 2-line block ×18, first 2 shown]
	v_cmp_eq_u32_e32 vcc, 19, v0
	ds_read_b32 v26, v112
	v_cndmask_b32_e32 v25, v25, v21, vcc
	v_cmp_eq_u32_e32 vcc, 20, v0
	v_cndmask_b32_e32 v25, v25, v22, vcc
	v_cmp_eq_u32_e32 vcc, 21, v0
	;; [unrolled: 2-line block ×3, first 2 shown]
	v_cndmask_b32_e32 v25, v25, v24, vcc
	s_waitcnt lgkmcnt(0)
	v_mul_f32_e32 v27, v25, v26
	s_cbranch_execz .LBB86_494
	s_branch .LBB86_495
.LBB86_493:
                                        ; implicit-def: $vgpr27
.LBB86_494:
	ds_read_b32 v27, v112
.LBB86_495:
	v_cmp_ne_u32_e32 vcc, 15, v0
	s_and_saveexec_b64 s[6:7], vcc
	s_cbranch_execz .LBB86_499
; %bb.496:
	v_mov_b32_e32 v25, 0x64
	v_lshl_add_u32 v28, v0, 2, v25
	v_mov_b32_e32 v26, v1
	s_mov_b64 s[8:9], 0
	v_mov_b32_e32 v25, v0
.LBB86_497:                             ; =>This Inner Loop Header: Depth=1
	v_add_co_u32_e32 v25, vcc, 1, v25
	v_addc_co_u32_e32 v26, vcc, 0, v26, vcc
	v_cmp_eq_u32_e32 vcc, 1, v25
	v_cndmask_b32_e32 v30, v2, v3, vcc
	v_cmp_lt_u32_e32 vcc, 14, v25
	v_cmp_eq_u32_e64 s[2:3], 2, v25
	v_cndmask_b32_e64 v30, v30, v4, s[2:3]
	s_or_b64 s[8:9], vcc, s[8:9]
	v_cmp_eq_u32_e32 vcc, 3, v25
	v_cndmask_b32_e32 v30, v30, v5, vcc
	v_cmp_eq_u32_e32 vcc, 4, v25
	v_cndmask_b32_e32 v30, v30, v6, vcc
	;; [unrolled: 2-line block ×15, first 2 shown]
	v_cmp_eq_u32_e32 vcc, 18, v25
	ds_read_b32 v29, v28
	v_cndmask_b32_e32 v30, v30, v20, vcc
	v_cmp_eq_u32_e32 vcc, 19, v25
	v_cndmask_b32_e32 v30, v30, v21, vcc
	v_cmp_eq_u32_e32 vcc, 20, v25
	;; [unrolled: 2-line block ×4, first 2 shown]
	v_cndmask_b32_e32 v30, v30, v24, vcc
	v_add_u32_e32 v28, 4, v28
	s_waitcnt lgkmcnt(0)
	v_fmac_f32_e32 v27, v30, v29
	s_andn2_b64 exec, exec, s[8:9]
	s_cbranch_execnz .LBB86_497
; %bb.498:
	s_or_b64 exec, exec, s[8:9]
.LBB86_499:
	s_or_b64 exec, exec, s[6:7]
	v_mov_b32_e32 v18, 0
	ds_read_b32 v18, v18 offset:64
	s_waitcnt lgkmcnt(0)
	v_mul_f32_e32 v18, v27, v18
.LBB86_500:
	s_or_b64 exec, exec, s[4:5]
	v_cmp_gt_u32_e32 vcc, 17, v0
	ds_write_b32 v112, v19
	s_waitcnt lgkmcnt(0)
	; wave barrier
	s_and_saveexec_b64 s[4:5], vcc
	s_cbranch_execz .LBB86_510
; %bb.501:
	s_and_b64 vcc, exec, s[0:1]
	s_cbranch_vccnz .LBB86_503
; %bb.502:
	v_cmp_eq_u32_e32 vcc, 1, v0
	v_cndmask_b32_e32 v25, v2, v3, vcc
	v_cmp_eq_u32_e32 vcc, 2, v0
	v_cndmask_b32_e32 v25, v25, v4, vcc
	;; [unrolled: 2-line block ×18, first 2 shown]
	v_cmp_eq_u32_e32 vcc, 19, v0
	ds_read_b32 v26, v112
	v_cndmask_b32_e32 v25, v25, v21, vcc
	v_cmp_eq_u32_e32 vcc, 20, v0
	v_cndmask_b32_e32 v25, v25, v22, vcc
	v_cmp_eq_u32_e32 vcc, 21, v0
	;; [unrolled: 2-line block ×3, first 2 shown]
	v_cndmask_b32_e32 v25, v25, v24, vcc
	s_waitcnt lgkmcnt(0)
	v_mul_f32_e32 v27, v25, v26
	s_cbranch_execz .LBB86_504
	s_branch .LBB86_505
.LBB86_503:
                                        ; implicit-def: $vgpr27
.LBB86_504:
	ds_read_b32 v27, v112
.LBB86_505:
	v_cmp_ne_u32_e32 vcc, 16, v0
	s_and_saveexec_b64 s[6:7], vcc
	s_cbranch_execz .LBB86_509
; %bb.506:
	v_mov_b32_e32 v25, 0x64
	v_lshl_add_u32 v28, v0, 2, v25
	v_mov_b32_e32 v26, v1
	s_mov_b64 s[8:9], 0
	v_mov_b32_e32 v25, v0
.LBB86_507:                             ; =>This Inner Loop Header: Depth=1
	v_add_co_u32_e32 v25, vcc, 1, v25
	v_addc_co_u32_e32 v26, vcc, 0, v26, vcc
	v_cmp_eq_u32_e32 vcc, 1, v25
	v_cndmask_b32_e32 v30, v2, v3, vcc
	v_cmp_lt_u32_e32 vcc, 15, v25
	v_cmp_eq_u32_e64 s[2:3], 2, v25
	v_cndmask_b32_e64 v30, v30, v4, s[2:3]
	s_or_b64 s[8:9], vcc, s[8:9]
	v_cmp_eq_u32_e32 vcc, 3, v25
	v_cndmask_b32_e32 v30, v30, v5, vcc
	v_cmp_eq_u32_e32 vcc, 4, v25
	v_cndmask_b32_e32 v30, v30, v6, vcc
	;; [unrolled: 2-line block ×15, first 2 shown]
	v_cmp_eq_u32_e32 vcc, 18, v25
	ds_read_b32 v29, v28
	v_cndmask_b32_e32 v30, v30, v20, vcc
	v_cmp_eq_u32_e32 vcc, 19, v25
	v_cndmask_b32_e32 v30, v30, v21, vcc
	v_cmp_eq_u32_e32 vcc, 20, v25
	;; [unrolled: 2-line block ×4, first 2 shown]
	v_cndmask_b32_e32 v30, v30, v24, vcc
	v_add_u32_e32 v28, 4, v28
	s_waitcnt lgkmcnt(0)
	v_fmac_f32_e32 v27, v30, v29
	s_andn2_b64 exec, exec, s[8:9]
	s_cbranch_execnz .LBB86_507
; %bb.508:
	s_or_b64 exec, exec, s[8:9]
.LBB86_509:
	s_or_b64 exec, exec, s[6:7]
	v_mov_b32_e32 v19, 0
	ds_read_b32 v19, v19 offset:68
	s_waitcnt lgkmcnt(0)
	v_mul_f32_e32 v19, v27, v19
.LBB86_510:
	s_or_b64 exec, exec, s[4:5]
	v_cmp_gt_u32_e32 vcc, 18, v0
	ds_write_b32 v112, v20
	s_waitcnt lgkmcnt(0)
	; wave barrier
	s_and_saveexec_b64 s[4:5], vcc
	s_cbranch_execz .LBB86_520
; %bb.511:
	s_and_b64 vcc, exec, s[0:1]
	s_cbranch_vccnz .LBB86_513
; %bb.512:
	v_cmp_eq_u32_e32 vcc, 1, v0
	v_cndmask_b32_e32 v25, v2, v3, vcc
	v_cmp_eq_u32_e32 vcc, 2, v0
	v_cndmask_b32_e32 v25, v25, v4, vcc
	;; [unrolled: 2-line block ×18, first 2 shown]
	v_cmp_eq_u32_e32 vcc, 19, v0
	ds_read_b32 v26, v112
	v_cndmask_b32_e32 v25, v25, v21, vcc
	v_cmp_eq_u32_e32 vcc, 20, v0
	v_cndmask_b32_e32 v25, v25, v22, vcc
	v_cmp_eq_u32_e32 vcc, 21, v0
	;; [unrolled: 2-line block ×3, first 2 shown]
	v_cndmask_b32_e32 v25, v25, v24, vcc
	s_waitcnt lgkmcnt(0)
	v_mul_f32_e32 v27, v25, v26
	s_cbranch_execz .LBB86_514
	s_branch .LBB86_515
.LBB86_513:
                                        ; implicit-def: $vgpr27
.LBB86_514:
	ds_read_b32 v27, v112
.LBB86_515:
	v_cmp_ne_u32_e32 vcc, 17, v0
	s_and_saveexec_b64 s[6:7], vcc
	s_cbranch_execz .LBB86_519
; %bb.516:
	v_mov_b32_e32 v25, 0x64
	v_lshl_add_u32 v28, v0, 2, v25
	v_mov_b32_e32 v26, v1
	s_mov_b64 s[8:9], 0
	v_mov_b32_e32 v25, v0
.LBB86_517:                             ; =>This Inner Loop Header: Depth=1
	v_add_co_u32_e32 v25, vcc, 1, v25
	v_addc_co_u32_e32 v26, vcc, 0, v26, vcc
	v_cmp_eq_u32_e32 vcc, 1, v25
	v_cndmask_b32_e32 v30, v2, v3, vcc
	v_cmp_lt_u32_e32 vcc, 16, v25
	v_cmp_eq_u32_e64 s[2:3], 2, v25
	v_cndmask_b32_e64 v30, v30, v4, s[2:3]
	s_or_b64 s[8:9], vcc, s[8:9]
	v_cmp_eq_u32_e32 vcc, 3, v25
	v_cndmask_b32_e32 v30, v30, v5, vcc
	v_cmp_eq_u32_e32 vcc, 4, v25
	v_cndmask_b32_e32 v30, v30, v6, vcc
	;; [unrolled: 2-line block ×15, first 2 shown]
	v_cmp_eq_u32_e32 vcc, 18, v25
	ds_read_b32 v29, v28
	v_cndmask_b32_e32 v30, v30, v20, vcc
	v_cmp_eq_u32_e32 vcc, 19, v25
	v_cndmask_b32_e32 v30, v30, v21, vcc
	v_cmp_eq_u32_e32 vcc, 20, v25
	;; [unrolled: 2-line block ×4, first 2 shown]
	v_cndmask_b32_e32 v30, v30, v24, vcc
	v_add_u32_e32 v28, 4, v28
	s_waitcnt lgkmcnt(0)
	v_fmac_f32_e32 v27, v30, v29
	s_andn2_b64 exec, exec, s[8:9]
	s_cbranch_execnz .LBB86_517
; %bb.518:
	s_or_b64 exec, exec, s[8:9]
.LBB86_519:
	s_or_b64 exec, exec, s[6:7]
	v_mov_b32_e32 v20, 0
	ds_read_b32 v20, v20 offset:72
	s_waitcnt lgkmcnt(0)
	v_mul_f32_e32 v20, v27, v20
.LBB86_520:
	s_or_b64 exec, exec, s[4:5]
	v_cmp_gt_u32_e32 vcc, 19, v0
	ds_write_b32 v112, v21
	s_waitcnt lgkmcnt(0)
	; wave barrier
	s_and_saveexec_b64 s[4:5], vcc
	s_cbranch_execz .LBB86_530
; %bb.521:
	s_and_b64 vcc, exec, s[0:1]
	s_cbranch_vccnz .LBB86_523
; %bb.522:
	v_cmp_eq_u32_e32 vcc, 1, v0
	v_cndmask_b32_e32 v25, v2, v3, vcc
	v_cmp_eq_u32_e32 vcc, 2, v0
	v_cndmask_b32_e32 v25, v25, v4, vcc
	v_cmp_eq_u32_e32 vcc, 3, v0
	v_cndmask_b32_e32 v25, v25, v5, vcc
	v_cmp_eq_u32_e32 vcc, 4, v0
	v_cndmask_b32_e32 v25, v25, v6, vcc
	v_cmp_eq_u32_e32 vcc, 5, v0
	v_cndmask_b32_e32 v25, v25, v7, vcc
	v_cmp_eq_u32_e32 vcc, 6, v0
	v_cndmask_b32_e32 v25, v25, v8, vcc
	v_cmp_eq_u32_e32 vcc, 7, v0
	v_cndmask_b32_e32 v25, v25, v9, vcc
	v_cmp_eq_u32_e32 vcc, 8, v0
	v_cndmask_b32_e32 v25, v25, v10, vcc
	v_cmp_eq_u32_e32 vcc, 9, v0
	v_cndmask_b32_e32 v25, v25, v11, vcc
	v_cmp_eq_u32_e32 vcc, 10, v0
	v_cndmask_b32_e32 v25, v25, v12, vcc
	v_cmp_eq_u32_e32 vcc, 11, v0
	v_cndmask_b32_e32 v25, v25, v13, vcc
	v_cmp_eq_u32_e32 vcc, 12, v0
	v_cndmask_b32_e32 v25, v25, v14, vcc
	v_cmp_eq_u32_e32 vcc, 13, v0
	v_cndmask_b32_e32 v25, v25, v15, vcc
	v_cmp_eq_u32_e32 vcc, 14, v0
	v_cndmask_b32_e32 v25, v25, v16, vcc
	v_cmp_eq_u32_e32 vcc, 15, v0
	v_cndmask_b32_e32 v25, v25, v17, vcc
	v_cmp_eq_u32_e32 vcc, 16, v0
	v_cndmask_b32_e32 v25, v25, v18, vcc
	v_cmp_eq_u32_e32 vcc, 17, v0
	v_cndmask_b32_e32 v25, v25, v19, vcc
	v_cmp_eq_u32_e32 vcc, 18, v0
	v_cndmask_b32_e32 v25, v25, v20, vcc
	v_cmp_eq_u32_e32 vcc, 19, v0
	ds_read_b32 v26, v112
	v_cndmask_b32_e32 v25, v25, v21, vcc
	v_cmp_eq_u32_e32 vcc, 20, v0
	v_cndmask_b32_e32 v25, v25, v22, vcc
	v_cmp_eq_u32_e32 vcc, 21, v0
	;; [unrolled: 2-line block ×3, first 2 shown]
	v_cndmask_b32_e32 v25, v25, v24, vcc
	s_waitcnt lgkmcnt(0)
	v_mul_f32_e32 v27, v25, v26
	s_cbranch_execz .LBB86_524
	s_branch .LBB86_525
.LBB86_523:
                                        ; implicit-def: $vgpr27
.LBB86_524:
	ds_read_b32 v27, v112
.LBB86_525:
	v_cmp_ne_u32_e32 vcc, 18, v0
	s_and_saveexec_b64 s[6:7], vcc
	s_cbranch_execz .LBB86_529
; %bb.526:
	v_mov_b32_e32 v25, 0x64
	v_lshl_add_u32 v28, v0, 2, v25
	v_mov_b32_e32 v26, v1
	s_mov_b64 s[8:9], 0
	v_mov_b32_e32 v25, v0
.LBB86_527:                             ; =>This Inner Loop Header: Depth=1
	v_add_co_u32_e32 v25, vcc, 1, v25
	v_addc_co_u32_e32 v26, vcc, 0, v26, vcc
	v_cmp_eq_u32_e32 vcc, 1, v25
	v_cndmask_b32_e32 v30, v2, v3, vcc
	v_cmp_lt_u32_e32 vcc, 17, v25
	v_cmp_eq_u32_e64 s[2:3], 2, v25
	v_cndmask_b32_e64 v30, v30, v4, s[2:3]
	s_or_b64 s[8:9], vcc, s[8:9]
	v_cmp_eq_u32_e32 vcc, 3, v25
	v_cndmask_b32_e32 v30, v30, v5, vcc
	v_cmp_eq_u32_e32 vcc, 4, v25
	v_cndmask_b32_e32 v30, v30, v6, vcc
	;; [unrolled: 2-line block ×15, first 2 shown]
	v_cmp_eq_u32_e32 vcc, 18, v25
	ds_read_b32 v29, v28
	v_cndmask_b32_e32 v30, v30, v20, vcc
	v_cmp_eq_u32_e32 vcc, 19, v25
	v_cndmask_b32_e32 v30, v30, v21, vcc
	v_cmp_eq_u32_e32 vcc, 20, v25
	;; [unrolled: 2-line block ×4, first 2 shown]
	v_cndmask_b32_e32 v30, v30, v24, vcc
	v_add_u32_e32 v28, 4, v28
	s_waitcnt lgkmcnt(0)
	v_fmac_f32_e32 v27, v30, v29
	s_andn2_b64 exec, exec, s[8:9]
	s_cbranch_execnz .LBB86_527
; %bb.528:
	s_or_b64 exec, exec, s[8:9]
.LBB86_529:
	s_or_b64 exec, exec, s[6:7]
	v_mov_b32_e32 v21, 0
	ds_read_b32 v21, v21 offset:76
	s_waitcnt lgkmcnt(0)
	v_mul_f32_e32 v21, v27, v21
.LBB86_530:
	s_or_b64 exec, exec, s[4:5]
	v_cmp_gt_u32_e32 vcc, 20, v0
	ds_write_b32 v112, v22
	s_waitcnt lgkmcnt(0)
	; wave barrier
	s_and_saveexec_b64 s[4:5], vcc
	s_cbranch_execz .LBB86_540
; %bb.531:
	s_and_b64 vcc, exec, s[0:1]
	s_cbranch_vccnz .LBB86_533
; %bb.532:
	v_cmp_eq_u32_e32 vcc, 1, v0
	v_cndmask_b32_e32 v25, v2, v3, vcc
	v_cmp_eq_u32_e32 vcc, 2, v0
	v_cndmask_b32_e32 v25, v25, v4, vcc
	;; [unrolled: 2-line block ×18, first 2 shown]
	v_cmp_eq_u32_e32 vcc, 19, v0
	ds_read_b32 v26, v112
	v_cndmask_b32_e32 v25, v25, v21, vcc
	v_cmp_eq_u32_e32 vcc, 20, v0
	v_cndmask_b32_e32 v25, v25, v22, vcc
	v_cmp_eq_u32_e32 vcc, 21, v0
	;; [unrolled: 2-line block ×3, first 2 shown]
	v_cndmask_b32_e32 v25, v25, v24, vcc
	s_waitcnt lgkmcnt(0)
	v_mul_f32_e32 v27, v25, v26
	s_cbranch_execz .LBB86_534
	s_branch .LBB86_535
.LBB86_533:
                                        ; implicit-def: $vgpr27
.LBB86_534:
	ds_read_b32 v27, v112
.LBB86_535:
	v_cmp_ne_u32_e32 vcc, 19, v0
	s_and_saveexec_b64 s[6:7], vcc
	s_cbranch_execz .LBB86_539
; %bb.536:
	v_mov_b32_e32 v25, 0x64
	v_lshl_add_u32 v28, v0, 2, v25
	v_mov_b32_e32 v26, v1
	s_mov_b64 s[8:9], 0
	v_mov_b32_e32 v25, v0
.LBB86_537:                             ; =>This Inner Loop Header: Depth=1
	v_add_co_u32_e32 v25, vcc, 1, v25
	v_addc_co_u32_e32 v26, vcc, 0, v26, vcc
	v_cmp_eq_u32_e32 vcc, 1, v25
	v_cndmask_b32_e32 v30, v2, v3, vcc
	v_cmp_lt_u32_e32 vcc, 18, v25
	v_cmp_eq_u32_e64 s[2:3], 2, v25
	v_cndmask_b32_e64 v30, v30, v4, s[2:3]
	s_or_b64 s[8:9], vcc, s[8:9]
	v_cmp_eq_u32_e32 vcc, 3, v25
	v_cndmask_b32_e32 v30, v30, v5, vcc
	v_cmp_eq_u32_e32 vcc, 4, v25
	v_cndmask_b32_e32 v30, v30, v6, vcc
	;; [unrolled: 2-line block ×15, first 2 shown]
	v_cmp_eq_u32_e32 vcc, 18, v25
	ds_read_b32 v29, v28
	v_cndmask_b32_e32 v30, v30, v20, vcc
	v_cmp_eq_u32_e32 vcc, 19, v25
	v_cndmask_b32_e32 v30, v30, v21, vcc
	v_cmp_eq_u32_e32 vcc, 20, v25
	;; [unrolled: 2-line block ×4, first 2 shown]
	v_cndmask_b32_e32 v30, v30, v24, vcc
	v_add_u32_e32 v28, 4, v28
	s_waitcnt lgkmcnt(0)
	v_fmac_f32_e32 v27, v30, v29
	s_andn2_b64 exec, exec, s[8:9]
	s_cbranch_execnz .LBB86_537
; %bb.538:
	s_or_b64 exec, exec, s[8:9]
.LBB86_539:
	s_or_b64 exec, exec, s[6:7]
	v_mov_b32_e32 v22, 0
	ds_read_b32 v22, v22 offset:80
	s_waitcnt lgkmcnt(0)
	v_mul_f32_e32 v22, v27, v22
.LBB86_540:
	s_or_b64 exec, exec, s[4:5]
	v_cmp_gt_u32_e64 s[2:3], 21, v0
	ds_write_b32 v112, v23
	s_waitcnt lgkmcnt(0)
	; wave barrier
	s_and_saveexec_b64 s[6:7], s[2:3]
	s_cbranch_execz .LBB86_550
; %bb.541:
	s_and_b64 vcc, exec, s[0:1]
	s_cbranch_vccnz .LBB86_543
; %bb.542:
	v_cmp_eq_u32_e32 vcc, 1, v0
	v_cndmask_b32_e32 v25, v2, v3, vcc
	v_cmp_eq_u32_e32 vcc, 2, v0
	v_cndmask_b32_e32 v25, v25, v4, vcc
	;; [unrolled: 2-line block ×18, first 2 shown]
	v_cmp_eq_u32_e32 vcc, 19, v0
	ds_read_b32 v26, v112
	v_cndmask_b32_e32 v25, v25, v21, vcc
	v_cmp_eq_u32_e32 vcc, 20, v0
	v_cndmask_b32_e32 v25, v25, v22, vcc
	v_cmp_eq_u32_e32 vcc, 21, v0
	;; [unrolled: 2-line block ×3, first 2 shown]
	v_cndmask_b32_e32 v25, v25, v24, vcc
	s_waitcnt lgkmcnt(0)
	v_mul_f32_e32 v27, v25, v26
	s_cbranch_execz .LBB86_544
	s_branch .LBB86_545
.LBB86_543:
                                        ; implicit-def: $vgpr27
.LBB86_544:
	ds_read_b32 v27, v112
.LBB86_545:
	v_cmp_ne_u32_e32 vcc, 20, v0
	s_and_saveexec_b64 s[8:9], vcc
	s_cbranch_execz .LBB86_549
; %bb.546:
	v_mov_b32_e32 v25, 0x64
	v_lshl_add_u32 v28, v0, 2, v25
	v_mov_b32_e32 v26, v1
	s_mov_b64 s[10:11], 0
	v_mov_b32_e32 v25, v0
.LBB86_547:                             ; =>This Inner Loop Header: Depth=1
	v_add_co_u32_e32 v25, vcc, 1, v25
	v_addc_co_u32_e32 v26, vcc, 0, v26, vcc
	v_cmp_eq_u32_e32 vcc, 1, v25
	v_cndmask_b32_e32 v30, v2, v3, vcc
	v_cmp_lt_u32_e32 vcc, 19, v25
	v_cmp_eq_u32_e64 s[4:5], 2, v25
	v_cndmask_b32_e64 v30, v30, v4, s[4:5]
	s_or_b64 s[10:11], vcc, s[10:11]
	v_cmp_eq_u32_e32 vcc, 3, v25
	v_cndmask_b32_e32 v30, v30, v5, vcc
	v_cmp_eq_u32_e32 vcc, 4, v25
	v_cndmask_b32_e32 v30, v30, v6, vcc
	;; [unrolled: 2-line block ×15, first 2 shown]
	v_cmp_eq_u32_e32 vcc, 18, v25
	ds_read_b32 v29, v28
	v_cndmask_b32_e32 v30, v30, v20, vcc
	v_cmp_eq_u32_e32 vcc, 19, v25
	v_cndmask_b32_e32 v30, v30, v21, vcc
	v_cmp_eq_u32_e32 vcc, 20, v25
	;; [unrolled: 2-line block ×4, first 2 shown]
	v_cndmask_b32_e32 v30, v30, v24, vcc
	v_add_u32_e32 v28, 4, v28
	s_waitcnt lgkmcnt(0)
	v_fmac_f32_e32 v27, v30, v29
	s_andn2_b64 exec, exec, s[10:11]
	s_cbranch_execnz .LBB86_547
; %bb.548:
	s_or_b64 exec, exec, s[10:11]
.LBB86_549:
	s_or_b64 exec, exec, s[8:9]
	v_mov_b32_e32 v23, 0
	ds_read_b32 v23, v23 offset:84
	s_waitcnt lgkmcnt(0)
	v_mul_f32_e32 v23, v27, v23
.LBB86_550:
	s_or_b64 exec, exec, s[6:7]
	v_cmp_ne_u32_e32 vcc, 22, v0
	ds_write_b32 v112, v24
	s_waitcnt lgkmcnt(0)
	; wave barrier
	s_and_saveexec_b64 s[4:5], vcc
	s_cbranch_execz .LBB86_560
; %bb.551:
	s_and_b64 vcc, exec, s[0:1]
	s_cbranch_vccnz .LBB86_553
; %bb.552:
	v_cmp_eq_u32_e32 vcc, 1, v0
	v_cndmask_b32_e32 v25, v2, v3, vcc
	v_cmp_eq_u32_e32 vcc, 2, v0
	v_cndmask_b32_e32 v25, v25, v4, vcc
	;; [unrolled: 2-line block ×18, first 2 shown]
	v_cmp_eq_u32_e32 vcc, 19, v0
	ds_read_b32 v26, v112
	v_cndmask_b32_e32 v25, v25, v21, vcc
	v_cmp_eq_u32_e32 vcc, 20, v0
	v_cndmask_b32_e32 v25, v25, v22, vcc
	v_cmp_eq_u32_e32 vcc, 21, v0
	;; [unrolled: 2-line block ×3, first 2 shown]
	v_cndmask_b32_e32 v25, v25, v24, vcc
	s_waitcnt lgkmcnt(0)
	v_mul_f32_e32 v25, v25, v26
	s_cbranch_execz .LBB86_554
	s_branch .LBB86_555
.LBB86_553:
                                        ; implicit-def: $vgpr25
.LBB86_554:
	ds_read_b32 v25, v112
.LBB86_555:
	s_and_saveexec_b64 s[6:7], s[2:3]
	s_cbranch_execz .LBB86_559
; %bb.556:
	v_mov_b32_e32 v26, 0x64
	v_lshl_add_u32 v26, v0, 2, v26
	s_mov_b64 s[2:3], 0
.LBB86_557:                             ; =>This Inner Loop Header: Depth=1
	v_add_co_u32_e32 v0, vcc, 1, v0
	v_addc_co_u32_e32 v1, vcc, 0, v1, vcc
	v_cmp_eq_u32_e32 vcc, 1, v0
	v_cndmask_b32_e32 v28, v2, v3, vcc
	v_cmp_lt_u32_e32 vcc, 20, v0
	v_cmp_eq_u32_e64 s[0:1], 2, v0
	v_cndmask_b32_e64 v28, v28, v4, s[0:1]
	s_or_b64 s[2:3], vcc, s[2:3]
	v_cmp_eq_u32_e32 vcc, 3, v0
	v_cndmask_b32_e32 v28, v28, v5, vcc
	v_cmp_eq_u32_e32 vcc, 4, v0
	v_cndmask_b32_e32 v28, v28, v6, vcc
	;; [unrolled: 2-line block ×15, first 2 shown]
	v_cmp_eq_u32_e32 vcc, 18, v0
	ds_read_b32 v27, v26
	v_cndmask_b32_e32 v28, v28, v20, vcc
	v_cmp_eq_u32_e32 vcc, 19, v0
	v_cndmask_b32_e32 v28, v28, v21, vcc
	v_cmp_eq_u32_e32 vcc, 20, v0
	;; [unrolled: 2-line block ×4, first 2 shown]
	v_cndmask_b32_e32 v28, v28, v24, vcc
	v_add_u32_e32 v26, 4, v26
	s_waitcnt lgkmcnt(0)
	v_fmac_f32_e32 v25, v28, v27
	s_andn2_b64 exec, exec, s[2:3]
	s_cbranch_execnz .LBB86_557
; %bb.558:
	s_or_b64 exec, exec, s[2:3]
.LBB86_559:
	s_or_b64 exec, exec, s[6:7]
	v_mov_b32_e32 v0, 0
	ds_read_b32 v0, v0 offset:88
	s_waitcnt lgkmcnt(0)
	v_mul_f32_e32 v24, v25, v0
.LBB86_560:
	s_or_b64 exec, exec, s[4:5]
	v_mov_b32_e32 v65, v33
	v_mov_b32_e32 v64, v32
	;; [unrolled: 1-line block ×32, first 2 shown]
.LBB86_561:
	flat_store_dword v[108:109], v34
	flat_store_dword v[110:111], v35
	flat_store_dword v[66:67], v36
	flat_store_dword v[68:69], v37
	flat_store_dword v[70:71], v38
	flat_store_dword v[72:73], v39
	flat_store_dword v[74:75], v40
	flat_store_dword v[76:77], v41
	flat_store_dword v[78:79], v42
	flat_store_dword v[80:81], v43
	flat_store_dword v[82:83], v44
	flat_store_dword v[84:85], v45
	flat_store_dword v[86:87], v46
	flat_store_dword v[88:89], v47
	flat_store_dword v[90:91], v48
	flat_store_dword v[92:93], v49
	flat_store_dword v[94:95], v50
	flat_store_dword v[96:97], v51
	flat_store_dword v[98:99], v52
	flat_store_dword v[100:101], v53
	flat_store_dword v[102:103], v54
	flat_store_dword v[104:105], v55
	flat_store_dword v[106:107], v56
.LBB86_562:
	s_endpgm
	.section	.rodata,"a",@progbits
	.p2align	6, 0x0
	.amdhsa_kernel _ZN9rocsolver6v33100L18trti2_kernel_smallILi23EfPKPfEEv13rocblas_fill_17rocblas_diagonal_T1_iil
		.amdhsa_group_segment_fixed_size 188
		.amdhsa_private_segment_fixed_size 0
		.amdhsa_kernarg_size 32
		.amdhsa_user_sgpr_count 6
		.amdhsa_user_sgpr_private_segment_buffer 1
		.amdhsa_user_sgpr_dispatch_ptr 0
		.amdhsa_user_sgpr_queue_ptr 0
		.amdhsa_user_sgpr_kernarg_segment_ptr 1
		.amdhsa_user_sgpr_dispatch_id 0
		.amdhsa_user_sgpr_flat_scratch_init 0
		.amdhsa_user_sgpr_private_segment_size 0
		.amdhsa_uses_dynamic_stack 0
		.amdhsa_system_sgpr_private_segment_wavefront_offset 0
		.amdhsa_system_sgpr_workgroup_id_x 1
		.amdhsa_system_sgpr_workgroup_id_y 0
		.amdhsa_system_sgpr_workgroup_id_z 0
		.amdhsa_system_sgpr_workgroup_info 0
		.amdhsa_system_vgpr_workitem_id 0
		.amdhsa_next_free_vgpr 128
		.amdhsa_next_free_sgpr 54
		.amdhsa_reserve_vcc 1
		.amdhsa_reserve_flat_scratch 0
		.amdhsa_float_round_mode_32 0
		.amdhsa_float_round_mode_16_64 0
		.amdhsa_float_denorm_mode_32 3
		.amdhsa_float_denorm_mode_16_64 3
		.amdhsa_dx10_clamp 1
		.amdhsa_ieee_mode 1
		.amdhsa_fp16_overflow 0
		.amdhsa_exception_fp_ieee_invalid_op 0
		.amdhsa_exception_fp_denorm_src 0
		.amdhsa_exception_fp_ieee_div_zero 0
		.amdhsa_exception_fp_ieee_overflow 0
		.amdhsa_exception_fp_ieee_underflow 0
		.amdhsa_exception_fp_ieee_inexact 0
		.amdhsa_exception_int_div_zero 0
	.end_amdhsa_kernel
	.section	.text._ZN9rocsolver6v33100L18trti2_kernel_smallILi23EfPKPfEEv13rocblas_fill_17rocblas_diagonal_T1_iil,"axG",@progbits,_ZN9rocsolver6v33100L18trti2_kernel_smallILi23EfPKPfEEv13rocblas_fill_17rocblas_diagonal_T1_iil,comdat
.Lfunc_end86:
	.size	_ZN9rocsolver6v33100L18trti2_kernel_smallILi23EfPKPfEEv13rocblas_fill_17rocblas_diagonal_T1_iil, .Lfunc_end86-_ZN9rocsolver6v33100L18trti2_kernel_smallILi23EfPKPfEEv13rocblas_fill_17rocblas_diagonal_T1_iil
                                        ; -- End function
	.set _ZN9rocsolver6v33100L18trti2_kernel_smallILi23EfPKPfEEv13rocblas_fill_17rocblas_diagonal_T1_iil.num_vgpr, 128
	.set _ZN9rocsolver6v33100L18trti2_kernel_smallILi23EfPKPfEEv13rocblas_fill_17rocblas_diagonal_T1_iil.num_agpr, 0
	.set _ZN9rocsolver6v33100L18trti2_kernel_smallILi23EfPKPfEEv13rocblas_fill_17rocblas_diagonal_T1_iil.numbered_sgpr, 54
	.set _ZN9rocsolver6v33100L18trti2_kernel_smallILi23EfPKPfEEv13rocblas_fill_17rocblas_diagonal_T1_iil.num_named_barrier, 0
	.set _ZN9rocsolver6v33100L18trti2_kernel_smallILi23EfPKPfEEv13rocblas_fill_17rocblas_diagonal_T1_iil.private_seg_size, 0
	.set _ZN9rocsolver6v33100L18trti2_kernel_smallILi23EfPKPfEEv13rocblas_fill_17rocblas_diagonal_T1_iil.uses_vcc, 1
	.set _ZN9rocsolver6v33100L18trti2_kernel_smallILi23EfPKPfEEv13rocblas_fill_17rocblas_diagonal_T1_iil.uses_flat_scratch, 0
	.set _ZN9rocsolver6v33100L18trti2_kernel_smallILi23EfPKPfEEv13rocblas_fill_17rocblas_diagonal_T1_iil.has_dyn_sized_stack, 0
	.set _ZN9rocsolver6v33100L18trti2_kernel_smallILi23EfPKPfEEv13rocblas_fill_17rocblas_diagonal_T1_iil.has_recursion, 0
	.set _ZN9rocsolver6v33100L18trti2_kernel_smallILi23EfPKPfEEv13rocblas_fill_17rocblas_diagonal_T1_iil.has_indirect_call, 0
	.section	.AMDGPU.csdata,"",@progbits
; Kernel info:
; codeLenInByte = 32264
; TotalNumSgprs: 58
; NumVgprs: 128
; ScratchSize: 0
; MemoryBound: 0
; FloatMode: 240
; IeeeMode: 1
; LDSByteSize: 188 bytes/workgroup (compile time only)
; SGPRBlocks: 7
; VGPRBlocks: 31
; NumSGPRsForWavesPerEU: 58
; NumVGPRsForWavesPerEU: 128
; Occupancy: 2
; WaveLimiterHint : 1
; COMPUTE_PGM_RSRC2:SCRATCH_EN: 0
; COMPUTE_PGM_RSRC2:USER_SGPR: 6
; COMPUTE_PGM_RSRC2:TRAP_HANDLER: 0
; COMPUTE_PGM_RSRC2:TGID_X_EN: 1
; COMPUTE_PGM_RSRC2:TGID_Y_EN: 0
; COMPUTE_PGM_RSRC2:TGID_Z_EN: 0
; COMPUTE_PGM_RSRC2:TIDIG_COMP_CNT: 0
	.section	.text._ZN9rocsolver6v33100L18trti2_kernel_smallILi24EfPKPfEEv13rocblas_fill_17rocblas_diagonal_T1_iil,"axG",@progbits,_ZN9rocsolver6v33100L18trti2_kernel_smallILi24EfPKPfEEv13rocblas_fill_17rocblas_diagonal_T1_iil,comdat
	.globl	_ZN9rocsolver6v33100L18trti2_kernel_smallILi24EfPKPfEEv13rocblas_fill_17rocblas_diagonal_T1_iil ; -- Begin function _ZN9rocsolver6v33100L18trti2_kernel_smallILi24EfPKPfEEv13rocblas_fill_17rocblas_diagonal_T1_iil
	.p2align	8
	.type	_ZN9rocsolver6v33100L18trti2_kernel_smallILi24EfPKPfEEv13rocblas_fill_17rocblas_diagonal_T1_iil,@function
_ZN9rocsolver6v33100L18trti2_kernel_smallILi24EfPKPfEEv13rocblas_fill_17rocblas_diagonal_T1_iil: ; @_ZN9rocsolver6v33100L18trti2_kernel_smallILi24EfPKPfEEv13rocblas_fill_17rocblas_diagonal_T1_iil
; %bb.0:
	v_cmp_gt_u32_e32 vcc, 24, v0
	s_and_saveexec_b64 s[0:1], vcc
	s_cbranch_execz .LBB87_588
; %bb.1:
	s_load_dwordx2 s[0:1], s[4:5], 0x10
	s_load_dwordx4 s[52:55], s[4:5], 0x0
	s_ashr_i32 s7, s6, 31
	s_lshl_b64 s[2:3], s[6:7], 3
	v_lshlrev_b32_e32 v34, 2, v0
	s_waitcnt lgkmcnt(0)
	s_ashr_i32 s5, s0, 31
	s_add_u32 s2, s54, s2
	s_addc_u32 s3, s55, s3
	s_load_dwordx2 s[2:3], s[2:3], 0x0
	s_mov_b32 s4, s0
	s_lshl_b64 s[4:5], s[4:5], 2
	v_mov_b32_e32 v35, -1.0
	s_waitcnt lgkmcnt(0)
	s_add_u32 s0, s2, s4
	s_addc_u32 s2, s3, s5
	s_add_i32 s3, s1, s1
	v_add_u32_e32 v1, s3, v0
	v_ashrrev_i32_e32 v2, 31, v1
	v_lshlrev_b64 v[2:3], 2, v[1:2]
	v_add_u32_e32 v1, s1, v1
	v_mov_b32_e32 v4, s2
	v_add_co_u32_e32 v66, vcc, s0, v2
	v_ashrrev_i32_e32 v2, 31, v1
	v_addc_co_u32_e32 v67, vcc, v4, v3, vcc
	v_lshlrev_b64 v[2:3], 2, v[1:2]
	v_add_u32_e32 v1, s1, v1
	v_add_co_u32_e32 v68, vcc, s0, v2
	v_ashrrev_i32_e32 v2, 31, v1
	v_addc_co_u32_e32 v69, vcc, v4, v3, vcc
	v_lshlrev_b64 v[2:3], 2, v[1:2]
	v_add_u32_e32 v1, s1, v1
	;; [unrolled: 5-line block ×20, first 2 shown]
	v_add_co_u32_e32 v106, vcc, s0, v2
	v_ashrrev_i32_e32 v2, 31, v1
	v_lshlrev_b64 v[1:2], 2, v[1:2]
	v_addc_co_u32_e32 v107, vcc, v4, v3, vcc
	v_mov_b32_e32 v3, s2
	v_add_co_u32_e32 v108, vcc, s0, v1
	v_addc_co_u32_e32 v109, vcc, v3, v2, vcc
	v_mov_b32_e32 v1, s2
	v_add_co_u32_e32 v110, vcc, s0, v34
	s_ashr_i32 s3, s1, 31
	s_mov_b32 s2, s1
	v_addc_co_u32_e32 v111, vcc, 0, v1, vcc
	s_lshl_b64 s[0:1], s[2:3], 2
	v_mov_b32_e32 v1, s1
	v_add_co_u32_e32 v112, vcc, s0, v110
	v_addc_co_u32_e32 v113, vcc, v111, v1, vcc
	flat_load_dword v2, v[110:111]
	flat_load_dword v3, v[112:113]
	;; [unrolled: 1-line block ×24, first 2 shown]
	s_cmpk_lg_i32 s53, 0x84
	v_mov_b32_e32 v1, 0
	s_cselect_b64 s[50:51], -1, 0
	s_cmpk_eq_i32 s53, 0x84
	v_cmp_eq_u32_e64 s[0:1], 0, v0
	s_cbranch_scc1 .LBB87_3
; %bb.2:
	v_cmp_eq_u32_e64 s[2:3], 1, v0
	s_waitcnt vmcnt(0) lgkmcnt(0)
	v_cndmask_b32_e64 v26, v2, v3, s[2:3]
	v_cmp_eq_u32_e64 s[4:5], 2, v0
	v_cndmask_b32_e64 v26, v26, v4, s[4:5]
	v_cmp_eq_u32_e64 s[6:7], 3, v0
	;; [unrolled: 2-line block ×22, first 2 shown]
	v_cndmask_b32_e64 v26, v26, v25, s[48:49]
	v_div_scale_f32 v27, s[54:55], v26, v26, 1.0
	v_div_scale_f32 v28, vcc, 1.0, v26, 1.0
	v_rcp_f32_e32 v29, v27
	v_fma_f32 v30, -v27, v29, 1.0
	v_fmac_f32_e32 v29, v30, v29
	v_mul_f32_e32 v30, v28, v29
	v_fma_f32 v31, -v27, v30, v28
	v_fmac_f32_e32 v30, v31, v29
	v_fma_f32 v27, -v27, v30, v28
	v_div_fmas_f32 v27, v27, v29, v30
	v_div_fixup_f32 v26, v27, v26, 1.0
	v_cndmask_b32_e64 v25, v25, v26, s[48:49]
	v_cndmask_b32_e64 v24, v24, v26, s[46:47]
	;; [unrolled: 1-line block ×24, first 2 shown]
	v_xor_b32_e32 v35, 0x80000000, v26
.LBB87_3:
	s_cmpk_eq_i32 s52, 0x79
	v_add_u32_e32 v114, 0x60, v34
	ds_write_b32 v34, v35
	s_cbranch_scc1 .LBB87_7
; %bb.4:
	s_waitcnt vmcnt(0) lgkmcnt(0)
	v_mov_b32_e32 v65, v33
	v_mov_b32_e32 v64, v32
	;; [unrolled: 1-line block ×32, first 2 shown]
	v_cmp_eq_u32_e64 s[0:1], 23, v0
	ds_write_b32 v114, v24
	s_waitcnt lgkmcnt(0)
	; wave barrier
	s_and_saveexec_b64 s[2:3], s[0:1]
	s_cbranch_execz .LBB87_11
; %bb.5:
	s_and_b64 vcc, exec, s[50:51]
	s_cbranch_vccz .LBB87_8
; %bb.6:
	v_cmp_eq_u32_e32 vcc, 1, v0
	v_cndmask_b32_e32 v34, v2, v3, vcc
	v_cmp_eq_u32_e32 vcc, 2, v0
	v_cndmask_b32_e32 v34, v34, v4, vcc
	;; [unrolled: 2-line block ×19, first 2 shown]
	v_cmp_eq_u32_e32 vcc, 20, v0
	ds_read_b32 v35, v114
	v_cndmask_b32_e32 v34, v34, v22, vcc
	v_cmp_eq_u32_e32 vcc, 21, v0
	v_cndmask_b32_e32 v34, v34, v23, vcc
	v_cmp_eq_u32_e32 vcc, 22, v0
	;; [unrolled: 2-line block ×3, first 2 shown]
	v_cndmask_b32_e32 v34, v34, v25, vcc
	s_waitcnt lgkmcnt(0)
	v_mul_f32_e32 v38, v34, v35
	s_cbranch_execz .LBB87_9
	s_branch .LBB87_10
.LBB87_7:
                                        ; implicit-def: $vgpr34_vgpr35_vgpr36_vgpr37_vgpr38_vgpr39_vgpr40_vgpr41_vgpr42_vgpr43_vgpr44_vgpr45_vgpr46_vgpr47_vgpr48_vgpr49_vgpr50_vgpr51_vgpr52_vgpr53_vgpr54_vgpr55_vgpr56_vgpr57_vgpr58_vgpr59_vgpr60_vgpr61_vgpr62_vgpr63_vgpr64_vgpr65
	s_cbranch_execnz .LBB87_354
	s_branch .LBB87_587
.LBB87_8:
                                        ; implicit-def: $vgpr38
.LBB87_9:
	ds_read_b32 v38, v114
.LBB87_10:
	v_mov_b32_e32 v34, 0
	ds_read_b32 v39, v34 offset:88
	v_mov_b32_e32 v34, v2
	v_mov_b32_e32 v35, v3
	;; [unrolled: 1-line block ×4, first 2 shown]
	s_waitcnt lgkmcnt(0)
	v_mul_f32_e32 v56, v38, v39
	v_mov_b32_e32 v38, v6
	v_mov_b32_e32 v39, v7
	v_mov_b32_e32 v40, v8
	v_mov_b32_e32 v41, v9
	v_mov_b32_e32 v42, v10
	v_mov_b32_e32 v43, v11
	v_mov_b32_e32 v44, v12
	v_mov_b32_e32 v45, v13
	v_mov_b32_e32 v46, v14
	v_mov_b32_e32 v47, v15
	v_mov_b32_e32 v48, v16
	v_mov_b32_e32 v49, v17
	v_mov_b32_e32 v50, v18
	v_mov_b32_e32 v51, v19
	v_mov_b32_e32 v52, v20
	v_mov_b32_e32 v53, v21
	v_mov_b32_e32 v54, v22
	v_mov_b32_e32 v55, v23
	v_mov_b32_e32 v57, v25
.LBB87_11:
	s_or_b64 exec, exec, s[2:3]
	v_cmp_lt_u32_e64 s[2:3], 21, v0
	ds_write_b32 v114, v55
	s_waitcnt lgkmcnt(0)
	; wave barrier
	s_and_saveexec_b64 s[4:5], s[2:3]
	s_cbranch_execz .LBB87_17
; %bb.12:
	s_andn2_b64 vcc, exec, s[50:51]
	s_cbranch_vccnz .LBB87_14
; %bb.13:
	v_cmp_eq_u32_e32 vcc, 1, v0
	v_cndmask_b32_e32 v58, v34, v35, vcc
	v_cmp_eq_u32_e32 vcc, 2, v0
	v_cndmask_b32_e32 v58, v58, v36, vcc
	;; [unrolled: 2-line block ×21, first 2 shown]
	ds_read_b32 v58, v114
	v_cmp_eq_u32_e32 vcc, 22, v0
	v_cndmask_b32_e32 v55, v55, v56, vcc
	v_cmp_eq_u32_e32 vcc, 23, v0
	v_cndmask_b32_e32 v55, v55, v57, vcc
	s_waitcnt lgkmcnt(0)
	v_mul_f32_e32 v55, v55, v58
	s_cbranch_execz .LBB87_15
	s_branch .LBB87_16
.LBB87_14:
                                        ; implicit-def: $vgpr55
.LBB87_15:
	ds_read_b32 v55, v114
.LBB87_16:
	v_mov_b32_e32 v58, 0
	ds_read2_b32 v[58:59], v58 offset0:21 offset1:46
	s_waitcnt lgkmcnt(0)
	v_fma_f32 v59, v56, v59, v55
	v_cndmask_b32_e64 v55, v55, v59, s[0:1]
	v_mul_f32_e32 v55, v55, v58
.LBB87_17:
	s_or_b64 exec, exec, s[4:5]
	v_cmp_lt_u32_e64 s[0:1], 20, v0
	ds_write_b32 v114, v54
	s_waitcnt lgkmcnt(0)
	; wave barrier
	s_and_saveexec_b64 s[4:5], s[0:1]
	s_cbranch_execz .LBB87_33
; %bb.18:
	s_andn2_b64 vcc, exec, s[50:51]
	s_cbranch_vccnz .LBB87_20
; %bb.19:
	v_cmp_eq_u32_e32 vcc, 1, v0
	v_cndmask_b32_e32 v115, v34, v35, vcc
	v_cmp_eq_u32_e32 vcc, 2, v0
	v_cndmask_b32_e32 v115, v115, v36, vcc
	;; [unrolled: 2-line block ×19, first 2 shown]
	v_cmp_eq_u32_e32 vcc, 20, v0
	ds_read_b32 v116, v114
	v_cndmask_b32_e32 v115, v115, v54, vcc
	v_cmp_eq_u32_e32 vcc, 21, v0
	v_cndmask_b32_e32 v115, v115, v55, vcc
	v_cmp_eq_u32_e32 vcc, 22, v0
	;; [unrolled: 2-line block ×3, first 2 shown]
	v_cndmask_b32_e32 v115, v115, v57, vcc
	s_waitcnt lgkmcnt(0)
	v_mul_f32_e32 v115, v115, v116
	s_cbranch_execz .LBB87_21
	s_branch .LBB87_22
.LBB87_20:
                                        ; implicit-def: $vgpr115
.LBB87_21:
	ds_read_b32 v115, v114
.LBB87_22:
	s_and_saveexec_b64 s[6:7], s[2:3]
	s_cbranch_execz .LBB87_32
; %bb.23:
	v_subrev_u32_e32 v118, 22, v0
	v_mov_b32_e32 v116, 21
	v_subrev_u32_e32 v117, 21, v0
	v_cmp_lt_u32_e32 vcc, 6, v118
	s_and_saveexec_b64 s[2:3], vcc
	s_cbranch_execz .LBB87_27
; %bb.24:
	v_and_b32_e32 v116, -8, v117
	v_sub_u32_e32 v118, 0, v116
	s_mov_b64 s[8:9], 28
	s_movk_i32 s12, 0xb4
	s_mov_b64 s[10:11], 0
.LBB87_25:                              ; =>This Inner Loop Header: Depth=1
	s_add_i32 s13, s8, -7
	v_mov_b32_e32 v121, s12
	s_set_gpr_idx_on s13, gpr_idx(SRC0)
	v_mov_b32_e32 v116, v34
	s_set_gpr_idx_off
	ds_read2_b32 v[119:120], v121 offset1:1
	s_add_i32 s13, s8, -6
	s_waitcnt lgkmcnt(0)
	v_fmac_f32_e32 v115, v116, v119
	s_set_gpr_idx_on s13, gpr_idx(SRC0)
	v_mov_b32_e32 v116, v34
	s_set_gpr_idx_off
	s_add_i32 s13, s8, -5
	v_fmac_f32_e32 v115, v116, v120
	s_set_gpr_idx_on s13, gpr_idx(SRC0)
	v_mov_b32_e32 v116, v34
	s_set_gpr_idx_off
	ds_read2_b32 v[119:120], v121 offset0:2 offset1:3
	s_add_i32 s13, s8, -4
	s_waitcnt lgkmcnt(0)
	v_fmac_f32_e32 v115, v116, v119
	s_set_gpr_idx_on s13, gpr_idx(SRC0)
	v_mov_b32_e32 v116, v34
	s_set_gpr_idx_off
	s_add_i32 s13, s8, -3
	v_fmac_f32_e32 v115, v116, v120
	s_set_gpr_idx_on s13, gpr_idx(SRC0)
	v_mov_b32_e32 v116, v34
	s_set_gpr_idx_off
	ds_read2_b32 v[119:120], v121 offset0:4 offset1:5
	;; [unrolled: 12-line block ×3, first 2 shown]
	s_waitcnt lgkmcnt(0)
	v_fmac_f32_e32 v115, v116, v119
	s_set_gpr_idx_on s8, gpr_idx(SRC0)
	v_mov_b32_e32 v116, v34
	s_set_gpr_idx_off
	s_add_u32 s8, s8, 8
	v_fmac_f32_e32 v115, v116, v120
	v_add_u32_e32 v116, s8, v118
	s_addc_u32 s9, s9, 0
	s_add_i32 s12, s12, 32
	v_cmp_eq_u32_e32 vcc, 28, v116
	s_add_i32 s13, s8, -7
	s_or_b64 s[10:11], vcc, s[10:11]
	v_mov_b32_e32 v116, s13
	s_andn2_b64 exec, exec, s[10:11]
	s_cbranch_execnz .LBB87_25
; %bb.26:
	s_or_b64 exec, exec, s[10:11]
.LBB87_27:
	s_or_b64 exec, exec, s[2:3]
	v_and_b32_e32 v58, 7, v117
	v_cmp_ne_u32_e32 vcc, 0, v58
	s_and_saveexec_b64 s[8:9], vcc
	s_cbranch_execz .LBB87_31
; %bb.28:
	v_mov_b32_e32 v59, 0x60
	v_lshl_add_u32 v59, v116, 2, v59
	v_mov_b32_e32 v60, 0
	s_mov_b64 s[10:11], 0
.LBB87_29:                              ; =>This Inner Loop Header: Depth=1
	v_cmp_eq_u32_e32 vcc, 1, v116
	v_cndmask_b32_e32 v61, v34, v35, vcc
	v_add_u32_e32 v58, -1, v58
	v_cmp_eq_u32_e32 vcc, 2, v116
	v_cndmask_b32_e32 v61, v61, v36, vcc
	v_cmp_eq_u32_e32 vcc, 0, v58
	v_cmp_eq_u32_e64 s[2:3], 3, v116
	v_cndmask_b32_e64 v61, v61, v37, s[2:3]
	s_or_b64 s[10:11], vcc, s[10:11]
	v_cmp_eq_u32_e32 vcc, 4, v116
	v_cndmask_b32_e32 v61, v61, v38, vcc
	v_cmp_eq_u32_e32 vcc, 5, v116
	v_cndmask_b32_e32 v61, v61, v39, vcc
	;; [unrolled: 2-line block ×15, first 2 shown]
	v_cmp_eq_u32_e32 vcc, 19, v116
	ds_read_b32 v62, v59
	v_cndmask_b32_e32 v61, v61, v53, vcc
	v_cmp_eq_u32_e32 vcc, 20, v116
	v_cndmask_b32_e32 v61, v61, v54, vcc
	v_cmp_eq_u32_e32 vcc, 21, v116
	;; [unrolled: 2-line block ×4, first 2 shown]
	v_add_co_u32_e64 v116, s[2:3], 1, v116
	v_cndmask_b32_e32 v61, v61, v57, vcc
	v_add_u32_e32 v59, 4, v59
	v_addc_co_u32_e64 v60, s[2:3], 0, v60, s[2:3]
	s_waitcnt lgkmcnt(0)
	v_fmac_f32_e32 v115, v61, v62
	s_andn2_b64 exec, exec, s[10:11]
	s_cbranch_execnz .LBB87_29
; %bb.30:
	s_or_b64 exec, exec, s[10:11]
.LBB87_31:
	s_or_b64 exec, exec, s[8:9]
.LBB87_32:
	s_or_b64 exec, exec, s[6:7]
	v_mov_b32_e32 v54, 0
	ds_read_b32 v54, v54 offset:80
	s_waitcnt lgkmcnt(0)
	v_mul_f32_e32 v54, v115, v54
.LBB87_33:
	s_or_b64 exec, exec, s[4:5]
	v_cmp_lt_u32_e64 s[2:3], 19, v0
	ds_write_b32 v114, v53
	s_waitcnt lgkmcnt(0)
	; wave barrier
	s_and_saveexec_b64 s[4:5], s[2:3]
	s_cbranch_execz .LBB87_49
; %bb.34:
	s_andn2_b64 vcc, exec, s[50:51]
	s_cbranch_vccnz .LBB87_36
; %bb.35:
	v_cmp_eq_u32_e32 vcc, 1, v0
	v_cndmask_b32_e32 v115, v34, v35, vcc
	v_cmp_eq_u32_e32 vcc, 2, v0
	v_cndmask_b32_e32 v115, v115, v36, vcc
	;; [unrolled: 2-line block ×19, first 2 shown]
	v_cmp_eq_u32_e32 vcc, 20, v0
	ds_read_b32 v116, v114
	v_cndmask_b32_e32 v115, v115, v54, vcc
	v_cmp_eq_u32_e32 vcc, 21, v0
	v_cndmask_b32_e32 v115, v115, v55, vcc
	v_cmp_eq_u32_e32 vcc, 22, v0
	;; [unrolled: 2-line block ×3, first 2 shown]
	v_cndmask_b32_e32 v115, v115, v57, vcc
	s_waitcnt lgkmcnt(0)
	v_mul_f32_e32 v115, v115, v116
	s_cbranch_execz .LBB87_37
	s_branch .LBB87_38
.LBB87_36:
                                        ; implicit-def: $vgpr115
.LBB87_37:
	ds_read_b32 v115, v114
.LBB87_38:
	s_and_saveexec_b64 s[6:7], s[0:1]
	s_cbranch_execz .LBB87_48
; %bb.39:
	v_subrev_u32_e32 v118, 21, v0
	v_mov_b32_e32 v116, 20
	v_subrev_u32_e32 v117, 20, v0
	v_cmp_lt_u32_e32 vcc, 6, v118
	s_and_saveexec_b64 s[0:1], vcc
	s_cbranch_execz .LBB87_43
; %bb.40:
	v_and_b32_e32 v116, -8, v117
	v_sub_u32_e32 v118, 0, v116
	s_mov_b64 s[8:9], 27
	s_movk_i32 s12, 0xb0
	s_mov_b64 s[10:11], 0
.LBB87_41:                              ; =>This Inner Loop Header: Depth=1
	s_add_i32 s13, s8, -7
	v_mov_b32_e32 v123, s12
	s_set_gpr_idx_on s13, gpr_idx(SRC0)
	v_mov_b32_e32 v116, v34
	s_set_gpr_idx_off
	ds_read_b128 v[119:122], v123
	ds_read_b128 v[123:126], v123 offset:16
	s_add_i32 s13, s8, -6
	s_waitcnt lgkmcnt(1)
	v_fmac_f32_e32 v115, v116, v119
	s_set_gpr_idx_on s13, gpr_idx(SRC0)
	v_mov_b32_e32 v116, v34
	s_set_gpr_idx_off
	s_add_i32 s13, s8, -5
	v_fmac_f32_e32 v115, v116, v120
	s_set_gpr_idx_on s13, gpr_idx(SRC0)
	v_mov_b32_e32 v116, v34
	s_set_gpr_idx_off
	s_add_i32 s13, s8, -4
	;; [unrolled: 5-line block ×4, first 2 shown]
	s_waitcnt lgkmcnt(0)
	v_fmac_f32_e32 v115, v116, v123
	s_set_gpr_idx_on s13, gpr_idx(SRC0)
	v_mov_b32_e32 v116, v34
	s_set_gpr_idx_off
	s_add_i32 s13, s8, -1
	v_fmac_f32_e32 v115, v116, v124
	s_set_gpr_idx_on s13, gpr_idx(SRC0)
	v_mov_b32_e32 v116, v34
	s_set_gpr_idx_off
	v_fmac_f32_e32 v115, v116, v125
	s_set_gpr_idx_on s8, gpr_idx(SRC0)
	v_mov_b32_e32 v116, v34
	s_set_gpr_idx_off
	s_add_u32 s8, s8, 8
	v_fmac_f32_e32 v115, v116, v126
	v_add_u32_e32 v116, s8, v118
	s_addc_u32 s9, s9, 0
	s_add_i32 s12, s12, 32
	v_cmp_eq_u32_e32 vcc, 27, v116
	s_add_i32 s13, s8, -7
	s_or_b64 s[10:11], vcc, s[10:11]
	v_mov_b32_e32 v116, s13
	s_andn2_b64 exec, exec, s[10:11]
	s_cbranch_execnz .LBB87_41
; %bb.42:
	s_or_b64 exec, exec, s[10:11]
.LBB87_43:
	s_or_b64 exec, exec, s[0:1]
	v_and_b32_e32 v58, 7, v117
	v_cmp_ne_u32_e32 vcc, 0, v58
	s_and_saveexec_b64 s[8:9], vcc
	s_cbranch_execz .LBB87_47
; %bb.44:
	v_mov_b32_e32 v59, 0x60
	v_lshl_add_u32 v59, v116, 2, v59
	v_mov_b32_e32 v60, 0
	s_mov_b64 s[10:11], 0
.LBB87_45:                              ; =>This Inner Loop Header: Depth=1
	v_cmp_eq_u32_e32 vcc, 1, v116
	v_cndmask_b32_e32 v61, v34, v35, vcc
	v_add_u32_e32 v58, -1, v58
	v_cmp_eq_u32_e32 vcc, 2, v116
	v_cndmask_b32_e32 v61, v61, v36, vcc
	v_cmp_eq_u32_e32 vcc, 0, v58
	v_cmp_eq_u32_e64 s[0:1], 3, v116
	v_cndmask_b32_e64 v61, v61, v37, s[0:1]
	s_or_b64 s[10:11], vcc, s[10:11]
	v_cmp_eq_u32_e32 vcc, 4, v116
	v_cndmask_b32_e32 v61, v61, v38, vcc
	v_cmp_eq_u32_e32 vcc, 5, v116
	v_cndmask_b32_e32 v61, v61, v39, vcc
	v_cmp_eq_u32_e32 vcc, 6, v116
	v_cndmask_b32_e32 v61, v61, v40, vcc
	v_cmp_eq_u32_e32 vcc, 7, v116
	v_cndmask_b32_e32 v61, v61, v41, vcc
	v_cmp_eq_u32_e32 vcc, 8, v116
	v_cndmask_b32_e32 v61, v61, v42, vcc
	v_cmp_eq_u32_e32 vcc, 9, v116
	v_cndmask_b32_e32 v61, v61, v43, vcc
	v_cmp_eq_u32_e32 vcc, 10, v116
	v_cndmask_b32_e32 v61, v61, v44, vcc
	v_cmp_eq_u32_e32 vcc, 11, v116
	v_cndmask_b32_e32 v61, v61, v45, vcc
	v_cmp_eq_u32_e32 vcc, 12, v116
	v_cndmask_b32_e32 v61, v61, v46, vcc
	v_cmp_eq_u32_e32 vcc, 13, v116
	v_cndmask_b32_e32 v61, v61, v47, vcc
	v_cmp_eq_u32_e32 vcc, 14, v116
	v_cndmask_b32_e32 v61, v61, v48, vcc
	v_cmp_eq_u32_e32 vcc, 15, v116
	v_cndmask_b32_e32 v61, v61, v49, vcc
	v_cmp_eq_u32_e32 vcc, 16, v116
	v_cndmask_b32_e32 v61, v61, v50, vcc
	v_cmp_eq_u32_e32 vcc, 17, v116
	v_cndmask_b32_e32 v61, v61, v51, vcc
	v_cmp_eq_u32_e32 vcc, 18, v116
	v_cndmask_b32_e32 v61, v61, v52, vcc
	v_cmp_eq_u32_e32 vcc, 19, v116
	ds_read_b32 v62, v59
	v_cndmask_b32_e32 v61, v61, v53, vcc
	v_cmp_eq_u32_e32 vcc, 20, v116
	v_cndmask_b32_e32 v61, v61, v54, vcc
	v_cmp_eq_u32_e32 vcc, 21, v116
	;; [unrolled: 2-line block ×4, first 2 shown]
	v_add_co_u32_e64 v116, s[0:1], 1, v116
	v_cndmask_b32_e32 v61, v61, v57, vcc
	v_add_u32_e32 v59, 4, v59
	v_addc_co_u32_e64 v60, s[0:1], 0, v60, s[0:1]
	s_waitcnt lgkmcnt(0)
	v_fmac_f32_e32 v115, v61, v62
	s_andn2_b64 exec, exec, s[10:11]
	s_cbranch_execnz .LBB87_45
; %bb.46:
	s_or_b64 exec, exec, s[10:11]
.LBB87_47:
	s_or_b64 exec, exec, s[8:9]
.LBB87_48:
	s_or_b64 exec, exec, s[6:7]
	v_mov_b32_e32 v53, 0
	ds_read_b32 v53, v53 offset:76
	s_waitcnt lgkmcnt(0)
	v_mul_f32_e32 v53, v115, v53
.LBB87_49:
	s_or_b64 exec, exec, s[4:5]
	v_cmp_lt_u32_e64 s[0:1], 18, v0
	ds_write_b32 v114, v52
	s_waitcnt lgkmcnt(0)
	; wave barrier
	s_and_saveexec_b64 s[4:5], s[0:1]
	s_cbranch_execz .LBB87_65
; %bb.50:
	s_andn2_b64 vcc, exec, s[50:51]
	s_cbranch_vccnz .LBB87_52
; %bb.51:
	v_cmp_eq_u32_e32 vcc, 1, v0
	v_cndmask_b32_e32 v115, v34, v35, vcc
	v_cmp_eq_u32_e32 vcc, 2, v0
	v_cndmask_b32_e32 v115, v115, v36, vcc
	;; [unrolled: 2-line block ×19, first 2 shown]
	v_cmp_eq_u32_e32 vcc, 20, v0
	ds_read_b32 v116, v114
	v_cndmask_b32_e32 v115, v115, v54, vcc
	v_cmp_eq_u32_e32 vcc, 21, v0
	v_cndmask_b32_e32 v115, v115, v55, vcc
	v_cmp_eq_u32_e32 vcc, 22, v0
	;; [unrolled: 2-line block ×3, first 2 shown]
	v_cndmask_b32_e32 v115, v115, v57, vcc
	s_waitcnt lgkmcnt(0)
	v_mul_f32_e32 v115, v115, v116
	s_cbranch_execz .LBB87_53
	s_branch .LBB87_54
.LBB87_52:
                                        ; implicit-def: $vgpr115
.LBB87_53:
	ds_read_b32 v115, v114
.LBB87_54:
	s_and_saveexec_b64 s[6:7], s[2:3]
	s_cbranch_execz .LBB87_64
; %bb.55:
	v_subrev_u32_e32 v118, 20, v0
	v_mov_b32_e32 v116, 19
	v_subrev_u32_e32 v117, 19, v0
	v_cmp_lt_u32_e32 vcc, 6, v118
	s_and_saveexec_b64 s[2:3], vcc
	s_cbranch_execz .LBB87_59
; %bb.56:
	v_and_b32_e32 v116, -8, v117
	v_sub_u32_e32 v118, 0, v116
	s_mov_b64 s[8:9], 26
	s_movk_i32 s12, 0xac
	s_mov_b64 s[10:11], 0
.LBB87_57:                              ; =>This Inner Loop Header: Depth=1
	s_add_i32 s13, s8, -7
	v_mov_b32_e32 v121, s12
	s_set_gpr_idx_on s13, gpr_idx(SRC0)
	v_mov_b32_e32 v116, v34
	s_set_gpr_idx_off
	ds_read2_b32 v[119:120], v121 offset1:1
	s_add_i32 s13, s8, -6
	s_waitcnt lgkmcnt(0)
	v_fmac_f32_e32 v115, v116, v119
	s_set_gpr_idx_on s13, gpr_idx(SRC0)
	v_mov_b32_e32 v116, v34
	s_set_gpr_idx_off
	s_add_i32 s13, s8, -5
	v_fmac_f32_e32 v115, v116, v120
	s_set_gpr_idx_on s13, gpr_idx(SRC0)
	v_mov_b32_e32 v116, v34
	s_set_gpr_idx_off
	ds_read2_b32 v[119:120], v121 offset0:2 offset1:3
	s_add_i32 s13, s8, -4
	s_waitcnt lgkmcnt(0)
	v_fmac_f32_e32 v115, v116, v119
	s_set_gpr_idx_on s13, gpr_idx(SRC0)
	v_mov_b32_e32 v116, v34
	s_set_gpr_idx_off
	s_add_i32 s13, s8, -3
	v_fmac_f32_e32 v115, v116, v120
	s_set_gpr_idx_on s13, gpr_idx(SRC0)
	v_mov_b32_e32 v116, v34
	s_set_gpr_idx_off
	ds_read2_b32 v[119:120], v121 offset0:4 offset1:5
	;; [unrolled: 12-line block ×3, first 2 shown]
	s_waitcnt lgkmcnt(0)
	v_fmac_f32_e32 v115, v116, v119
	s_set_gpr_idx_on s8, gpr_idx(SRC0)
	v_mov_b32_e32 v116, v34
	s_set_gpr_idx_off
	s_add_u32 s8, s8, 8
	v_fmac_f32_e32 v115, v116, v120
	v_add_u32_e32 v116, s8, v118
	s_addc_u32 s9, s9, 0
	s_add_i32 s12, s12, 32
	v_cmp_eq_u32_e32 vcc, 26, v116
	s_add_i32 s13, s8, -7
	s_or_b64 s[10:11], vcc, s[10:11]
	v_mov_b32_e32 v116, s13
	s_andn2_b64 exec, exec, s[10:11]
	s_cbranch_execnz .LBB87_57
; %bb.58:
	s_or_b64 exec, exec, s[10:11]
.LBB87_59:
	s_or_b64 exec, exec, s[2:3]
	v_and_b32_e32 v58, 7, v117
	v_cmp_ne_u32_e32 vcc, 0, v58
	s_and_saveexec_b64 s[8:9], vcc
	s_cbranch_execz .LBB87_63
; %bb.60:
	v_mov_b32_e32 v59, 0x60
	v_lshl_add_u32 v59, v116, 2, v59
	v_mov_b32_e32 v60, 0
	s_mov_b64 s[10:11], 0
.LBB87_61:                              ; =>This Inner Loop Header: Depth=1
	v_cmp_eq_u32_e32 vcc, 1, v116
	v_cndmask_b32_e32 v61, v34, v35, vcc
	v_add_u32_e32 v58, -1, v58
	v_cmp_eq_u32_e32 vcc, 2, v116
	v_cndmask_b32_e32 v61, v61, v36, vcc
	v_cmp_eq_u32_e32 vcc, 0, v58
	v_cmp_eq_u32_e64 s[2:3], 3, v116
	v_cndmask_b32_e64 v61, v61, v37, s[2:3]
	s_or_b64 s[10:11], vcc, s[10:11]
	v_cmp_eq_u32_e32 vcc, 4, v116
	v_cndmask_b32_e32 v61, v61, v38, vcc
	v_cmp_eq_u32_e32 vcc, 5, v116
	v_cndmask_b32_e32 v61, v61, v39, vcc
	;; [unrolled: 2-line block ×15, first 2 shown]
	v_cmp_eq_u32_e32 vcc, 19, v116
	ds_read_b32 v62, v59
	v_cndmask_b32_e32 v61, v61, v53, vcc
	v_cmp_eq_u32_e32 vcc, 20, v116
	v_cndmask_b32_e32 v61, v61, v54, vcc
	v_cmp_eq_u32_e32 vcc, 21, v116
	;; [unrolled: 2-line block ×4, first 2 shown]
	v_add_co_u32_e64 v116, s[2:3], 1, v116
	v_cndmask_b32_e32 v61, v61, v57, vcc
	v_add_u32_e32 v59, 4, v59
	v_addc_co_u32_e64 v60, s[2:3], 0, v60, s[2:3]
	s_waitcnt lgkmcnt(0)
	v_fmac_f32_e32 v115, v61, v62
	s_andn2_b64 exec, exec, s[10:11]
	s_cbranch_execnz .LBB87_61
; %bb.62:
	s_or_b64 exec, exec, s[10:11]
.LBB87_63:
	s_or_b64 exec, exec, s[8:9]
.LBB87_64:
	s_or_b64 exec, exec, s[6:7]
	v_mov_b32_e32 v52, 0
	ds_read_b32 v52, v52 offset:72
	s_waitcnt lgkmcnt(0)
	v_mul_f32_e32 v52, v115, v52
.LBB87_65:
	s_or_b64 exec, exec, s[4:5]
	v_cmp_lt_u32_e64 s[2:3], 17, v0
	ds_write_b32 v114, v51
	s_waitcnt lgkmcnt(0)
	; wave barrier
	s_and_saveexec_b64 s[4:5], s[2:3]
	s_cbranch_execz .LBB87_81
; %bb.66:
	s_andn2_b64 vcc, exec, s[50:51]
	s_cbranch_vccnz .LBB87_68
; %bb.67:
	v_cmp_eq_u32_e32 vcc, 1, v0
	v_cndmask_b32_e32 v115, v34, v35, vcc
	v_cmp_eq_u32_e32 vcc, 2, v0
	v_cndmask_b32_e32 v115, v115, v36, vcc
	;; [unrolled: 2-line block ×19, first 2 shown]
	v_cmp_eq_u32_e32 vcc, 20, v0
	ds_read_b32 v116, v114
	v_cndmask_b32_e32 v115, v115, v54, vcc
	v_cmp_eq_u32_e32 vcc, 21, v0
	v_cndmask_b32_e32 v115, v115, v55, vcc
	v_cmp_eq_u32_e32 vcc, 22, v0
	;; [unrolled: 2-line block ×3, first 2 shown]
	v_cndmask_b32_e32 v115, v115, v57, vcc
	s_waitcnt lgkmcnt(0)
	v_mul_f32_e32 v115, v115, v116
	s_cbranch_execz .LBB87_69
	s_branch .LBB87_70
.LBB87_68:
                                        ; implicit-def: $vgpr115
.LBB87_69:
	ds_read_b32 v115, v114
.LBB87_70:
	s_and_saveexec_b64 s[6:7], s[0:1]
	s_cbranch_execz .LBB87_80
; %bb.71:
	v_subrev_u32_e32 v118, 19, v0
	v_mov_b32_e32 v116, 18
	v_subrev_u32_e32 v117, 18, v0
	v_cmp_lt_u32_e32 vcc, 6, v118
	s_and_saveexec_b64 s[0:1], vcc
	s_cbranch_execz .LBB87_75
; %bb.72:
	v_and_b32_e32 v116, -8, v117
	v_sub_u32_e32 v118, 0, v116
	s_mov_b64 s[8:9], 25
	s_movk_i32 s12, 0xa8
	s_mov_b64 s[10:11], 0
.LBB87_73:                              ; =>This Inner Loop Header: Depth=1
	s_add_i32 s13, s8, -7
	v_mov_b32_e32 v123, s12
	s_set_gpr_idx_on s13, gpr_idx(SRC0)
	v_mov_b32_e32 v116, v34
	s_set_gpr_idx_off
	ds_read2_b64 v[119:122], v123 offset1:1
	s_add_i32 s13, s8, -6
	s_waitcnt lgkmcnt(0)
	v_fmac_f32_e32 v115, v116, v119
	s_set_gpr_idx_on s13, gpr_idx(SRC0)
	v_mov_b32_e32 v116, v34
	s_set_gpr_idx_off
	s_add_i32 s13, s8, -5
	v_fmac_f32_e32 v115, v116, v120
	s_set_gpr_idx_on s13, gpr_idx(SRC0)
	v_mov_b32_e32 v116, v34
	s_set_gpr_idx_off
	s_add_i32 s13, s8, -4
	;; [unrolled: 5-line block ×3, first 2 shown]
	v_fmac_f32_e32 v115, v116, v122
	s_set_gpr_idx_on s13, gpr_idx(SRC0)
	v_mov_b32_e32 v116, v34
	s_set_gpr_idx_off
	ds_read2_b64 v[119:122], v123 offset0:2 offset1:3
	s_add_i32 s13, s8, -2
	s_waitcnt lgkmcnt(0)
	v_fmac_f32_e32 v115, v116, v119
	s_set_gpr_idx_on s13, gpr_idx(SRC0)
	v_mov_b32_e32 v116, v34
	s_set_gpr_idx_off
	s_add_i32 s13, s8, -1
	v_fmac_f32_e32 v115, v116, v120
	s_set_gpr_idx_on s13, gpr_idx(SRC0)
	v_mov_b32_e32 v116, v34
	s_set_gpr_idx_off
	v_fmac_f32_e32 v115, v116, v121
	s_set_gpr_idx_on s8, gpr_idx(SRC0)
	v_mov_b32_e32 v116, v34
	s_set_gpr_idx_off
	s_add_u32 s8, s8, 8
	v_fmac_f32_e32 v115, v116, v122
	v_add_u32_e32 v116, s8, v118
	s_addc_u32 s9, s9, 0
	s_add_i32 s12, s12, 32
	v_cmp_eq_u32_e32 vcc, 25, v116
	s_add_i32 s13, s8, -7
	s_or_b64 s[10:11], vcc, s[10:11]
	v_mov_b32_e32 v116, s13
	s_andn2_b64 exec, exec, s[10:11]
	s_cbranch_execnz .LBB87_73
; %bb.74:
	s_or_b64 exec, exec, s[10:11]
.LBB87_75:
	s_or_b64 exec, exec, s[0:1]
	v_and_b32_e32 v58, 7, v117
	v_cmp_ne_u32_e32 vcc, 0, v58
	s_and_saveexec_b64 s[8:9], vcc
	s_cbranch_execz .LBB87_79
; %bb.76:
	v_mov_b32_e32 v59, 0x60
	v_lshl_add_u32 v59, v116, 2, v59
	v_mov_b32_e32 v60, 0
	s_mov_b64 s[10:11], 0
.LBB87_77:                              ; =>This Inner Loop Header: Depth=1
	v_cmp_eq_u32_e32 vcc, 1, v116
	v_cndmask_b32_e32 v61, v34, v35, vcc
	v_add_u32_e32 v58, -1, v58
	v_cmp_eq_u32_e32 vcc, 2, v116
	v_cndmask_b32_e32 v61, v61, v36, vcc
	v_cmp_eq_u32_e32 vcc, 0, v58
	v_cmp_eq_u32_e64 s[0:1], 3, v116
	v_cndmask_b32_e64 v61, v61, v37, s[0:1]
	s_or_b64 s[10:11], vcc, s[10:11]
	v_cmp_eq_u32_e32 vcc, 4, v116
	v_cndmask_b32_e32 v61, v61, v38, vcc
	v_cmp_eq_u32_e32 vcc, 5, v116
	v_cndmask_b32_e32 v61, v61, v39, vcc
	;; [unrolled: 2-line block ×15, first 2 shown]
	v_cmp_eq_u32_e32 vcc, 19, v116
	ds_read_b32 v62, v59
	v_cndmask_b32_e32 v61, v61, v53, vcc
	v_cmp_eq_u32_e32 vcc, 20, v116
	v_cndmask_b32_e32 v61, v61, v54, vcc
	v_cmp_eq_u32_e32 vcc, 21, v116
	;; [unrolled: 2-line block ×4, first 2 shown]
	v_add_co_u32_e64 v116, s[0:1], 1, v116
	v_cndmask_b32_e32 v61, v61, v57, vcc
	v_add_u32_e32 v59, 4, v59
	v_addc_co_u32_e64 v60, s[0:1], 0, v60, s[0:1]
	s_waitcnt lgkmcnt(0)
	v_fmac_f32_e32 v115, v61, v62
	s_andn2_b64 exec, exec, s[10:11]
	s_cbranch_execnz .LBB87_77
; %bb.78:
	s_or_b64 exec, exec, s[10:11]
.LBB87_79:
	s_or_b64 exec, exec, s[8:9]
.LBB87_80:
	s_or_b64 exec, exec, s[6:7]
	v_mov_b32_e32 v51, 0
	ds_read_b32 v51, v51 offset:68
	s_waitcnt lgkmcnt(0)
	v_mul_f32_e32 v51, v115, v51
.LBB87_81:
	s_or_b64 exec, exec, s[4:5]
	v_cmp_lt_u32_e64 s[0:1], 16, v0
	ds_write_b32 v114, v50
	s_waitcnt lgkmcnt(0)
	; wave barrier
	s_and_saveexec_b64 s[4:5], s[0:1]
	s_cbranch_execz .LBB87_97
; %bb.82:
	s_andn2_b64 vcc, exec, s[50:51]
	s_cbranch_vccnz .LBB87_84
; %bb.83:
	v_cmp_eq_u32_e32 vcc, 1, v0
	v_cndmask_b32_e32 v115, v34, v35, vcc
	v_cmp_eq_u32_e32 vcc, 2, v0
	v_cndmask_b32_e32 v115, v115, v36, vcc
	;; [unrolled: 2-line block ×19, first 2 shown]
	v_cmp_eq_u32_e32 vcc, 20, v0
	ds_read_b32 v116, v114
	v_cndmask_b32_e32 v115, v115, v54, vcc
	v_cmp_eq_u32_e32 vcc, 21, v0
	v_cndmask_b32_e32 v115, v115, v55, vcc
	v_cmp_eq_u32_e32 vcc, 22, v0
	;; [unrolled: 2-line block ×3, first 2 shown]
	v_cndmask_b32_e32 v115, v115, v57, vcc
	s_waitcnt lgkmcnt(0)
	v_mul_f32_e32 v115, v115, v116
	s_cbranch_execz .LBB87_85
	s_branch .LBB87_86
.LBB87_84:
                                        ; implicit-def: $vgpr115
.LBB87_85:
	ds_read_b32 v115, v114
.LBB87_86:
	s_and_saveexec_b64 s[6:7], s[2:3]
	s_cbranch_execz .LBB87_96
; %bb.87:
	v_subrev_u32_e32 v118, 18, v0
	v_mov_b32_e32 v116, 17
	v_subrev_u32_e32 v117, 17, v0
	v_cmp_lt_u32_e32 vcc, 6, v118
	s_and_saveexec_b64 s[2:3], vcc
	s_cbranch_execz .LBB87_91
; %bb.88:
	v_and_b32_e32 v116, -8, v117
	v_sub_u32_e32 v118, 0, v116
	s_mov_b64 s[8:9], 24
	s_movk_i32 s12, 0xa4
	s_mov_b64 s[10:11], 0
.LBB87_89:                              ; =>This Inner Loop Header: Depth=1
	s_add_i32 s13, s8, -7
	v_mov_b32_e32 v121, s12
	s_set_gpr_idx_on s13, gpr_idx(SRC0)
	v_mov_b32_e32 v116, v34
	s_set_gpr_idx_off
	ds_read2_b32 v[119:120], v121 offset1:1
	s_add_i32 s13, s8, -6
	s_waitcnt lgkmcnt(0)
	v_fmac_f32_e32 v115, v116, v119
	s_set_gpr_idx_on s13, gpr_idx(SRC0)
	v_mov_b32_e32 v116, v34
	s_set_gpr_idx_off
	s_add_i32 s13, s8, -5
	v_fmac_f32_e32 v115, v116, v120
	s_set_gpr_idx_on s13, gpr_idx(SRC0)
	v_mov_b32_e32 v116, v34
	s_set_gpr_idx_off
	ds_read2_b32 v[119:120], v121 offset0:2 offset1:3
	s_add_i32 s13, s8, -4
	s_waitcnt lgkmcnt(0)
	v_fmac_f32_e32 v115, v116, v119
	s_set_gpr_idx_on s13, gpr_idx(SRC0)
	v_mov_b32_e32 v116, v34
	s_set_gpr_idx_off
	s_add_i32 s13, s8, -3
	v_fmac_f32_e32 v115, v116, v120
	s_set_gpr_idx_on s13, gpr_idx(SRC0)
	v_mov_b32_e32 v116, v34
	s_set_gpr_idx_off
	ds_read2_b32 v[119:120], v121 offset0:4 offset1:5
	s_add_i32 s13, s8, -2
	s_waitcnt lgkmcnt(0)
	v_fmac_f32_e32 v115, v116, v119
	s_set_gpr_idx_on s13, gpr_idx(SRC0)
	v_mov_b32_e32 v116, v34
	s_set_gpr_idx_off
	s_add_i32 s13, s8, -1
	v_fmac_f32_e32 v115, v116, v120
	s_set_gpr_idx_on s13, gpr_idx(SRC0)
	v_mov_b32_e32 v116, v34
	s_set_gpr_idx_off
	ds_read2_b32 v[119:120], v121 offset0:6 offset1:7
	s_waitcnt lgkmcnt(0)
	v_fmac_f32_e32 v115, v116, v119
	s_set_gpr_idx_on s8, gpr_idx(SRC0)
	v_mov_b32_e32 v116, v34
	s_set_gpr_idx_off
	s_add_u32 s8, s8, 8
	v_fmac_f32_e32 v115, v116, v120
	v_add_u32_e32 v116, s8, v118
	s_addc_u32 s9, s9, 0
	s_add_i32 s12, s12, 32
	v_cmp_eq_u32_e32 vcc, 24, v116
	s_add_i32 s13, s8, -7
	s_or_b64 s[10:11], vcc, s[10:11]
	v_mov_b32_e32 v116, s13
	s_andn2_b64 exec, exec, s[10:11]
	s_cbranch_execnz .LBB87_89
; %bb.90:
	s_or_b64 exec, exec, s[10:11]
.LBB87_91:
	s_or_b64 exec, exec, s[2:3]
	v_and_b32_e32 v58, 7, v117
	v_cmp_ne_u32_e32 vcc, 0, v58
	s_and_saveexec_b64 s[8:9], vcc
	s_cbranch_execz .LBB87_95
; %bb.92:
	v_mov_b32_e32 v59, 0x60
	v_lshl_add_u32 v59, v116, 2, v59
	v_mov_b32_e32 v60, 0
	s_mov_b64 s[10:11], 0
.LBB87_93:                              ; =>This Inner Loop Header: Depth=1
	v_cmp_eq_u32_e32 vcc, 1, v116
	v_cndmask_b32_e32 v61, v34, v35, vcc
	v_add_u32_e32 v58, -1, v58
	v_cmp_eq_u32_e32 vcc, 2, v116
	v_cndmask_b32_e32 v61, v61, v36, vcc
	v_cmp_eq_u32_e32 vcc, 0, v58
	v_cmp_eq_u32_e64 s[2:3], 3, v116
	v_cndmask_b32_e64 v61, v61, v37, s[2:3]
	s_or_b64 s[10:11], vcc, s[10:11]
	v_cmp_eq_u32_e32 vcc, 4, v116
	v_cndmask_b32_e32 v61, v61, v38, vcc
	v_cmp_eq_u32_e32 vcc, 5, v116
	v_cndmask_b32_e32 v61, v61, v39, vcc
	;; [unrolled: 2-line block ×15, first 2 shown]
	v_cmp_eq_u32_e32 vcc, 19, v116
	ds_read_b32 v62, v59
	v_cndmask_b32_e32 v61, v61, v53, vcc
	v_cmp_eq_u32_e32 vcc, 20, v116
	v_cndmask_b32_e32 v61, v61, v54, vcc
	v_cmp_eq_u32_e32 vcc, 21, v116
	;; [unrolled: 2-line block ×4, first 2 shown]
	v_add_co_u32_e64 v116, s[2:3], 1, v116
	v_cndmask_b32_e32 v61, v61, v57, vcc
	v_add_u32_e32 v59, 4, v59
	v_addc_co_u32_e64 v60, s[2:3], 0, v60, s[2:3]
	s_waitcnt lgkmcnt(0)
	v_fmac_f32_e32 v115, v61, v62
	s_andn2_b64 exec, exec, s[10:11]
	s_cbranch_execnz .LBB87_93
; %bb.94:
	s_or_b64 exec, exec, s[10:11]
.LBB87_95:
	s_or_b64 exec, exec, s[8:9]
.LBB87_96:
	s_or_b64 exec, exec, s[6:7]
	v_mov_b32_e32 v50, 0
	ds_read_b32 v50, v50 offset:64
	s_waitcnt lgkmcnt(0)
	v_mul_f32_e32 v50, v115, v50
.LBB87_97:
	s_or_b64 exec, exec, s[4:5]
	v_cmp_lt_u32_e64 s[2:3], 15, v0
	ds_write_b32 v114, v49
	s_waitcnt lgkmcnt(0)
	; wave barrier
	s_and_saveexec_b64 s[4:5], s[2:3]
	s_cbranch_execz .LBB87_113
; %bb.98:
	s_andn2_b64 vcc, exec, s[50:51]
	s_cbranch_vccnz .LBB87_100
; %bb.99:
	v_cmp_eq_u32_e32 vcc, 1, v0
	v_cndmask_b32_e32 v115, v34, v35, vcc
	v_cmp_eq_u32_e32 vcc, 2, v0
	v_cndmask_b32_e32 v115, v115, v36, vcc
	;; [unrolled: 2-line block ×19, first 2 shown]
	v_cmp_eq_u32_e32 vcc, 20, v0
	ds_read_b32 v116, v114
	v_cndmask_b32_e32 v115, v115, v54, vcc
	v_cmp_eq_u32_e32 vcc, 21, v0
	v_cndmask_b32_e32 v115, v115, v55, vcc
	v_cmp_eq_u32_e32 vcc, 22, v0
	;; [unrolled: 2-line block ×3, first 2 shown]
	v_cndmask_b32_e32 v115, v115, v57, vcc
	s_waitcnt lgkmcnt(0)
	v_mul_f32_e32 v115, v115, v116
	s_cbranch_execz .LBB87_101
	s_branch .LBB87_102
.LBB87_100:
                                        ; implicit-def: $vgpr115
.LBB87_101:
	ds_read_b32 v115, v114
.LBB87_102:
	s_and_saveexec_b64 s[6:7], s[0:1]
	s_cbranch_execz .LBB87_112
; %bb.103:
	v_subrev_u32_e32 v116, 17, v0
	v_cmp_lt_u32_e32 vcc, 6, v116
	v_mov_b32_e32 v116, 16
	s_and_saveexec_b64 s[0:1], vcc
	s_cbranch_execz .LBB87_107
; %bb.104:
	v_and_b32_e32 v116, 24, v0
	v_sub_u32_e32 v117, 0, v116
	s_mov_b64 s[8:9], 23
	s_movk_i32 s12, 0xa0
	s_mov_b64 s[10:11], 0
.LBB87_105:                             ; =>This Inner Loop Header: Depth=1
	s_add_i32 s13, s8, -7
	v_mov_b32_e32 v122, s12
	s_set_gpr_idx_on s13, gpr_idx(SRC0)
	v_mov_b32_e32 v116, v34
	s_set_gpr_idx_off
	ds_read_b128 v[118:121], v122
	ds_read_b128 v[122:125], v122 offset:16
	s_add_i32 s13, s8, -6
	s_waitcnt lgkmcnt(1)
	v_fmac_f32_e32 v115, v116, v118
	s_set_gpr_idx_on s13, gpr_idx(SRC0)
	v_mov_b32_e32 v116, v34
	s_set_gpr_idx_off
	s_add_i32 s13, s8, -5
	v_fmac_f32_e32 v115, v116, v119
	s_set_gpr_idx_on s13, gpr_idx(SRC0)
	v_mov_b32_e32 v116, v34
	s_set_gpr_idx_off
	s_add_i32 s13, s8, -4
	;; [unrolled: 5-line block ×4, first 2 shown]
	s_waitcnt lgkmcnt(0)
	v_fmac_f32_e32 v115, v116, v122
	s_set_gpr_idx_on s13, gpr_idx(SRC0)
	v_mov_b32_e32 v116, v34
	s_set_gpr_idx_off
	s_add_i32 s13, s8, -1
	v_fmac_f32_e32 v115, v116, v123
	s_set_gpr_idx_on s13, gpr_idx(SRC0)
	v_mov_b32_e32 v116, v34
	s_set_gpr_idx_off
	v_fmac_f32_e32 v115, v116, v124
	s_set_gpr_idx_on s8, gpr_idx(SRC0)
	v_mov_b32_e32 v116, v34
	s_set_gpr_idx_off
	s_add_u32 s8, s8, 8
	v_fmac_f32_e32 v115, v116, v125
	v_add_u32_e32 v116, s8, v117
	s_addc_u32 s9, s9, 0
	s_add_i32 s12, s12, 32
	v_cmp_eq_u32_e32 vcc, 7, v116
	s_add_i32 s13, s8, -7
	s_or_b64 s[10:11], vcc, s[10:11]
	v_mov_b32_e32 v116, s13
	s_andn2_b64 exec, exec, s[10:11]
	s_cbranch_execnz .LBB87_105
; %bb.106:
	s_or_b64 exec, exec, s[10:11]
.LBB87_107:
	s_or_b64 exec, exec, s[0:1]
	v_and_b32_e32 v58, 7, v0
	v_cmp_ne_u32_e32 vcc, 0, v58
	s_and_saveexec_b64 s[8:9], vcc
	s_cbranch_execz .LBB87_111
; %bb.108:
	v_mov_b32_e32 v59, 0x60
	v_lshl_add_u32 v59, v116, 2, v59
	v_mov_b32_e32 v60, 0
	s_mov_b64 s[10:11], 0
.LBB87_109:                             ; =>This Inner Loop Header: Depth=1
	v_cmp_eq_u32_e32 vcc, 1, v116
	v_cndmask_b32_e32 v61, v34, v35, vcc
	v_add_u32_e32 v58, -1, v58
	v_cmp_eq_u32_e32 vcc, 2, v116
	v_cndmask_b32_e32 v61, v61, v36, vcc
	v_cmp_eq_u32_e32 vcc, 0, v58
	v_cmp_eq_u32_e64 s[0:1], 3, v116
	v_cndmask_b32_e64 v61, v61, v37, s[0:1]
	s_or_b64 s[10:11], vcc, s[10:11]
	v_cmp_eq_u32_e32 vcc, 4, v116
	v_cndmask_b32_e32 v61, v61, v38, vcc
	v_cmp_eq_u32_e32 vcc, 5, v116
	v_cndmask_b32_e32 v61, v61, v39, vcc
	v_cmp_eq_u32_e32 vcc, 6, v116
	v_cndmask_b32_e32 v61, v61, v40, vcc
	v_cmp_eq_u32_e32 vcc, 7, v116
	v_cndmask_b32_e32 v61, v61, v41, vcc
	v_cmp_eq_u32_e32 vcc, 8, v116
	v_cndmask_b32_e32 v61, v61, v42, vcc
	v_cmp_eq_u32_e32 vcc, 9, v116
	v_cndmask_b32_e32 v61, v61, v43, vcc
	v_cmp_eq_u32_e32 vcc, 10, v116
	v_cndmask_b32_e32 v61, v61, v44, vcc
	v_cmp_eq_u32_e32 vcc, 11, v116
	v_cndmask_b32_e32 v61, v61, v45, vcc
	v_cmp_eq_u32_e32 vcc, 12, v116
	v_cndmask_b32_e32 v61, v61, v46, vcc
	v_cmp_eq_u32_e32 vcc, 13, v116
	v_cndmask_b32_e32 v61, v61, v47, vcc
	v_cmp_eq_u32_e32 vcc, 14, v116
	v_cndmask_b32_e32 v61, v61, v48, vcc
	v_cmp_eq_u32_e32 vcc, 15, v116
	v_cndmask_b32_e32 v61, v61, v49, vcc
	v_cmp_eq_u32_e32 vcc, 16, v116
	v_cndmask_b32_e32 v61, v61, v50, vcc
	v_cmp_eq_u32_e32 vcc, 17, v116
	v_cndmask_b32_e32 v61, v61, v51, vcc
	v_cmp_eq_u32_e32 vcc, 18, v116
	v_cndmask_b32_e32 v61, v61, v52, vcc
	v_cmp_eq_u32_e32 vcc, 19, v116
	ds_read_b32 v62, v59
	v_cndmask_b32_e32 v61, v61, v53, vcc
	v_cmp_eq_u32_e32 vcc, 20, v116
	v_cndmask_b32_e32 v61, v61, v54, vcc
	v_cmp_eq_u32_e32 vcc, 21, v116
	v_cndmask_b32_e32 v61, v61, v55, vcc
	v_cmp_eq_u32_e32 vcc, 22, v116
	v_cndmask_b32_e32 v61, v61, v56, vcc
	v_cmp_eq_u32_e32 vcc, 23, v116
	v_add_co_u32_e64 v116, s[0:1], 1, v116
	v_cndmask_b32_e32 v61, v61, v57, vcc
	v_add_u32_e32 v59, 4, v59
	v_addc_co_u32_e64 v60, s[0:1], 0, v60, s[0:1]
	s_waitcnt lgkmcnt(0)
	v_fmac_f32_e32 v115, v61, v62
	s_andn2_b64 exec, exec, s[10:11]
	s_cbranch_execnz .LBB87_109
; %bb.110:
	s_or_b64 exec, exec, s[10:11]
.LBB87_111:
	s_or_b64 exec, exec, s[8:9]
.LBB87_112:
	s_or_b64 exec, exec, s[6:7]
	v_mov_b32_e32 v49, 0
	ds_read_b32 v49, v49 offset:60
	s_waitcnt lgkmcnt(0)
	v_mul_f32_e32 v49, v115, v49
.LBB87_113:
	s_or_b64 exec, exec, s[4:5]
	v_cmp_lt_u32_e64 s[0:1], 14, v0
	ds_write_b32 v114, v48
	s_waitcnt lgkmcnt(0)
	; wave barrier
	s_and_saveexec_b64 s[4:5], s[0:1]
	s_cbranch_execz .LBB87_129
; %bb.114:
	s_andn2_b64 vcc, exec, s[50:51]
	s_cbranch_vccnz .LBB87_116
; %bb.115:
	v_cmp_eq_u32_e32 vcc, 1, v0
	v_cndmask_b32_e32 v115, v34, v35, vcc
	v_cmp_eq_u32_e32 vcc, 2, v0
	v_cndmask_b32_e32 v115, v115, v36, vcc
	;; [unrolled: 2-line block ×19, first 2 shown]
	v_cmp_eq_u32_e32 vcc, 20, v0
	ds_read_b32 v116, v114
	v_cndmask_b32_e32 v115, v115, v54, vcc
	v_cmp_eq_u32_e32 vcc, 21, v0
	v_cndmask_b32_e32 v115, v115, v55, vcc
	v_cmp_eq_u32_e32 vcc, 22, v0
	;; [unrolled: 2-line block ×3, first 2 shown]
	v_cndmask_b32_e32 v115, v115, v57, vcc
	s_waitcnt lgkmcnt(0)
	v_mul_f32_e32 v115, v115, v116
	s_cbranch_execz .LBB87_117
	s_branch .LBB87_118
.LBB87_116:
                                        ; implicit-def: $vgpr115
.LBB87_117:
	ds_read_b32 v115, v114
.LBB87_118:
	s_and_saveexec_b64 s[6:7], s[2:3]
	s_cbranch_execz .LBB87_128
; %bb.119:
	v_add_u32_e32 v116, -16, v0
	v_add_u32_e32 v117, -15, v0
	v_cmp_lt_u32_e32 vcc, 6, v116
	v_mov_b32_e32 v116, 15
	s_and_saveexec_b64 s[2:3], vcc
	s_cbranch_execz .LBB87_123
; %bb.120:
	v_and_b32_e32 v116, -8, v117
	v_sub_u32_e32 v118, 0, v116
	s_mov_b64 s[8:9], 22
	s_movk_i32 s12, 0x9c
	s_mov_b64 s[10:11], 0
.LBB87_121:                             ; =>This Inner Loop Header: Depth=1
	s_add_i32 s13, s8, -7
	v_mov_b32_e32 v121, s12
	s_set_gpr_idx_on s13, gpr_idx(SRC0)
	v_mov_b32_e32 v116, v34
	s_set_gpr_idx_off
	ds_read2_b32 v[119:120], v121 offset1:1
	s_add_i32 s13, s8, -6
	s_waitcnt lgkmcnt(0)
	v_fmac_f32_e32 v115, v116, v119
	s_set_gpr_idx_on s13, gpr_idx(SRC0)
	v_mov_b32_e32 v116, v34
	s_set_gpr_idx_off
	s_add_i32 s13, s8, -5
	v_fmac_f32_e32 v115, v116, v120
	s_set_gpr_idx_on s13, gpr_idx(SRC0)
	v_mov_b32_e32 v116, v34
	s_set_gpr_idx_off
	ds_read2_b32 v[119:120], v121 offset0:2 offset1:3
	s_add_i32 s13, s8, -4
	s_waitcnt lgkmcnt(0)
	v_fmac_f32_e32 v115, v116, v119
	s_set_gpr_idx_on s13, gpr_idx(SRC0)
	v_mov_b32_e32 v116, v34
	s_set_gpr_idx_off
	s_add_i32 s13, s8, -3
	v_fmac_f32_e32 v115, v116, v120
	s_set_gpr_idx_on s13, gpr_idx(SRC0)
	v_mov_b32_e32 v116, v34
	s_set_gpr_idx_off
	ds_read2_b32 v[119:120], v121 offset0:4 offset1:5
	;; [unrolled: 12-line block ×3, first 2 shown]
	s_waitcnt lgkmcnt(0)
	v_fmac_f32_e32 v115, v116, v119
	s_set_gpr_idx_on s8, gpr_idx(SRC0)
	v_mov_b32_e32 v116, v34
	s_set_gpr_idx_off
	s_add_u32 s8, s8, 8
	v_fmac_f32_e32 v115, v116, v120
	v_add_u32_e32 v116, s8, v118
	s_addc_u32 s9, s9, 0
	s_add_i32 s12, s12, 32
	v_cmp_eq_u32_e32 vcc, 22, v116
	s_add_i32 s13, s8, -7
	s_or_b64 s[10:11], vcc, s[10:11]
	v_mov_b32_e32 v116, s13
	s_andn2_b64 exec, exec, s[10:11]
	s_cbranch_execnz .LBB87_121
; %bb.122:
	s_or_b64 exec, exec, s[10:11]
.LBB87_123:
	s_or_b64 exec, exec, s[2:3]
	v_and_b32_e32 v58, 7, v117
	v_cmp_ne_u32_e32 vcc, 0, v58
	s_and_saveexec_b64 s[8:9], vcc
	s_cbranch_execz .LBB87_127
; %bb.124:
	v_mov_b32_e32 v59, 0x60
	v_lshl_add_u32 v59, v116, 2, v59
	v_mov_b32_e32 v60, 0
	s_mov_b64 s[10:11], 0
.LBB87_125:                             ; =>This Inner Loop Header: Depth=1
	v_cmp_eq_u32_e32 vcc, 1, v116
	v_cndmask_b32_e32 v61, v34, v35, vcc
	v_add_u32_e32 v58, -1, v58
	v_cmp_eq_u32_e32 vcc, 2, v116
	v_cndmask_b32_e32 v61, v61, v36, vcc
	v_cmp_eq_u32_e32 vcc, 0, v58
	v_cmp_eq_u32_e64 s[2:3], 3, v116
	v_cndmask_b32_e64 v61, v61, v37, s[2:3]
	s_or_b64 s[10:11], vcc, s[10:11]
	v_cmp_eq_u32_e32 vcc, 4, v116
	v_cndmask_b32_e32 v61, v61, v38, vcc
	v_cmp_eq_u32_e32 vcc, 5, v116
	v_cndmask_b32_e32 v61, v61, v39, vcc
	;; [unrolled: 2-line block ×15, first 2 shown]
	v_cmp_eq_u32_e32 vcc, 19, v116
	ds_read_b32 v62, v59
	v_cndmask_b32_e32 v61, v61, v53, vcc
	v_cmp_eq_u32_e32 vcc, 20, v116
	v_cndmask_b32_e32 v61, v61, v54, vcc
	v_cmp_eq_u32_e32 vcc, 21, v116
	;; [unrolled: 2-line block ×4, first 2 shown]
	v_add_co_u32_e64 v116, s[2:3], 1, v116
	v_cndmask_b32_e32 v61, v61, v57, vcc
	v_add_u32_e32 v59, 4, v59
	v_addc_co_u32_e64 v60, s[2:3], 0, v60, s[2:3]
	s_waitcnt lgkmcnt(0)
	v_fmac_f32_e32 v115, v61, v62
	s_andn2_b64 exec, exec, s[10:11]
	s_cbranch_execnz .LBB87_125
; %bb.126:
	s_or_b64 exec, exec, s[10:11]
.LBB87_127:
	s_or_b64 exec, exec, s[8:9]
.LBB87_128:
	s_or_b64 exec, exec, s[6:7]
	v_mov_b32_e32 v48, 0
	ds_read_b32 v48, v48 offset:56
	s_waitcnt lgkmcnt(0)
	v_mul_f32_e32 v48, v115, v48
.LBB87_129:
	s_or_b64 exec, exec, s[4:5]
	v_cmp_lt_u32_e64 s[2:3], 13, v0
	ds_write_b32 v114, v47
	s_waitcnt lgkmcnt(0)
	; wave barrier
	s_and_saveexec_b64 s[4:5], s[2:3]
	s_cbranch_execz .LBB87_145
; %bb.130:
	s_andn2_b64 vcc, exec, s[50:51]
	s_cbranch_vccnz .LBB87_132
; %bb.131:
	v_cmp_eq_u32_e32 vcc, 1, v0
	v_cndmask_b32_e32 v115, v34, v35, vcc
	v_cmp_eq_u32_e32 vcc, 2, v0
	v_cndmask_b32_e32 v115, v115, v36, vcc
	;; [unrolled: 2-line block ×19, first 2 shown]
	v_cmp_eq_u32_e32 vcc, 20, v0
	ds_read_b32 v116, v114
	v_cndmask_b32_e32 v115, v115, v54, vcc
	v_cmp_eq_u32_e32 vcc, 21, v0
	v_cndmask_b32_e32 v115, v115, v55, vcc
	v_cmp_eq_u32_e32 vcc, 22, v0
	;; [unrolled: 2-line block ×3, first 2 shown]
	v_cndmask_b32_e32 v115, v115, v57, vcc
	s_waitcnt lgkmcnt(0)
	v_mul_f32_e32 v115, v115, v116
	s_cbranch_execz .LBB87_133
	s_branch .LBB87_134
.LBB87_132:
                                        ; implicit-def: $vgpr115
.LBB87_133:
	ds_read_b32 v115, v114
.LBB87_134:
	s_and_saveexec_b64 s[6:7], s[0:1]
	s_cbranch_execz .LBB87_144
; %bb.135:
	v_add_u32_e32 v116, -15, v0
	v_add_u32_e32 v117, -14, v0
	v_cmp_lt_u32_e32 vcc, 6, v116
	v_mov_b32_e32 v116, 14
	s_and_saveexec_b64 s[0:1], vcc
	s_cbranch_execz .LBB87_139
; %bb.136:
	v_and_b32_e32 v116, -8, v117
	v_sub_u32_e32 v118, 0, v116
	s_mov_b64 s[8:9], 21
	s_movk_i32 s12, 0x98
	s_mov_b64 s[10:11], 0
.LBB87_137:                             ; =>This Inner Loop Header: Depth=1
	s_add_i32 s13, s8, -7
	v_mov_b32_e32 v123, s12
	s_set_gpr_idx_on s13, gpr_idx(SRC0)
	v_mov_b32_e32 v116, v34
	s_set_gpr_idx_off
	ds_read2_b64 v[119:122], v123 offset1:1
	s_add_i32 s13, s8, -6
	s_waitcnt lgkmcnt(0)
	v_fmac_f32_e32 v115, v116, v119
	s_set_gpr_idx_on s13, gpr_idx(SRC0)
	v_mov_b32_e32 v116, v34
	s_set_gpr_idx_off
	s_add_i32 s13, s8, -5
	v_fmac_f32_e32 v115, v116, v120
	s_set_gpr_idx_on s13, gpr_idx(SRC0)
	v_mov_b32_e32 v116, v34
	s_set_gpr_idx_off
	s_add_i32 s13, s8, -4
	;; [unrolled: 5-line block ×3, first 2 shown]
	v_fmac_f32_e32 v115, v116, v122
	s_set_gpr_idx_on s13, gpr_idx(SRC0)
	v_mov_b32_e32 v116, v34
	s_set_gpr_idx_off
	ds_read2_b64 v[119:122], v123 offset0:2 offset1:3
	s_add_i32 s13, s8, -2
	s_waitcnt lgkmcnt(0)
	v_fmac_f32_e32 v115, v116, v119
	s_set_gpr_idx_on s13, gpr_idx(SRC0)
	v_mov_b32_e32 v116, v34
	s_set_gpr_idx_off
	s_add_i32 s13, s8, -1
	v_fmac_f32_e32 v115, v116, v120
	s_set_gpr_idx_on s13, gpr_idx(SRC0)
	v_mov_b32_e32 v116, v34
	s_set_gpr_idx_off
	v_fmac_f32_e32 v115, v116, v121
	s_set_gpr_idx_on s8, gpr_idx(SRC0)
	v_mov_b32_e32 v116, v34
	s_set_gpr_idx_off
	s_add_u32 s8, s8, 8
	v_fmac_f32_e32 v115, v116, v122
	v_add_u32_e32 v116, s8, v118
	s_addc_u32 s9, s9, 0
	s_add_i32 s12, s12, 32
	v_cmp_eq_u32_e32 vcc, 21, v116
	s_add_i32 s13, s8, -7
	s_or_b64 s[10:11], vcc, s[10:11]
	v_mov_b32_e32 v116, s13
	s_andn2_b64 exec, exec, s[10:11]
	s_cbranch_execnz .LBB87_137
; %bb.138:
	s_or_b64 exec, exec, s[10:11]
.LBB87_139:
	s_or_b64 exec, exec, s[0:1]
	v_and_b32_e32 v58, 7, v117
	v_cmp_ne_u32_e32 vcc, 0, v58
	s_and_saveexec_b64 s[8:9], vcc
	s_cbranch_execz .LBB87_143
; %bb.140:
	v_mov_b32_e32 v59, 0x60
	v_lshl_add_u32 v59, v116, 2, v59
	v_mov_b32_e32 v60, 0
	s_mov_b64 s[10:11], 0
.LBB87_141:                             ; =>This Inner Loop Header: Depth=1
	v_cmp_eq_u32_e32 vcc, 1, v116
	v_cndmask_b32_e32 v61, v34, v35, vcc
	v_add_u32_e32 v58, -1, v58
	v_cmp_eq_u32_e32 vcc, 2, v116
	v_cndmask_b32_e32 v61, v61, v36, vcc
	v_cmp_eq_u32_e32 vcc, 0, v58
	v_cmp_eq_u32_e64 s[0:1], 3, v116
	v_cndmask_b32_e64 v61, v61, v37, s[0:1]
	s_or_b64 s[10:11], vcc, s[10:11]
	v_cmp_eq_u32_e32 vcc, 4, v116
	v_cndmask_b32_e32 v61, v61, v38, vcc
	v_cmp_eq_u32_e32 vcc, 5, v116
	v_cndmask_b32_e32 v61, v61, v39, vcc
	;; [unrolled: 2-line block ×15, first 2 shown]
	v_cmp_eq_u32_e32 vcc, 19, v116
	ds_read_b32 v62, v59
	v_cndmask_b32_e32 v61, v61, v53, vcc
	v_cmp_eq_u32_e32 vcc, 20, v116
	v_cndmask_b32_e32 v61, v61, v54, vcc
	v_cmp_eq_u32_e32 vcc, 21, v116
	;; [unrolled: 2-line block ×4, first 2 shown]
	v_add_co_u32_e64 v116, s[0:1], 1, v116
	v_cndmask_b32_e32 v61, v61, v57, vcc
	v_add_u32_e32 v59, 4, v59
	v_addc_co_u32_e64 v60, s[0:1], 0, v60, s[0:1]
	s_waitcnt lgkmcnt(0)
	v_fmac_f32_e32 v115, v61, v62
	s_andn2_b64 exec, exec, s[10:11]
	s_cbranch_execnz .LBB87_141
; %bb.142:
	s_or_b64 exec, exec, s[10:11]
.LBB87_143:
	s_or_b64 exec, exec, s[8:9]
.LBB87_144:
	s_or_b64 exec, exec, s[6:7]
	v_mov_b32_e32 v47, 0
	ds_read_b32 v47, v47 offset:52
	s_waitcnt lgkmcnt(0)
	v_mul_f32_e32 v47, v115, v47
.LBB87_145:
	s_or_b64 exec, exec, s[4:5]
	v_cmp_lt_u32_e64 s[0:1], 12, v0
	ds_write_b32 v114, v46
	s_waitcnt lgkmcnt(0)
	; wave barrier
	s_and_saveexec_b64 s[4:5], s[0:1]
	s_cbranch_execz .LBB87_161
; %bb.146:
	s_andn2_b64 vcc, exec, s[50:51]
	s_cbranch_vccnz .LBB87_148
; %bb.147:
	v_cmp_eq_u32_e32 vcc, 1, v0
	v_cndmask_b32_e32 v115, v34, v35, vcc
	v_cmp_eq_u32_e32 vcc, 2, v0
	v_cndmask_b32_e32 v115, v115, v36, vcc
	;; [unrolled: 2-line block ×19, first 2 shown]
	v_cmp_eq_u32_e32 vcc, 20, v0
	ds_read_b32 v116, v114
	v_cndmask_b32_e32 v115, v115, v54, vcc
	v_cmp_eq_u32_e32 vcc, 21, v0
	v_cndmask_b32_e32 v115, v115, v55, vcc
	v_cmp_eq_u32_e32 vcc, 22, v0
	;; [unrolled: 2-line block ×3, first 2 shown]
	v_cndmask_b32_e32 v115, v115, v57, vcc
	s_waitcnt lgkmcnt(0)
	v_mul_f32_e32 v115, v115, v116
	s_cbranch_execz .LBB87_149
	s_branch .LBB87_150
.LBB87_148:
                                        ; implicit-def: $vgpr115
.LBB87_149:
	ds_read_b32 v115, v114
.LBB87_150:
	s_and_saveexec_b64 s[6:7], s[2:3]
	s_cbranch_execz .LBB87_160
; %bb.151:
	v_add_u32_e32 v116, -14, v0
	v_add_u32_e32 v117, -13, v0
	v_cmp_lt_u32_e32 vcc, 6, v116
	v_mov_b32_e32 v116, 13
	s_and_saveexec_b64 s[2:3], vcc
	s_cbranch_execz .LBB87_155
; %bb.152:
	v_and_b32_e32 v116, -8, v117
	v_sub_u32_e32 v118, 0, v116
	s_mov_b64 s[8:9], 20
	s_movk_i32 s12, 0x94
	s_mov_b64 s[10:11], 0
.LBB87_153:                             ; =>This Inner Loop Header: Depth=1
	s_add_i32 s13, s8, -7
	v_mov_b32_e32 v121, s12
	s_set_gpr_idx_on s13, gpr_idx(SRC0)
	v_mov_b32_e32 v116, v34
	s_set_gpr_idx_off
	ds_read2_b32 v[119:120], v121 offset1:1
	s_add_i32 s13, s8, -6
	s_waitcnt lgkmcnt(0)
	v_fmac_f32_e32 v115, v116, v119
	s_set_gpr_idx_on s13, gpr_idx(SRC0)
	v_mov_b32_e32 v116, v34
	s_set_gpr_idx_off
	s_add_i32 s13, s8, -5
	v_fmac_f32_e32 v115, v116, v120
	s_set_gpr_idx_on s13, gpr_idx(SRC0)
	v_mov_b32_e32 v116, v34
	s_set_gpr_idx_off
	ds_read2_b32 v[119:120], v121 offset0:2 offset1:3
	s_add_i32 s13, s8, -4
	s_waitcnt lgkmcnt(0)
	v_fmac_f32_e32 v115, v116, v119
	s_set_gpr_idx_on s13, gpr_idx(SRC0)
	v_mov_b32_e32 v116, v34
	s_set_gpr_idx_off
	s_add_i32 s13, s8, -3
	v_fmac_f32_e32 v115, v116, v120
	s_set_gpr_idx_on s13, gpr_idx(SRC0)
	v_mov_b32_e32 v116, v34
	s_set_gpr_idx_off
	ds_read2_b32 v[119:120], v121 offset0:4 offset1:5
	;; [unrolled: 12-line block ×3, first 2 shown]
	s_waitcnt lgkmcnt(0)
	v_fmac_f32_e32 v115, v116, v119
	s_set_gpr_idx_on s8, gpr_idx(SRC0)
	v_mov_b32_e32 v116, v34
	s_set_gpr_idx_off
	s_add_u32 s8, s8, 8
	v_fmac_f32_e32 v115, v116, v120
	v_add_u32_e32 v116, s8, v118
	s_addc_u32 s9, s9, 0
	s_add_i32 s12, s12, 32
	v_cmp_eq_u32_e32 vcc, 20, v116
	s_add_i32 s13, s8, -7
	s_or_b64 s[10:11], vcc, s[10:11]
	v_mov_b32_e32 v116, s13
	s_andn2_b64 exec, exec, s[10:11]
	s_cbranch_execnz .LBB87_153
; %bb.154:
	s_or_b64 exec, exec, s[10:11]
.LBB87_155:
	s_or_b64 exec, exec, s[2:3]
	v_and_b32_e32 v58, 7, v117
	v_cmp_ne_u32_e32 vcc, 0, v58
	s_and_saveexec_b64 s[8:9], vcc
	s_cbranch_execz .LBB87_159
; %bb.156:
	v_mov_b32_e32 v59, 0x60
	v_lshl_add_u32 v59, v116, 2, v59
	v_mov_b32_e32 v60, 0
	s_mov_b64 s[10:11], 0
.LBB87_157:                             ; =>This Inner Loop Header: Depth=1
	v_cmp_eq_u32_e32 vcc, 1, v116
	v_cndmask_b32_e32 v61, v34, v35, vcc
	v_add_u32_e32 v58, -1, v58
	v_cmp_eq_u32_e32 vcc, 2, v116
	v_cndmask_b32_e32 v61, v61, v36, vcc
	v_cmp_eq_u32_e32 vcc, 0, v58
	v_cmp_eq_u32_e64 s[2:3], 3, v116
	v_cndmask_b32_e64 v61, v61, v37, s[2:3]
	s_or_b64 s[10:11], vcc, s[10:11]
	v_cmp_eq_u32_e32 vcc, 4, v116
	v_cndmask_b32_e32 v61, v61, v38, vcc
	v_cmp_eq_u32_e32 vcc, 5, v116
	v_cndmask_b32_e32 v61, v61, v39, vcc
	;; [unrolled: 2-line block ×15, first 2 shown]
	v_cmp_eq_u32_e32 vcc, 19, v116
	ds_read_b32 v62, v59
	v_cndmask_b32_e32 v61, v61, v53, vcc
	v_cmp_eq_u32_e32 vcc, 20, v116
	v_cndmask_b32_e32 v61, v61, v54, vcc
	v_cmp_eq_u32_e32 vcc, 21, v116
	v_cndmask_b32_e32 v61, v61, v55, vcc
	v_cmp_eq_u32_e32 vcc, 22, v116
	v_cndmask_b32_e32 v61, v61, v56, vcc
	v_cmp_eq_u32_e32 vcc, 23, v116
	v_add_co_u32_e64 v116, s[2:3], 1, v116
	v_cndmask_b32_e32 v61, v61, v57, vcc
	v_add_u32_e32 v59, 4, v59
	v_addc_co_u32_e64 v60, s[2:3], 0, v60, s[2:3]
	s_waitcnt lgkmcnt(0)
	v_fmac_f32_e32 v115, v61, v62
	s_andn2_b64 exec, exec, s[10:11]
	s_cbranch_execnz .LBB87_157
; %bb.158:
	s_or_b64 exec, exec, s[10:11]
.LBB87_159:
	s_or_b64 exec, exec, s[8:9]
.LBB87_160:
	s_or_b64 exec, exec, s[6:7]
	v_mov_b32_e32 v46, 0
	ds_read_b32 v46, v46 offset:48
	s_waitcnt lgkmcnt(0)
	v_mul_f32_e32 v46, v115, v46
.LBB87_161:
	s_or_b64 exec, exec, s[4:5]
	v_cmp_lt_u32_e64 s[2:3], 11, v0
	ds_write_b32 v114, v45
	s_waitcnt lgkmcnt(0)
	; wave barrier
	s_and_saveexec_b64 s[4:5], s[2:3]
	s_cbranch_execz .LBB87_177
; %bb.162:
	s_andn2_b64 vcc, exec, s[50:51]
	s_cbranch_vccnz .LBB87_164
; %bb.163:
	v_cmp_eq_u32_e32 vcc, 1, v0
	v_cndmask_b32_e32 v115, v34, v35, vcc
	v_cmp_eq_u32_e32 vcc, 2, v0
	v_cndmask_b32_e32 v115, v115, v36, vcc
	;; [unrolled: 2-line block ×19, first 2 shown]
	v_cmp_eq_u32_e32 vcc, 20, v0
	ds_read_b32 v116, v114
	v_cndmask_b32_e32 v115, v115, v54, vcc
	v_cmp_eq_u32_e32 vcc, 21, v0
	v_cndmask_b32_e32 v115, v115, v55, vcc
	v_cmp_eq_u32_e32 vcc, 22, v0
	;; [unrolled: 2-line block ×3, first 2 shown]
	v_cndmask_b32_e32 v115, v115, v57, vcc
	s_waitcnt lgkmcnt(0)
	v_mul_f32_e32 v115, v115, v116
	s_cbranch_execz .LBB87_165
	s_branch .LBB87_166
.LBB87_164:
                                        ; implicit-def: $vgpr115
.LBB87_165:
	ds_read_b32 v115, v114
.LBB87_166:
	s_and_saveexec_b64 s[6:7], s[0:1]
	s_cbranch_execz .LBB87_176
; %bb.167:
	v_add_u32_e32 v116, -13, v0
	v_add_u32_e32 v117, -12, v0
	v_cmp_lt_u32_e32 vcc, 6, v116
	v_mov_b32_e32 v116, 12
	s_and_saveexec_b64 s[0:1], vcc
	s_cbranch_execz .LBB87_171
; %bb.168:
	v_and_b32_e32 v116, -8, v117
	v_sub_u32_e32 v118, 0, v116
	s_mov_b64 s[8:9], 19
	s_movk_i32 s12, 0x90
	s_mov_b64 s[10:11], 0
.LBB87_169:                             ; =>This Inner Loop Header: Depth=1
	s_add_i32 s13, s8, -7
	v_mov_b32_e32 v123, s12
	s_set_gpr_idx_on s13, gpr_idx(SRC0)
	v_mov_b32_e32 v116, v34
	s_set_gpr_idx_off
	ds_read_b128 v[119:122], v123
	ds_read_b128 v[123:126], v123 offset:16
	s_add_i32 s13, s8, -6
	s_waitcnt lgkmcnt(1)
	v_fmac_f32_e32 v115, v116, v119
	s_set_gpr_idx_on s13, gpr_idx(SRC0)
	v_mov_b32_e32 v116, v34
	s_set_gpr_idx_off
	s_add_i32 s13, s8, -5
	v_fmac_f32_e32 v115, v116, v120
	s_set_gpr_idx_on s13, gpr_idx(SRC0)
	v_mov_b32_e32 v116, v34
	s_set_gpr_idx_off
	s_add_i32 s13, s8, -4
	v_fmac_f32_e32 v115, v116, v121
	s_set_gpr_idx_on s13, gpr_idx(SRC0)
	v_mov_b32_e32 v116, v34
	s_set_gpr_idx_off
	s_add_i32 s13, s8, -3
	v_fmac_f32_e32 v115, v116, v122
	s_set_gpr_idx_on s13, gpr_idx(SRC0)
	v_mov_b32_e32 v116, v34
	s_set_gpr_idx_off
	s_add_i32 s13, s8, -2
	s_waitcnt lgkmcnt(0)
	v_fmac_f32_e32 v115, v116, v123
	s_set_gpr_idx_on s13, gpr_idx(SRC0)
	v_mov_b32_e32 v116, v34
	s_set_gpr_idx_off
	s_add_i32 s13, s8, -1
	v_fmac_f32_e32 v115, v116, v124
	s_set_gpr_idx_on s13, gpr_idx(SRC0)
	v_mov_b32_e32 v116, v34
	s_set_gpr_idx_off
	v_fmac_f32_e32 v115, v116, v125
	s_set_gpr_idx_on s8, gpr_idx(SRC0)
	v_mov_b32_e32 v116, v34
	s_set_gpr_idx_off
	s_add_u32 s8, s8, 8
	v_fmac_f32_e32 v115, v116, v126
	v_add_u32_e32 v116, s8, v118
	s_addc_u32 s9, s9, 0
	s_add_i32 s12, s12, 32
	v_cmp_eq_u32_e32 vcc, 19, v116
	s_add_i32 s13, s8, -7
	s_or_b64 s[10:11], vcc, s[10:11]
	v_mov_b32_e32 v116, s13
	s_andn2_b64 exec, exec, s[10:11]
	s_cbranch_execnz .LBB87_169
; %bb.170:
	s_or_b64 exec, exec, s[10:11]
.LBB87_171:
	s_or_b64 exec, exec, s[0:1]
	v_and_b32_e32 v58, 7, v117
	v_cmp_ne_u32_e32 vcc, 0, v58
	s_and_saveexec_b64 s[8:9], vcc
	s_cbranch_execz .LBB87_175
; %bb.172:
	v_mov_b32_e32 v59, 0x60
	v_lshl_add_u32 v59, v116, 2, v59
	v_mov_b32_e32 v60, 0
	s_mov_b64 s[10:11], 0
.LBB87_173:                             ; =>This Inner Loop Header: Depth=1
	v_cmp_eq_u32_e32 vcc, 1, v116
	v_cndmask_b32_e32 v61, v34, v35, vcc
	v_add_u32_e32 v58, -1, v58
	v_cmp_eq_u32_e32 vcc, 2, v116
	v_cndmask_b32_e32 v61, v61, v36, vcc
	v_cmp_eq_u32_e32 vcc, 0, v58
	v_cmp_eq_u32_e64 s[0:1], 3, v116
	v_cndmask_b32_e64 v61, v61, v37, s[0:1]
	s_or_b64 s[10:11], vcc, s[10:11]
	v_cmp_eq_u32_e32 vcc, 4, v116
	v_cndmask_b32_e32 v61, v61, v38, vcc
	v_cmp_eq_u32_e32 vcc, 5, v116
	v_cndmask_b32_e32 v61, v61, v39, vcc
	;; [unrolled: 2-line block ×15, first 2 shown]
	v_cmp_eq_u32_e32 vcc, 19, v116
	ds_read_b32 v62, v59
	v_cndmask_b32_e32 v61, v61, v53, vcc
	v_cmp_eq_u32_e32 vcc, 20, v116
	v_cndmask_b32_e32 v61, v61, v54, vcc
	v_cmp_eq_u32_e32 vcc, 21, v116
	;; [unrolled: 2-line block ×4, first 2 shown]
	v_add_co_u32_e64 v116, s[0:1], 1, v116
	v_cndmask_b32_e32 v61, v61, v57, vcc
	v_add_u32_e32 v59, 4, v59
	v_addc_co_u32_e64 v60, s[0:1], 0, v60, s[0:1]
	s_waitcnt lgkmcnt(0)
	v_fmac_f32_e32 v115, v61, v62
	s_andn2_b64 exec, exec, s[10:11]
	s_cbranch_execnz .LBB87_173
; %bb.174:
	s_or_b64 exec, exec, s[10:11]
.LBB87_175:
	s_or_b64 exec, exec, s[8:9]
.LBB87_176:
	s_or_b64 exec, exec, s[6:7]
	v_mov_b32_e32 v45, 0
	ds_read_b32 v45, v45 offset:44
	s_waitcnt lgkmcnt(0)
	v_mul_f32_e32 v45, v115, v45
.LBB87_177:
	s_or_b64 exec, exec, s[4:5]
	v_cmp_lt_u32_e64 s[0:1], 10, v0
	ds_write_b32 v114, v44
	s_waitcnt lgkmcnt(0)
	; wave barrier
	s_and_saveexec_b64 s[4:5], s[0:1]
	s_cbranch_execz .LBB87_193
; %bb.178:
	s_andn2_b64 vcc, exec, s[50:51]
	s_cbranch_vccnz .LBB87_180
; %bb.179:
	v_cmp_eq_u32_e32 vcc, 1, v0
	v_cndmask_b32_e32 v115, v34, v35, vcc
	v_cmp_eq_u32_e32 vcc, 2, v0
	v_cndmask_b32_e32 v115, v115, v36, vcc
	;; [unrolled: 2-line block ×19, first 2 shown]
	v_cmp_eq_u32_e32 vcc, 20, v0
	ds_read_b32 v116, v114
	v_cndmask_b32_e32 v115, v115, v54, vcc
	v_cmp_eq_u32_e32 vcc, 21, v0
	v_cndmask_b32_e32 v115, v115, v55, vcc
	v_cmp_eq_u32_e32 vcc, 22, v0
	;; [unrolled: 2-line block ×3, first 2 shown]
	v_cndmask_b32_e32 v115, v115, v57, vcc
	s_waitcnt lgkmcnt(0)
	v_mul_f32_e32 v115, v115, v116
	s_cbranch_execz .LBB87_181
	s_branch .LBB87_182
.LBB87_180:
                                        ; implicit-def: $vgpr115
.LBB87_181:
	ds_read_b32 v115, v114
.LBB87_182:
	s_and_saveexec_b64 s[6:7], s[2:3]
	s_cbranch_execz .LBB87_192
; %bb.183:
	v_add_u32_e32 v116, -12, v0
	v_add_u32_e32 v117, -11, v0
	v_cmp_lt_u32_e32 vcc, 6, v116
	v_mov_b32_e32 v116, 11
	s_and_saveexec_b64 s[2:3], vcc
	s_cbranch_execz .LBB87_187
; %bb.184:
	v_and_b32_e32 v116, -8, v117
	v_sub_u32_e32 v118, 0, v116
	s_mov_b64 s[8:9], 18
	s_movk_i32 s12, 0x8c
	s_mov_b64 s[10:11], 0
.LBB87_185:                             ; =>This Inner Loop Header: Depth=1
	s_add_i32 s13, s8, -7
	v_mov_b32_e32 v121, s12
	s_set_gpr_idx_on s13, gpr_idx(SRC0)
	v_mov_b32_e32 v116, v34
	s_set_gpr_idx_off
	ds_read2_b32 v[119:120], v121 offset1:1
	s_add_i32 s13, s8, -6
	s_waitcnt lgkmcnt(0)
	v_fmac_f32_e32 v115, v116, v119
	s_set_gpr_idx_on s13, gpr_idx(SRC0)
	v_mov_b32_e32 v116, v34
	s_set_gpr_idx_off
	s_add_i32 s13, s8, -5
	v_fmac_f32_e32 v115, v116, v120
	s_set_gpr_idx_on s13, gpr_idx(SRC0)
	v_mov_b32_e32 v116, v34
	s_set_gpr_idx_off
	ds_read2_b32 v[119:120], v121 offset0:2 offset1:3
	s_add_i32 s13, s8, -4
	s_waitcnt lgkmcnt(0)
	v_fmac_f32_e32 v115, v116, v119
	s_set_gpr_idx_on s13, gpr_idx(SRC0)
	v_mov_b32_e32 v116, v34
	s_set_gpr_idx_off
	s_add_i32 s13, s8, -3
	v_fmac_f32_e32 v115, v116, v120
	s_set_gpr_idx_on s13, gpr_idx(SRC0)
	v_mov_b32_e32 v116, v34
	s_set_gpr_idx_off
	ds_read2_b32 v[119:120], v121 offset0:4 offset1:5
	;; [unrolled: 12-line block ×3, first 2 shown]
	s_waitcnt lgkmcnt(0)
	v_fmac_f32_e32 v115, v116, v119
	s_set_gpr_idx_on s8, gpr_idx(SRC0)
	v_mov_b32_e32 v116, v34
	s_set_gpr_idx_off
	s_add_u32 s8, s8, 8
	v_fmac_f32_e32 v115, v116, v120
	v_add_u32_e32 v116, s8, v118
	s_addc_u32 s9, s9, 0
	s_add_i32 s12, s12, 32
	v_cmp_eq_u32_e32 vcc, 18, v116
	s_add_i32 s13, s8, -7
	s_or_b64 s[10:11], vcc, s[10:11]
	v_mov_b32_e32 v116, s13
	s_andn2_b64 exec, exec, s[10:11]
	s_cbranch_execnz .LBB87_185
; %bb.186:
	s_or_b64 exec, exec, s[10:11]
.LBB87_187:
	s_or_b64 exec, exec, s[2:3]
	v_and_b32_e32 v58, 7, v117
	v_cmp_ne_u32_e32 vcc, 0, v58
	s_and_saveexec_b64 s[8:9], vcc
	s_cbranch_execz .LBB87_191
; %bb.188:
	v_mov_b32_e32 v59, 0x60
	v_lshl_add_u32 v59, v116, 2, v59
	v_mov_b32_e32 v60, 0
	s_mov_b64 s[10:11], 0
.LBB87_189:                             ; =>This Inner Loop Header: Depth=1
	v_cmp_eq_u32_e32 vcc, 1, v116
	v_cndmask_b32_e32 v61, v34, v35, vcc
	v_add_u32_e32 v58, -1, v58
	v_cmp_eq_u32_e32 vcc, 2, v116
	v_cndmask_b32_e32 v61, v61, v36, vcc
	v_cmp_eq_u32_e32 vcc, 0, v58
	v_cmp_eq_u32_e64 s[2:3], 3, v116
	v_cndmask_b32_e64 v61, v61, v37, s[2:3]
	s_or_b64 s[10:11], vcc, s[10:11]
	v_cmp_eq_u32_e32 vcc, 4, v116
	v_cndmask_b32_e32 v61, v61, v38, vcc
	v_cmp_eq_u32_e32 vcc, 5, v116
	v_cndmask_b32_e32 v61, v61, v39, vcc
	;; [unrolled: 2-line block ×15, first 2 shown]
	v_cmp_eq_u32_e32 vcc, 19, v116
	ds_read_b32 v62, v59
	v_cndmask_b32_e32 v61, v61, v53, vcc
	v_cmp_eq_u32_e32 vcc, 20, v116
	v_cndmask_b32_e32 v61, v61, v54, vcc
	v_cmp_eq_u32_e32 vcc, 21, v116
	;; [unrolled: 2-line block ×4, first 2 shown]
	v_add_co_u32_e64 v116, s[2:3], 1, v116
	v_cndmask_b32_e32 v61, v61, v57, vcc
	v_add_u32_e32 v59, 4, v59
	v_addc_co_u32_e64 v60, s[2:3], 0, v60, s[2:3]
	s_waitcnt lgkmcnt(0)
	v_fmac_f32_e32 v115, v61, v62
	s_andn2_b64 exec, exec, s[10:11]
	s_cbranch_execnz .LBB87_189
; %bb.190:
	s_or_b64 exec, exec, s[10:11]
.LBB87_191:
	s_or_b64 exec, exec, s[8:9]
.LBB87_192:
	s_or_b64 exec, exec, s[6:7]
	v_mov_b32_e32 v44, 0
	ds_read_b32 v44, v44 offset:40
	s_waitcnt lgkmcnt(0)
	v_mul_f32_e32 v44, v115, v44
.LBB87_193:
	s_or_b64 exec, exec, s[4:5]
	v_cmp_lt_u32_e64 s[2:3], 9, v0
	ds_write_b32 v114, v43
	s_waitcnt lgkmcnt(0)
	; wave barrier
	s_and_saveexec_b64 s[4:5], s[2:3]
	s_cbranch_execz .LBB87_209
; %bb.194:
	s_andn2_b64 vcc, exec, s[50:51]
	s_cbranch_vccnz .LBB87_196
; %bb.195:
	v_cmp_eq_u32_e32 vcc, 1, v0
	v_cndmask_b32_e32 v115, v34, v35, vcc
	v_cmp_eq_u32_e32 vcc, 2, v0
	v_cndmask_b32_e32 v115, v115, v36, vcc
	;; [unrolled: 2-line block ×19, first 2 shown]
	v_cmp_eq_u32_e32 vcc, 20, v0
	ds_read_b32 v116, v114
	v_cndmask_b32_e32 v115, v115, v54, vcc
	v_cmp_eq_u32_e32 vcc, 21, v0
	v_cndmask_b32_e32 v115, v115, v55, vcc
	v_cmp_eq_u32_e32 vcc, 22, v0
	;; [unrolled: 2-line block ×3, first 2 shown]
	v_cndmask_b32_e32 v115, v115, v57, vcc
	s_waitcnt lgkmcnt(0)
	v_mul_f32_e32 v115, v115, v116
	s_cbranch_execz .LBB87_197
	s_branch .LBB87_198
.LBB87_196:
                                        ; implicit-def: $vgpr115
.LBB87_197:
	ds_read_b32 v115, v114
.LBB87_198:
	s_and_saveexec_b64 s[6:7], s[0:1]
	s_cbranch_execz .LBB87_208
; %bb.199:
	v_add_u32_e32 v116, -11, v0
	v_add_u32_e32 v117, -10, v0
	v_cmp_lt_u32_e32 vcc, 6, v116
	v_mov_b32_e32 v116, 10
	s_and_saveexec_b64 s[0:1], vcc
	s_cbranch_execz .LBB87_203
; %bb.200:
	v_and_b32_e32 v116, -8, v117
	v_sub_u32_e32 v118, 0, v116
	s_mov_b64 s[8:9], 17
	s_movk_i32 s12, 0x88
	s_mov_b64 s[10:11], 0
.LBB87_201:                             ; =>This Inner Loop Header: Depth=1
	s_add_i32 s13, s8, -7
	v_mov_b32_e32 v123, s12
	s_set_gpr_idx_on s13, gpr_idx(SRC0)
	v_mov_b32_e32 v116, v34
	s_set_gpr_idx_off
	ds_read2_b64 v[119:122], v123 offset1:1
	s_add_i32 s13, s8, -6
	s_waitcnt lgkmcnt(0)
	v_fmac_f32_e32 v115, v116, v119
	s_set_gpr_idx_on s13, gpr_idx(SRC0)
	v_mov_b32_e32 v116, v34
	s_set_gpr_idx_off
	s_add_i32 s13, s8, -5
	v_fmac_f32_e32 v115, v116, v120
	s_set_gpr_idx_on s13, gpr_idx(SRC0)
	v_mov_b32_e32 v116, v34
	s_set_gpr_idx_off
	s_add_i32 s13, s8, -4
	;; [unrolled: 5-line block ×3, first 2 shown]
	v_fmac_f32_e32 v115, v116, v122
	s_set_gpr_idx_on s13, gpr_idx(SRC0)
	v_mov_b32_e32 v116, v34
	s_set_gpr_idx_off
	ds_read2_b64 v[119:122], v123 offset0:2 offset1:3
	s_add_i32 s13, s8, -2
	s_waitcnt lgkmcnt(0)
	v_fmac_f32_e32 v115, v116, v119
	s_set_gpr_idx_on s13, gpr_idx(SRC0)
	v_mov_b32_e32 v116, v34
	s_set_gpr_idx_off
	s_add_i32 s13, s8, -1
	v_fmac_f32_e32 v115, v116, v120
	s_set_gpr_idx_on s13, gpr_idx(SRC0)
	v_mov_b32_e32 v116, v34
	s_set_gpr_idx_off
	v_fmac_f32_e32 v115, v116, v121
	s_set_gpr_idx_on s8, gpr_idx(SRC0)
	v_mov_b32_e32 v116, v34
	s_set_gpr_idx_off
	s_add_u32 s8, s8, 8
	v_fmac_f32_e32 v115, v116, v122
	v_add_u32_e32 v116, s8, v118
	s_addc_u32 s9, s9, 0
	s_add_i32 s12, s12, 32
	v_cmp_eq_u32_e32 vcc, 17, v116
	s_add_i32 s13, s8, -7
	s_or_b64 s[10:11], vcc, s[10:11]
	v_mov_b32_e32 v116, s13
	s_andn2_b64 exec, exec, s[10:11]
	s_cbranch_execnz .LBB87_201
; %bb.202:
	s_or_b64 exec, exec, s[10:11]
.LBB87_203:
	s_or_b64 exec, exec, s[0:1]
	v_and_b32_e32 v58, 7, v117
	v_cmp_ne_u32_e32 vcc, 0, v58
	s_and_saveexec_b64 s[8:9], vcc
	s_cbranch_execz .LBB87_207
; %bb.204:
	v_mov_b32_e32 v59, 0x60
	v_lshl_add_u32 v59, v116, 2, v59
	v_mov_b32_e32 v60, 0
	s_mov_b64 s[10:11], 0
.LBB87_205:                             ; =>This Inner Loop Header: Depth=1
	v_cmp_eq_u32_e32 vcc, 1, v116
	v_cndmask_b32_e32 v61, v34, v35, vcc
	v_add_u32_e32 v58, -1, v58
	v_cmp_eq_u32_e32 vcc, 2, v116
	v_cndmask_b32_e32 v61, v61, v36, vcc
	v_cmp_eq_u32_e32 vcc, 0, v58
	v_cmp_eq_u32_e64 s[0:1], 3, v116
	v_cndmask_b32_e64 v61, v61, v37, s[0:1]
	s_or_b64 s[10:11], vcc, s[10:11]
	v_cmp_eq_u32_e32 vcc, 4, v116
	v_cndmask_b32_e32 v61, v61, v38, vcc
	v_cmp_eq_u32_e32 vcc, 5, v116
	v_cndmask_b32_e32 v61, v61, v39, vcc
	;; [unrolled: 2-line block ×15, first 2 shown]
	v_cmp_eq_u32_e32 vcc, 19, v116
	ds_read_b32 v62, v59
	v_cndmask_b32_e32 v61, v61, v53, vcc
	v_cmp_eq_u32_e32 vcc, 20, v116
	v_cndmask_b32_e32 v61, v61, v54, vcc
	v_cmp_eq_u32_e32 vcc, 21, v116
	;; [unrolled: 2-line block ×4, first 2 shown]
	v_add_co_u32_e64 v116, s[0:1], 1, v116
	v_cndmask_b32_e32 v61, v61, v57, vcc
	v_add_u32_e32 v59, 4, v59
	v_addc_co_u32_e64 v60, s[0:1], 0, v60, s[0:1]
	s_waitcnt lgkmcnt(0)
	v_fmac_f32_e32 v115, v61, v62
	s_andn2_b64 exec, exec, s[10:11]
	s_cbranch_execnz .LBB87_205
; %bb.206:
	s_or_b64 exec, exec, s[10:11]
.LBB87_207:
	s_or_b64 exec, exec, s[8:9]
.LBB87_208:
	s_or_b64 exec, exec, s[6:7]
	v_mov_b32_e32 v43, 0
	ds_read_b32 v43, v43 offset:36
	s_waitcnt lgkmcnt(0)
	v_mul_f32_e32 v43, v115, v43
.LBB87_209:
	s_or_b64 exec, exec, s[4:5]
	v_cmp_lt_u32_e64 s[0:1], 8, v0
	ds_write_b32 v114, v42
	s_waitcnt lgkmcnt(0)
	; wave barrier
	s_and_saveexec_b64 s[4:5], s[0:1]
	s_cbranch_execz .LBB87_225
; %bb.210:
	s_andn2_b64 vcc, exec, s[50:51]
	s_cbranch_vccnz .LBB87_212
; %bb.211:
	v_cmp_eq_u32_e32 vcc, 1, v0
	v_cndmask_b32_e32 v115, v34, v35, vcc
	v_cmp_eq_u32_e32 vcc, 2, v0
	v_cndmask_b32_e32 v115, v115, v36, vcc
	;; [unrolled: 2-line block ×19, first 2 shown]
	v_cmp_eq_u32_e32 vcc, 20, v0
	ds_read_b32 v116, v114
	v_cndmask_b32_e32 v115, v115, v54, vcc
	v_cmp_eq_u32_e32 vcc, 21, v0
	v_cndmask_b32_e32 v115, v115, v55, vcc
	v_cmp_eq_u32_e32 vcc, 22, v0
	;; [unrolled: 2-line block ×3, first 2 shown]
	v_cndmask_b32_e32 v115, v115, v57, vcc
	s_waitcnt lgkmcnt(0)
	v_mul_f32_e32 v115, v115, v116
	s_cbranch_execz .LBB87_213
	s_branch .LBB87_214
.LBB87_212:
                                        ; implicit-def: $vgpr115
.LBB87_213:
	ds_read_b32 v115, v114
.LBB87_214:
	s_and_saveexec_b64 s[6:7], s[2:3]
	s_cbranch_execz .LBB87_224
; %bb.215:
	v_add_u32_e32 v116, -10, v0
	v_add_u32_e32 v117, -9, v0
	v_cmp_lt_u32_e32 vcc, 6, v116
	v_mov_b32_e32 v116, 9
	s_and_saveexec_b64 s[2:3], vcc
	s_cbranch_execz .LBB87_219
; %bb.216:
	v_and_b32_e32 v116, -8, v117
	v_sub_u32_e32 v118, 0, v116
	s_mov_b64 s[8:9], 16
	s_movk_i32 s12, 0x84
	s_mov_b64 s[10:11], 0
.LBB87_217:                             ; =>This Inner Loop Header: Depth=1
	s_add_i32 s13, s8, -7
	v_mov_b32_e32 v121, s12
	s_set_gpr_idx_on s13, gpr_idx(SRC0)
	v_mov_b32_e32 v116, v34
	s_set_gpr_idx_off
	ds_read2_b32 v[119:120], v121 offset1:1
	s_add_i32 s13, s8, -6
	s_waitcnt lgkmcnt(0)
	v_fmac_f32_e32 v115, v116, v119
	s_set_gpr_idx_on s13, gpr_idx(SRC0)
	v_mov_b32_e32 v116, v34
	s_set_gpr_idx_off
	s_add_i32 s13, s8, -5
	v_fmac_f32_e32 v115, v116, v120
	s_set_gpr_idx_on s13, gpr_idx(SRC0)
	v_mov_b32_e32 v116, v34
	s_set_gpr_idx_off
	ds_read2_b32 v[119:120], v121 offset0:2 offset1:3
	s_add_i32 s13, s8, -4
	s_waitcnt lgkmcnt(0)
	v_fmac_f32_e32 v115, v116, v119
	s_set_gpr_idx_on s13, gpr_idx(SRC0)
	v_mov_b32_e32 v116, v34
	s_set_gpr_idx_off
	s_add_i32 s13, s8, -3
	v_fmac_f32_e32 v115, v116, v120
	s_set_gpr_idx_on s13, gpr_idx(SRC0)
	v_mov_b32_e32 v116, v34
	s_set_gpr_idx_off
	ds_read2_b32 v[119:120], v121 offset0:4 offset1:5
	;; [unrolled: 12-line block ×3, first 2 shown]
	s_waitcnt lgkmcnt(0)
	v_fmac_f32_e32 v115, v116, v119
	s_set_gpr_idx_on s8, gpr_idx(SRC0)
	v_mov_b32_e32 v116, v34
	s_set_gpr_idx_off
	s_add_u32 s8, s8, 8
	v_fmac_f32_e32 v115, v116, v120
	v_add_u32_e32 v116, s8, v118
	s_addc_u32 s9, s9, 0
	s_add_i32 s12, s12, 32
	v_cmp_eq_u32_e32 vcc, 16, v116
	s_add_i32 s13, s8, -7
	s_or_b64 s[10:11], vcc, s[10:11]
	v_mov_b32_e32 v116, s13
	s_andn2_b64 exec, exec, s[10:11]
	s_cbranch_execnz .LBB87_217
; %bb.218:
	s_or_b64 exec, exec, s[10:11]
.LBB87_219:
	s_or_b64 exec, exec, s[2:3]
	v_and_b32_e32 v58, 7, v117
	v_cmp_ne_u32_e32 vcc, 0, v58
	s_and_saveexec_b64 s[8:9], vcc
	s_cbranch_execz .LBB87_223
; %bb.220:
	v_mov_b32_e32 v59, 0x60
	v_lshl_add_u32 v59, v116, 2, v59
	v_mov_b32_e32 v60, 0
	s_mov_b64 s[10:11], 0
.LBB87_221:                             ; =>This Inner Loop Header: Depth=1
	v_cmp_eq_u32_e32 vcc, 1, v116
	v_cndmask_b32_e32 v61, v34, v35, vcc
	v_add_u32_e32 v58, -1, v58
	v_cmp_eq_u32_e32 vcc, 2, v116
	v_cndmask_b32_e32 v61, v61, v36, vcc
	v_cmp_eq_u32_e32 vcc, 0, v58
	v_cmp_eq_u32_e64 s[2:3], 3, v116
	v_cndmask_b32_e64 v61, v61, v37, s[2:3]
	s_or_b64 s[10:11], vcc, s[10:11]
	v_cmp_eq_u32_e32 vcc, 4, v116
	v_cndmask_b32_e32 v61, v61, v38, vcc
	v_cmp_eq_u32_e32 vcc, 5, v116
	v_cndmask_b32_e32 v61, v61, v39, vcc
	v_cmp_eq_u32_e32 vcc, 6, v116
	v_cndmask_b32_e32 v61, v61, v40, vcc
	v_cmp_eq_u32_e32 vcc, 7, v116
	v_cndmask_b32_e32 v61, v61, v41, vcc
	v_cmp_eq_u32_e32 vcc, 8, v116
	v_cndmask_b32_e32 v61, v61, v42, vcc
	v_cmp_eq_u32_e32 vcc, 9, v116
	v_cndmask_b32_e32 v61, v61, v43, vcc
	v_cmp_eq_u32_e32 vcc, 10, v116
	v_cndmask_b32_e32 v61, v61, v44, vcc
	v_cmp_eq_u32_e32 vcc, 11, v116
	v_cndmask_b32_e32 v61, v61, v45, vcc
	v_cmp_eq_u32_e32 vcc, 12, v116
	v_cndmask_b32_e32 v61, v61, v46, vcc
	v_cmp_eq_u32_e32 vcc, 13, v116
	v_cndmask_b32_e32 v61, v61, v47, vcc
	v_cmp_eq_u32_e32 vcc, 14, v116
	v_cndmask_b32_e32 v61, v61, v48, vcc
	v_cmp_eq_u32_e32 vcc, 15, v116
	v_cndmask_b32_e32 v61, v61, v49, vcc
	v_cmp_eq_u32_e32 vcc, 16, v116
	v_cndmask_b32_e32 v61, v61, v50, vcc
	v_cmp_eq_u32_e32 vcc, 17, v116
	v_cndmask_b32_e32 v61, v61, v51, vcc
	v_cmp_eq_u32_e32 vcc, 18, v116
	v_cndmask_b32_e32 v61, v61, v52, vcc
	v_cmp_eq_u32_e32 vcc, 19, v116
	ds_read_b32 v62, v59
	v_cndmask_b32_e32 v61, v61, v53, vcc
	v_cmp_eq_u32_e32 vcc, 20, v116
	v_cndmask_b32_e32 v61, v61, v54, vcc
	v_cmp_eq_u32_e32 vcc, 21, v116
	;; [unrolled: 2-line block ×4, first 2 shown]
	v_add_co_u32_e64 v116, s[2:3], 1, v116
	v_cndmask_b32_e32 v61, v61, v57, vcc
	v_add_u32_e32 v59, 4, v59
	v_addc_co_u32_e64 v60, s[2:3], 0, v60, s[2:3]
	s_waitcnt lgkmcnt(0)
	v_fmac_f32_e32 v115, v61, v62
	s_andn2_b64 exec, exec, s[10:11]
	s_cbranch_execnz .LBB87_221
; %bb.222:
	s_or_b64 exec, exec, s[10:11]
.LBB87_223:
	s_or_b64 exec, exec, s[8:9]
.LBB87_224:
	s_or_b64 exec, exec, s[6:7]
	v_mov_b32_e32 v42, 0
	ds_read_b32 v42, v42 offset:32
	s_waitcnt lgkmcnt(0)
	v_mul_f32_e32 v42, v115, v42
.LBB87_225:
	s_or_b64 exec, exec, s[4:5]
	v_cmp_lt_u32_e64 s[2:3], 7, v0
	ds_write_b32 v114, v41
	s_waitcnt lgkmcnt(0)
	; wave barrier
	s_and_saveexec_b64 s[4:5], s[2:3]
	s_cbranch_execz .LBB87_241
; %bb.226:
	s_andn2_b64 vcc, exec, s[50:51]
	s_cbranch_vccnz .LBB87_228
; %bb.227:
	v_cmp_eq_u32_e32 vcc, 1, v0
	v_cndmask_b32_e32 v115, v34, v35, vcc
	v_cmp_eq_u32_e32 vcc, 2, v0
	v_cndmask_b32_e32 v115, v115, v36, vcc
	;; [unrolled: 2-line block ×19, first 2 shown]
	v_cmp_eq_u32_e32 vcc, 20, v0
	ds_read_b32 v116, v114
	v_cndmask_b32_e32 v115, v115, v54, vcc
	v_cmp_eq_u32_e32 vcc, 21, v0
	v_cndmask_b32_e32 v115, v115, v55, vcc
	v_cmp_eq_u32_e32 vcc, 22, v0
	;; [unrolled: 2-line block ×3, first 2 shown]
	v_cndmask_b32_e32 v115, v115, v57, vcc
	s_waitcnt lgkmcnt(0)
	v_mul_f32_e32 v115, v115, v116
	s_cbranch_execz .LBB87_229
	s_branch .LBB87_230
.LBB87_228:
                                        ; implicit-def: $vgpr115
.LBB87_229:
	ds_read_b32 v115, v114
.LBB87_230:
	s_and_saveexec_b64 s[6:7], s[0:1]
	s_cbranch_execz .LBB87_240
; %bb.231:
	v_add_u32_e32 v116, -9, v0
	v_cmp_lt_u32_e32 vcc, 6, v116
	v_mov_b32_e32 v116, 8
	s_and_saveexec_b64 s[0:1], vcc
	s_cbranch_execz .LBB87_235
; %bb.232:
	v_and_b32_e32 v116, 24, v0
	v_sub_u32_e32 v117, 0, v116
	s_mov_b64 s[8:9], 15
	s_movk_i32 s12, 0x80
	s_mov_b64 s[10:11], 0
.LBB87_233:                             ; =>This Inner Loop Header: Depth=1
	s_add_i32 s13, s8, -7
	v_mov_b32_e32 v122, s12
	s_set_gpr_idx_on s13, gpr_idx(SRC0)
	v_mov_b32_e32 v116, v34
	s_set_gpr_idx_off
	ds_read_b128 v[118:121], v122
	ds_read_b128 v[122:125], v122 offset:16
	s_add_i32 s13, s8, -6
	s_waitcnt lgkmcnt(1)
	v_fmac_f32_e32 v115, v116, v118
	s_set_gpr_idx_on s13, gpr_idx(SRC0)
	v_mov_b32_e32 v116, v34
	s_set_gpr_idx_off
	s_add_i32 s13, s8, -5
	v_fmac_f32_e32 v115, v116, v119
	s_set_gpr_idx_on s13, gpr_idx(SRC0)
	v_mov_b32_e32 v116, v34
	s_set_gpr_idx_off
	s_add_i32 s13, s8, -4
	;; [unrolled: 5-line block ×4, first 2 shown]
	s_waitcnt lgkmcnt(0)
	v_fmac_f32_e32 v115, v116, v122
	s_set_gpr_idx_on s13, gpr_idx(SRC0)
	v_mov_b32_e32 v116, v34
	s_set_gpr_idx_off
	s_add_i32 s13, s8, -1
	v_fmac_f32_e32 v115, v116, v123
	s_set_gpr_idx_on s13, gpr_idx(SRC0)
	v_mov_b32_e32 v116, v34
	s_set_gpr_idx_off
	v_fmac_f32_e32 v115, v116, v124
	s_set_gpr_idx_on s8, gpr_idx(SRC0)
	v_mov_b32_e32 v116, v34
	s_set_gpr_idx_off
	s_add_u32 s8, s8, 8
	v_fmac_f32_e32 v115, v116, v125
	v_add_u32_e32 v116, s8, v117
	s_addc_u32 s9, s9, 0
	s_add_i32 s12, s12, 32
	v_cmp_eq_u32_e32 vcc, 7, v116
	s_add_i32 s13, s8, -7
	s_or_b64 s[10:11], vcc, s[10:11]
	v_mov_b32_e32 v116, s13
	s_andn2_b64 exec, exec, s[10:11]
	s_cbranch_execnz .LBB87_233
; %bb.234:
	s_or_b64 exec, exec, s[10:11]
.LBB87_235:
	s_or_b64 exec, exec, s[0:1]
	v_and_b32_e32 v58, 7, v0
	v_cmp_ne_u32_e32 vcc, 0, v58
	s_and_saveexec_b64 s[8:9], vcc
	s_cbranch_execz .LBB87_239
; %bb.236:
	v_mov_b32_e32 v59, 0x60
	v_lshl_add_u32 v59, v116, 2, v59
	v_mov_b32_e32 v60, 0
	s_mov_b64 s[10:11], 0
.LBB87_237:                             ; =>This Inner Loop Header: Depth=1
	v_cmp_eq_u32_e32 vcc, 1, v116
	v_cndmask_b32_e32 v61, v34, v35, vcc
	v_add_u32_e32 v58, -1, v58
	v_cmp_eq_u32_e32 vcc, 2, v116
	v_cndmask_b32_e32 v61, v61, v36, vcc
	v_cmp_eq_u32_e32 vcc, 0, v58
	v_cmp_eq_u32_e64 s[0:1], 3, v116
	v_cndmask_b32_e64 v61, v61, v37, s[0:1]
	s_or_b64 s[10:11], vcc, s[10:11]
	v_cmp_eq_u32_e32 vcc, 4, v116
	v_cndmask_b32_e32 v61, v61, v38, vcc
	v_cmp_eq_u32_e32 vcc, 5, v116
	v_cndmask_b32_e32 v61, v61, v39, vcc
	;; [unrolled: 2-line block ×15, first 2 shown]
	v_cmp_eq_u32_e32 vcc, 19, v116
	ds_read_b32 v62, v59
	v_cndmask_b32_e32 v61, v61, v53, vcc
	v_cmp_eq_u32_e32 vcc, 20, v116
	v_cndmask_b32_e32 v61, v61, v54, vcc
	v_cmp_eq_u32_e32 vcc, 21, v116
	v_cndmask_b32_e32 v61, v61, v55, vcc
	v_cmp_eq_u32_e32 vcc, 22, v116
	v_cndmask_b32_e32 v61, v61, v56, vcc
	v_cmp_eq_u32_e32 vcc, 23, v116
	v_add_co_u32_e64 v116, s[0:1], 1, v116
	v_cndmask_b32_e32 v61, v61, v57, vcc
	v_add_u32_e32 v59, 4, v59
	v_addc_co_u32_e64 v60, s[0:1], 0, v60, s[0:1]
	s_waitcnt lgkmcnt(0)
	v_fmac_f32_e32 v115, v61, v62
	s_andn2_b64 exec, exec, s[10:11]
	s_cbranch_execnz .LBB87_237
; %bb.238:
	s_or_b64 exec, exec, s[10:11]
.LBB87_239:
	s_or_b64 exec, exec, s[8:9]
.LBB87_240:
	s_or_b64 exec, exec, s[6:7]
	v_mov_b32_e32 v41, 0
	ds_read_b32 v41, v41 offset:28
	s_waitcnt lgkmcnt(0)
	v_mul_f32_e32 v41, v115, v41
.LBB87_241:
	s_or_b64 exec, exec, s[4:5]
	v_cmp_lt_u32_e64 s[0:1], 6, v0
	ds_write_b32 v114, v40
	s_waitcnt lgkmcnt(0)
	; wave barrier
	s_and_saveexec_b64 s[4:5], s[0:1]
	s_cbranch_execz .LBB87_257
; %bb.242:
	s_andn2_b64 vcc, exec, s[50:51]
	s_cbranch_vccnz .LBB87_244
; %bb.243:
	v_cmp_eq_u32_e32 vcc, 1, v0
	v_cndmask_b32_e32 v115, v34, v35, vcc
	v_cmp_eq_u32_e32 vcc, 2, v0
	v_cndmask_b32_e32 v115, v115, v36, vcc
	;; [unrolled: 2-line block ×19, first 2 shown]
	v_cmp_eq_u32_e32 vcc, 20, v0
	ds_read_b32 v116, v114
	v_cndmask_b32_e32 v115, v115, v54, vcc
	v_cmp_eq_u32_e32 vcc, 21, v0
	v_cndmask_b32_e32 v115, v115, v55, vcc
	v_cmp_eq_u32_e32 vcc, 22, v0
	v_cndmask_b32_e32 v115, v115, v56, vcc
	v_cmp_eq_u32_e32 vcc, 23, v0
	v_cndmask_b32_e32 v115, v115, v57, vcc
	s_waitcnt lgkmcnt(0)
	v_mul_f32_e32 v115, v115, v116
	s_cbranch_execz .LBB87_245
	s_branch .LBB87_246
.LBB87_244:
                                        ; implicit-def: $vgpr115
.LBB87_245:
	ds_read_b32 v115, v114
.LBB87_246:
	s_and_saveexec_b64 s[6:7], s[2:3]
	s_cbranch_execz .LBB87_256
; %bb.247:
	v_add_u32_e32 v116, -8, v0
	v_add_u32_e32 v117, -7, v0
	v_cmp_lt_u32_e32 vcc, 6, v116
	v_mov_b32_e32 v116, 7
	s_and_saveexec_b64 s[2:3], vcc
	s_cbranch_execz .LBB87_251
; %bb.248:
	v_and_b32_e32 v116, -8, v117
	v_sub_u32_e32 v118, 0, v116
	s_mov_b64 s[8:9], 14
	s_movk_i32 s12, 0x7c
	s_mov_b64 s[10:11], 0
.LBB87_249:                             ; =>This Inner Loop Header: Depth=1
	s_add_i32 s13, s8, -7
	v_mov_b32_e32 v121, s12
	s_set_gpr_idx_on s13, gpr_idx(SRC0)
	v_mov_b32_e32 v116, v34
	s_set_gpr_idx_off
	ds_read2_b32 v[119:120], v121 offset1:1
	s_add_i32 s13, s8, -6
	s_waitcnt lgkmcnt(0)
	v_fmac_f32_e32 v115, v116, v119
	s_set_gpr_idx_on s13, gpr_idx(SRC0)
	v_mov_b32_e32 v116, v34
	s_set_gpr_idx_off
	s_add_i32 s13, s8, -5
	v_fmac_f32_e32 v115, v116, v120
	s_set_gpr_idx_on s13, gpr_idx(SRC0)
	v_mov_b32_e32 v116, v34
	s_set_gpr_idx_off
	ds_read2_b32 v[119:120], v121 offset0:2 offset1:3
	s_add_i32 s13, s8, -4
	s_waitcnt lgkmcnt(0)
	v_fmac_f32_e32 v115, v116, v119
	s_set_gpr_idx_on s13, gpr_idx(SRC0)
	v_mov_b32_e32 v116, v34
	s_set_gpr_idx_off
	s_add_i32 s13, s8, -3
	v_fmac_f32_e32 v115, v116, v120
	s_set_gpr_idx_on s13, gpr_idx(SRC0)
	v_mov_b32_e32 v116, v34
	s_set_gpr_idx_off
	ds_read2_b32 v[119:120], v121 offset0:4 offset1:5
	s_add_i32 s13, s8, -2
	s_waitcnt lgkmcnt(0)
	v_fmac_f32_e32 v115, v116, v119
	s_set_gpr_idx_on s13, gpr_idx(SRC0)
	v_mov_b32_e32 v116, v34
	s_set_gpr_idx_off
	s_add_i32 s13, s8, -1
	v_fmac_f32_e32 v115, v116, v120
	s_set_gpr_idx_on s13, gpr_idx(SRC0)
	v_mov_b32_e32 v116, v34
	s_set_gpr_idx_off
	ds_read2_b32 v[119:120], v121 offset0:6 offset1:7
	s_waitcnt lgkmcnt(0)
	v_fmac_f32_e32 v115, v116, v119
	s_set_gpr_idx_on s8, gpr_idx(SRC0)
	v_mov_b32_e32 v116, v34
	s_set_gpr_idx_off
	s_add_u32 s8, s8, 8
	v_fmac_f32_e32 v115, v116, v120
	v_add_u32_e32 v116, s8, v118
	s_addc_u32 s9, s9, 0
	s_add_i32 s12, s12, 32
	v_cmp_eq_u32_e32 vcc, 14, v116
	s_add_i32 s13, s8, -7
	s_or_b64 s[10:11], vcc, s[10:11]
	v_mov_b32_e32 v116, s13
	s_andn2_b64 exec, exec, s[10:11]
	s_cbranch_execnz .LBB87_249
; %bb.250:
	s_or_b64 exec, exec, s[10:11]
.LBB87_251:
	s_or_b64 exec, exec, s[2:3]
	v_and_b32_e32 v58, 7, v117
	v_cmp_ne_u32_e32 vcc, 0, v58
	s_and_saveexec_b64 s[8:9], vcc
	s_cbranch_execz .LBB87_255
; %bb.252:
	v_mov_b32_e32 v59, 0x60
	v_lshl_add_u32 v59, v116, 2, v59
	v_mov_b32_e32 v60, 0
	s_mov_b64 s[10:11], 0
.LBB87_253:                             ; =>This Inner Loop Header: Depth=1
	v_cmp_eq_u32_e32 vcc, 1, v116
	v_cndmask_b32_e32 v61, v34, v35, vcc
	v_add_u32_e32 v58, -1, v58
	v_cmp_eq_u32_e32 vcc, 2, v116
	v_cndmask_b32_e32 v61, v61, v36, vcc
	v_cmp_eq_u32_e32 vcc, 0, v58
	v_cmp_eq_u32_e64 s[2:3], 3, v116
	v_cndmask_b32_e64 v61, v61, v37, s[2:3]
	s_or_b64 s[10:11], vcc, s[10:11]
	v_cmp_eq_u32_e32 vcc, 4, v116
	v_cndmask_b32_e32 v61, v61, v38, vcc
	v_cmp_eq_u32_e32 vcc, 5, v116
	v_cndmask_b32_e32 v61, v61, v39, vcc
	;; [unrolled: 2-line block ×15, first 2 shown]
	v_cmp_eq_u32_e32 vcc, 19, v116
	ds_read_b32 v62, v59
	v_cndmask_b32_e32 v61, v61, v53, vcc
	v_cmp_eq_u32_e32 vcc, 20, v116
	v_cndmask_b32_e32 v61, v61, v54, vcc
	v_cmp_eq_u32_e32 vcc, 21, v116
	;; [unrolled: 2-line block ×4, first 2 shown]
	v_add_co_u32_e64 v116, s[2:3], 1, v116
	v_cndmask_b32_e32 v61, v61, v57, vcc
	v_add_u32_e32 v59, 4, v59
	v_addc_co_u32_e64 v60, s[2:3], 0, v60, s[2:3]
	s_waitcnt lgkmcnt(0)
	v_fmac_f32_e32 v115, v61, v62
	s_andn2_b64 exec, exec, s[10:11]
	s_cbranch_execnz .LBB87_253
; %bb.254:
	s_or_b64 exec, exec, s[10:11]
.LBB87_255:
	s_or_b64 exec, exec, s[8:9]
.LBB87_256:
	s_or_b64 exec, exec, s[6:7]
	v_mov_b32_e32 v40, 0
	ds_read_b32 v40, v40 offset:24
	s_waitcnt lgkmcnt(0)
	v_mul_f32_e32 v40, v115, v40
.LBB87_257:
	s_or_b64 exec, exec, s[4:5]
	v_cmp_lt_u32_e64 s[2:3], 5, v0
	ds_write_b32 v114, v39
	s_waitcnt lgkmcnt(0)
	; wave barrier
	s_and_saveexec_b64 s[4:5], s[2:3]
	s_cbranch_execz .LBB87_273
; %bb.258:
	s_andn2_b64 vcc, exec, s[50:51]
	s_cbranch_vccnz .LBB87_260
; %bb.259:
	v_cmp_eq_u32_e32 vcc, 1, v0
	v_cndmask_b32_e32 v115, v34, v35, vcc
	v_cmp_eq_u32_e32 vcc, 2, v0
	v_cndmask_b32_e32 v115, v115, v36, vcc
	;; [unrolled: 2-line block ×19, first 2 shown]
	v_cmp_eq_u32_e32 vcc, 20, v0
	ds_read_b32 v116, v114
	v_cndmask_b32_e32 v115, v115, v54, vcc
	v_cmp_eq_u32_e32 vcc, 21, v0
	v_cndmask_b32_e32 v115, v115, v55, vcc
	v_cmp_eq_u32_e32 vcc, 22, v0
	;; [unrolled: 2-line block ×3, first 2 shown]
	v_cndmask_b32_e32 v115, v115, v57, vcc
	s_waitcnt lgkmcnt(0)
	v_mul_f32_e32 v115, v115, v116
	s_cbranch_execz .LBB87_261
	s_branch .LBB87_262
.LBB87_260:
                                        ; implicit-def: $vgpr115
.LBB87_261:
	ds_read_b32 v115, v114
.LBB87_262:
	s_and_saveexec_b64 s[6:7], s[0:1]
	s_cbranch_execz .LBB87_272
; %bb.263:
	v_add_u32_e32 v118, -7, v0
	v_add_u32_e32 v117, -6, v0
	v_mov_b32_e32 v116, 6
	v_cmp_lt_u32_e32 vcc, 6, v118
	s_and_saveexec_b64 s[0:1], vcc
	s_cbranch_execz .LBB87_267
; %bb.264:
	v_and_b32_e32 v116, -8, v117
	v_sub_u32_e32 v118, 0, v116
	s_mov_b64 s[8:9], 13
	s_movk_i32 s12, 0x78
	s_mov_b64 s[10:11], 0
.LBB87_265:                             ; =>This Inner Loop Header: Depth=1
	s_add_i32 s13, s8, -7
	v_mov_b32_e32 v123, s12
	s_set_gpr_idx_on s13, gpr_idx(SRC0)
	v_mov_b32_e32 v116, v34
	s_set_gpr_idx_off
	ds_read2_b64 v[119:122], v123 offset1:1
	s_add_i32 s13, s8, -6
	s_waitcnt lgkmcnt(0)
	v_fmac_f32_e32 v115, v116, v119
	s_set_gpr_idx_on s13, gpr_idx(SRC0)
	v_mov_b32_e32 v116, v34
	s_set_gpr_idx_off
	s_add_i32 s13, s8, -5
	v_fmac_f32_e32 v115, v116, v120
	s_set_gpr_idx_on s13, gpr_idx(SRC0)
	v_mov_b32_e32 v116, v34
	s_set_gpr_idx_off
	s_add_i32 s13, s8, -4
	;; [unrolled: 5-line block ×3, first 2 shown]
	v_fmac_f32_e32 v115, v116, v122
	s_set_gpr_idx_on s13, gpr_idx(SRC0)
	v_mov_b32_e32 v116, v34
	s_set_gpr_idx_off
	ds_read2_b64 v[119:122], v123 offset0:2 offset1:3
	s_add_i32 s13, s8, -2
	s_waitcnt lgkmcnt(0)
	v_fmac_f32_e32 v115, v116, v119
	s_set_gpr_idx_on s13, gpr_idx(SRC0)
	v_mov_b32_e32 v116, v34
	s_set_gpr_idx_off
	s_add_i32 s13, s8, -1
	v_fmac_f32_e32 v115, v116, v120
	s_set_gpr_idx_on s13, gpr_idx(SRC0)
	v_mov_b32_e32 v116, v34
	s_set_gpr_idx_off
	v_fmac_f32_e32 v115, v116, v121
	s_set_gpr_idx_on s8, gpr_idx(SRC0)
	v_mov_b32_e32 v116, v34
	s_set_gpr_idx_off
	s_add_u32 s8, s8, 8
	v_fmac_f32_e32 v115, v116, v122
	v_add_u32_e32 v116, s8, v118
	s_addc_u32 s9, s9, 0
	s_add_i32 s12, s12, 32
	v_cmp_eq_u32_e32 vcc, 13, v116
	s_add_i32 s13, s8, -7
	s_or_b64 s[10:11], vcc, s[10:11]
	v_mov_b32_e32 v116, s13
	s_andn2_b64 exec, exec, s[10:11]
	s_cbranch_execnz .LBB87_265
; %bb.266:
	s_or_b64 exec, exec, s[10:11]
.LBB87_267:
	s_or_b64 exec, exec, s[0:1]
	v_and_b32_e32 v58, 7, v117
	v_cmp_ne_u32_e32 vcc, 0, v58
	s_and_saveexec_b64 s[8:9], vcc
	s_cbranch_execz .LBB87_271
; %bb.268:
	v_mov_b32_e32 v59, 0x60
	v_lshl_add_u32 v59, v116, 2, v59
	v_mov_b32_e32 v60, 0
	s_mov_b64 s[10:11], 0
.LBB87_269:                             ; =>This Inner Loop Header: Depth=1
	v_cmp_eq_u32_e32 vcc, 1, v116
	v_cndmask_b32_e32 v61, v34, v35, vcc
	v_add_u32_e32 v58, -1, v58
	v_cmp_eq_u32_e32 vcc, 2, v116
	v_cndmask_b32_e32 v61, v61, v36, vcc
	v_cmp_eq_u32_e32 vcc, 0, v58
	v_cmp_eq_u32_e64 s[0:1], 3, v116
	v_cndmask_b32_e64 v61, v61, v37, s[0:1]
	s_or_b64 s[10:11], vcc, s[10:11]
	v_cmp_eq_u32_e32 vcc, 4, v116
	v_cndmask_b32_e32 v61, v61, v38, vcc
	v_cmp_eq_u32_e32 vcc, 5, v116
	v_cndmask_b32_e32 v61, v61, v39, vcc
	;; [unrolled: 2-line block ×15, first 2 shown]
	v_cmp_eq_u32_e32 vcc, 19, v116
	ds_read_b32 v62, v59
	v_cndmask_b32_e32 v61, v61, v53, vcc
	v_cmp_eq_u32_e32 vcc, 20, v116
	v_cndmask_b32_e32 v61, v61, v54, vcc
	v_cmp_eq_u32_e32 vcc, 21, v116
	;; [unrolled: 2-line block ×4, first 2 shown]
	v_add_co_u32_e64 v116, s[0:1], 1, v116
	v_cndmask_b32_e32 v61, v61, v57, vcc
	v_add_u32_e32 v59, 4, v59
	v_addc_co_u32_e64 v60, s[0:1], 0, v60, s[0:1]
	s_waitcnt lgkmcnt(0)
	v_fmac_f32_e32 v115, v61, v62
	s_andn2_b64 exec, exec, s[10:11]
	s_cbranch_execnz .LBB87_269
; %bb.270:
	s_or_b64 exec, exec, s[10:11]
.LBB87_271:
	s_or_b64 exec, exec, s[8:9]
.LBB87_272:
	s_or_b64 exec, exec, s[6:7]
	v_mov_b32_e32 v39, 0
	ds_read_b32 v39, v39 offset:20
	s_waitcnt lgkmcnt(0)
	v_mul_f32_e32 v39, v115, v39
.LBB87_273:
	s_or_b64 exec, exec, s[4:5]
	v_cmp_lt_u32_e64 s[0:1], 4, v0
	ds_write_b32 v114, v38
	s_waitcnt lgkmcnt(0)
	; wave barrier
	s_and_saveexec_b64 s[4:5], s[0:1]
	s_cbranch_execz .LBB87_289
; %bb.274:
	s_andn2_b64 vcc, exec, s[50:51]
	s_cbranch_vccnz .LBB87_276
; %bb.275:
	v_cmp_eq_u32_e32 vcc, 1, v0
	v_cndmask_b32_e32 v115, v34, v35, vcc
	v_cmp_eq_u32_e32 vcc, 2, v0
	v_cndmask_b32_e32 v115, v115, v36, vcc
	;; [unrolled: 2-line block ×19, first 2 shown]
	v_cmp_eq_u32_e32 vcc, 20, v0
	ds_read_b32 v116, v114
	v_cndmask_b32_e32 v115, v115, v54, vcc
	v_cmp_eq_u32_e32 vcc, 21, v0
	v_cndmask_b32_e32 v115, v115, v55, vcc
	v_cmp_eq_u32_e32 vcc, 22, v0
	;; [unrolled: 2-line block ×3, first 2 shown]
	v_cndmask_b32_e32 v115, v115, v57, vcc
	s_waitcnt lgkmcnt(0)
	v_mul_f32_e32 v115, v115, v116
	s_cbranch_execz .LBB87_277
	s_branch .LBB87_278
.LBB87_276:
                                        ; implicit-def: $vgpr115
.LBB87_277:
	ds_read_b32 v115, v114
.LBB87_278:
	s_and_saveexec_b64 s[6:7], s[2:3]
	s_cbranch_execz .LBB87_288
; %bb.279:
	v_add_u32_e32 v116, -6, v0
	v_add_u32_e32 v117, -5, v0
	v_cmp_lt_u32_e32 vcc, 6, v116
	v_mov_b32_e32 v116, 5
	s_and_saveexec_b64 s[2:3], vcc
	s_cbranch_execz .LBB87_283
; %bb.280:
	v_and_b32_e32 v116, -8, v117
	v_sub_u32_e32 v118, 0, v116
	s_mov_b64 s[8:9], 12
	s_movk_i32 s12, 0x74
	s_mov_b64 s[10:11], 0
.LBB87_281:                             ; =>This Inner Loop Header: Depth=1
	s_add_i32 s13, s8, -7
	v_mov_b32_e32 v121, s12
	s_set_gpr_idx_on s13, gpr_idx(SRC0)
	v_mov_b32_e32 v116, v34
	s_set_gpr_idx_off
	ds_read2_b32 v[119:120], v121 offset1:1
	s_add_i32 s13, s8, -6
	s_waitcnt lgkmcnt(0)
	v_fmac_f32_e32 v115, v116, v119
	s_set_gpr_idx_on s13, gpr_idx(SRC0)
	v_mov_b32_e32 v116, v34
	s_set_gpr_idx_off
	s_add_i32 s13, s8, -5
	v_fmac_f32_e32 v115, v116, v120
	s_set_gpr_idx_on s13, gpr_idx(SRC0)
	v_mov_b32_e32 v116, v34
	s_set_gpr_idx_off
	ds_read2_b32 v[119:120], v121 offset0:2 offset1:3
	s_add_i32 s13, s8, -4
	s_waitcnt lgkmcnt(0)
	v_fmac_f32_e32 v115, v116, v119
	s_set_gpr_idx_on s13, gpr_idx(SRC0)
	v_mov_b32_e32 v116, v34
	s_set_gpr_idx_off
	s_add_i32 s13, s8, -3
	v_fmac_f32_e32 v115, v116, v120
	s_set_gpr_idx_on s13, gpr_idx(SRC0)
	v_mov_b32_e32 v116, v34
	s_set_gpr_idx_off
	ds_read2_b32 v[119:120], v121 offset0:4 offset1:5
	;; [unrolled: 12-line block ×3, first 2 shown]
	s_waitcnt lgkmcnt(0)
	v_fmac_f32_e32 v115, v116, v119
	s_set_gpr_idx_on s8, gpr_idx(SRC0)
	v_mov_b32_e32 v116, v34
	s_set_gpr_idx_off
	s_add_u32 s8, s8, 8
	v_fmac_f32_e32 v115, v116, v120
	v_add_u32_e32 v116, s8, v118
	s_addc_u32 s9, s9, 0
	s_add_i32 s12, s12, 32
	v_cmp_eq_u32_e32 vcc, 12, v116
	s_add_i32 s13, s8, -7
	s_or_b64 s[10:11], vcc, s[10:11]
	v_mov_b32_e32 v116, s13
	s_andn2_b64 exec, exec, s[10:11]
	s_cbranch_execnz .LBB87_281
; %bb.282:
	s_or_b64 exec, exec, s[10:11]
.LBB87_283:
	s_or_b64 exec, exec, s[2:3]
	v_and_b32_e32 v58, 7, v117
	v_cmp_ne_u32_e32 vcc, 0, v58
	s_and_saveexec_b64 s[8:9], vcc
	s_cbranch_execz .LBB87_287
; %bb.284:
	v_mov_b32_e32 v59, 0x60
	v_lshl_add_u32 v59, v116, 2, v59
	v_mov_b32_e32 v60, 0
	s_mov_b64 s[10:11], 0
.LBB87_285:                             ; =>This Inner Loop Header: Depth=1
	v_cmp_eq_u32_e32 vcc, 1, v116
	v_cndmask_b32_e32 v61, v34, v35, vcc
	v_add_u32_e32 v58, -1, v58
	v_cmp_eq_u32_e32 vcc, 2, v116
	v_cndmask_b32_e32 v61, v61, v36, vcc
	v_cmp_eq_u32_e32 vcc, 0, v58
	v_cmp_eq_u32_e64 s[2:3], 3, v116
	v_cndmask_b32_e64 v61, v61, v37, s[2:3]
	s_or_b64 s[10:11], vcc, s[10:11]
	v_cmp_eq_u32_e32 vcc, 4, v116
	v_cndmask_b32_e32 v61, v61, v38, vcc
	v_cmp_eq_u32_e32 vcc, 5, v116
	v_cndmask_b32_e32 v61, v61, v39, vcc
	v_cmp_eq_u32_e32 vcc, 6, v116
	v_cndmask_b32_e32 v61, v61, v40, vcc
	v_cmp_eq_u32_e32 vcc, 7, v116
	v_cndmask_b32_e32 v61, v61, v41, vcc
	v_cmp_eq_u32_e32 vcc, 8, v116
	v_cndmask_b32_e32 v61, v61, v42, vcc
	v_cmp_eq_u32_e32 vcc, 9, v116
	v_cndmask_b32_e32 v61, v61, v43, vcc
	v_cmp_eq_u32_e32 vcc, 10, v116
	v_cndmask_b32_e32 v61, v61, v44, vcc
	v_cmp_eq_u32_e32 vcc, 11, v116
	v_cndmask_b32_e32 v61, v61, v45, vcc
	v_cmp_eq_u32_e32 vcc, 12, v116
	v_cndmask_b32_e32 v61, v61, v46, vcc
	v_cmp_eq_u32_e32 vcc, 13, v116
	v_cndmask_b32_e32 v61, v61, v47, vcc
	v_cmp_eq_u32_e32 vcc, 14, v116
	v_cndmask_b32_e32 v61, v61, v48, vcc
	v_cmp_eq_u32_e32 vcc, 15, v116
	v_cndmask_b32_e32 v61, v61, v49, vcc
	v_cmp_eq_u32_e32 vcc, 16, v116
	v_cndmask_b32_e32 v61, v61, v50, vcc
	v_cmp_eq_u32_e32 vcc, 17, v116
	v_cndmask_b32_e32 v61, v61, v51, vcc
	v_cmp_eq_u32_e32 vcc, 18, v116
	v_cndmask_b32_e32 v61, v61, v52, vcc
	v_cmp_eq_u32_e32 vcc, 19, v116
	ds_read_b32 v62, v59
	v_cndmask_b32_e32 v61, v61, v53, vcc
	v_cmp_eq_u32_e32 vcc, 20, v116
	v_cndmask_b32_e32 v61, v61, v54, vcc
	v_cmp_eq_u32_e32 vcc, 21, v116
	;; [unrolled: 2-line block ×4, first 2 shown]
	v_add_co_u32_e64 v116, s[2:3], 1, v116
	v_cndmask_b32_e32 v61, v61, v57, vcc
	v_add_u32_e32 v59, 4, v59
	v_addc_co_u32_e64 v60, s[2:3], 0, v60, s[2:3]
	s_waitcnt lgkmcnt(0)
	v_fmac_f32_e32 v115, v61, v62
	s_andn2_b64 exec, exec, s[10:11]
	s_cbranch_execnz .LBB87_285
; %bb.286:
	s_or_b64 exec, exec, s[10:11]
.LBB87_287:
	s_or_b64 exec, exec, s[8:9]
.LBB87_288:
	s_or_b64 exec, exec, s[6:7]
	v_mov_b32_e32 v38, 0
	ds_read_b32 v38, v38 offset:16
	s_waitcnt lgkmcnt(0)
	v_mul_f32_e32 v38, v115, v38
.LBB87_289:
	s_or_b64 exec, exec, s[4:5]
	v_cmp_lt_u32_e64 s[2:3], 3, v0
	ds_write_b32 v114, v37
	s_waitcnt lgkmcnt(0)
	; wave barrier
	s_and_saveexec_b64 s[4:5], s[2:3]
	s_cbranch_execz .LBB87_305
; %bb.290:
	s_andn2_b64 vcc, exec, s[50:51]
	s_cbranch_vccnz .LBB87_292
; %bb.291:
	v_cmp_eq_u32_e32 vcc, 1, v0
	v_cndmask_b32_e32 v115, v34, v35, vcc
	v_cmp_eq_u32_e32 vcc, 2, v0
	v_cndmask_b32_e32 v115, v115, v36, vcc
	;; [unrolled: 2-line block ×19, first 2 shown]
	v_cmp_eq_u32_e32 vcc, 20, v0
	ds_read_b32 v116, v114
	v_cndmask_b32_e32 v115, v115, v54, vcc
	v_cmp_eq_u32_e32 vcc, 21, v0
	v_cndmask_b32_e32 v115, v115, v55, vcc
	v_cmp_eq_u32_e32 vcc, 22, v0
	v_cndmask_b32_e32 v115, v115, v56, vcc
	v_cmp_eq_u32_e32 vcc, 23, v0
	v_cndmask_b32_e32 v115, v115, v57, vcc
	s_waitcnt lgkmcnt(0)
	v_mul_f32_e32 v115, v115, v116
	s_cbranch_execz .LBB87_293
	s_branch .LBB87_294
.LBB87_292:
                                        ; implicit-def: $vgpr115
.LBB87_293:
	ds_read_b32 v115, v114
.LBB87_294:
	s_and_saveexec_b64 s[6:7], s[0:1]
	s_cbranch_execz .LBB87_304
; %bb.295:
	v_add_u32_e32 v116, -5, v0
	v_add_u32_e32 v117, -4, v0
	v_cmp_lt_u32_e32 vcc, 6, v116
	v_mov_b32_e32 v116, 4
	s_and_saveexec_b64 s[0:1], vcc
	s_cbranch_execz .LBB87_299
; %bb.296:
	v_and_b32_e32 v116, -8, v117
	v_sub_u32_e32 v118, 0, v116
	s_mov_b64 s[8:9], 5
	s_movk_i32 s12, 0x70
	s_mov_b64 s[10:11], 0
.LBB87_297:                             ; =>This Inner Loop Header: Depth=1
	s_add_i32 s13, s8, -1
	v_mov_b32_e32 v123, s12
	s_set_gpr_idx_on s13, gpr_idx(SRC0)
	v_mov_b32_e32 v116, v34
	s_set_gpr_idx_off
	ds_read_b128 v[119:122], v123
	ds_read_b128 v[123:126], v123 offset:16
	s_add_i32 s13, s8, 1
	s_waitcnt lgkmcnt(1)
	v_fmac_f32_e32 v115, v116, v119
	s_set_gpr_idx_on s8, gpr_idx(SRC0)
	v_mov_b32_e32 v116, v34
	s_set_gpr_idx_off
	v_fmac_f32_e32 v115, v116, v120
	s_set_gpr_idx_on s13, gpr_idx(SRC0)
	v_mov_b32_e32 v116, v34
	s_set_gpr_idx_off
	s_add_i32 s13, s8, 2
	v_fmac_f32_e32 v115, v116, v121
	s_set_gpr_idx_on s13, gpr_idx(SRC0)
	v_mov_b32_e32 v116, v34
	s_set_gpr_idx_off
	s_add_i32 s13, s8, 3
	;; [unrolled: 5-line block ×3, first 2 shown]
	s_waitcnt lgkmcnt(0)
	v_fmac_f32_e32 v115, v116, v123
	s_set_gpr_idx_on s13, gpr_idx(SRC0)
	v_mov_b32_e32 v116, v34
	s_set_gpr_idx_off
	s_add_i32 s13, s8, 5
	v_fmac_f32_e32 v115, v116, v124
	s_set_gpr_idx_on s13, gpr_idx(SRC0)
	v_mov_b32_e32 v116, v34
	s_set_gpr_idx_off
	s_add_i32 s13, s8, 6
	v_fmac_f32_e32 v115, v116, v125
	s_set_gpr_idx_on s13, gpr_idx(SRC0)
	v_mov_b32_e32 v116, v34
	s_set_gpr_idx_off
	s_add_u32 s8, s8, 8
	v_fmac_f32_e32 v115, v116, v126
	v_add_u32_e32 v116, s8, v118
	s_addc_u32 s9, s9, 0
	s_add_i32 s12, s12, 32
	v_cmp_eq_u32_e32 vcc, 5, v116
	s_add_i32 s13, s8, -1
	s_or_b64 s[10:11], vcc, s[10:11]
	v_mov_b32_e32 v116, s13
	s_andn2_b64 exec, exec, s[10:11]
	s_cbranch_execnz .LBB87_297
; %bb.298:
	s_or_b64 exec, exec, s[10:11]
.LBB87_299:
	s_or_b64 exec, exec, s[0:1]
	v_and_b32_e32 v58, 7, v117
	v_cmp_ne_u32_e32 vcc, 0, v58
	s_and_saveexec_b64 s[8:9], vcc
	s_cbranch_execz .LBB87_303
; %bb.300:
	v_mov_b32_e32 v59, 0x60
	v_lshl_add_u32 v59, v116, 2, v59
	v_mov_b32_e32 v60, 0
	s_mov_b64 s[10:11], 0
.LBB87_301:                             ; =>This Inner Loop Header: Depth=1
	v_cmp_eq_u32_e32 vcc, 1, v116
	v_cndmask_b32_e32 v61, v34, v35, vcc
	v_add_u32_e32 v58, -1, v58
	v_cmp_eq_u32_e32 vcc, 2, v116
	v_cndmask_b32_e32 v61, v61, v36, vcc
	v_cmp_eq_u32_e32 vcc, 0, v58
	v_cmp_eq_u32_e64 s[0:1], 3, v116
	v_cndmask_b32_e64 v61, v61, v37, s[0:1]
	s_or_b64 s[10:11], vcc, s[10:11]
	v_cmp_eq_u32_e32 vcc, 4, v116
	v_cndmask_b32_e32 v61, v61, v38, vcc
	v_cmp_eq_u32_e32 vcc, 5, v116
	v_cndmask_b32_e32 v61, v61, v39, vcc
	;; [unrolled: 2-line block ×15, first 2 shown]
	v_cmp_eq_u32_e32 vcc, 19, v116
	ds_read_b32 v62, v59
	v_cndmask_b32_e32 v61, v61, v53, vcc
	v_cmp_eq_u32_e32 vcc, 20, v116
	v_cndmask_b32_e32 v61, v61, v54, vcc
	v_cmp_eq_u32_e32 vcc, 21, v116
	;; [unrolled: 2-line block ×4, first 2 shown]
	v_add_co_u32_e64 v116, s[0:1], 1, v116
	v_cndmask_b32_e32 v61, v61, v57, vcc
	v_add_u32_e32 v59, 4, v59
	v_addc_co_u32_e64 v60, s[0:1], 0, v60, s[0:1]
	s_waitcnt lgkmcnt(0)
	v_fmac_f32_e32 v115, v61, v62
	s_andn2_b64 exec, exec, s[10:11]
	s_cbranch_execnz .LBB87_301
; %bb.302:
	s_or_b64 exec, exec, s[10:11]
.LBB87_303:
	s_or_b64 exec, exec, s[8:9]
.LBB87_304:
	s_or_b64 exec, exec, s[6:7]
	v_mov_b32_e32 v37, 0
	ds_read_b32 v37, v37 offset:12
	s_waitcnt lgkmcnt(0)
	v_mul_f32_e32 v37, v115, v37
.LBB87_305:
	s_or_b64 exec, exec, s[4:5]
	v_cmp_lt_u32_e64 s[0:1], 2, v0
	ds_write_b32 v114, v36
	s_waitcnt lgkmcnt(0)
	; wave barrier
	s_and_saveexec_b64 s[4:5], s[0:1]
	s_cbranch_execz .LBB87_321
; %bb.306:
	s_andn2_b64 vcc, exec, s[50:51]
	s_cbranch_vccnz .LBB87_308
; %bb.307:
	v_cmp_eq_u32_e32 vcc, 1, v0
	v_cndmask_b32_e32 v115, v34, v35, vcc
	v_cmp_eq_u32_e32 vcc, 2, v0
	v_cndmask_b32_e32 v115, v115, v36, vcc
	;; [unrolled: 2-line block ×19, first 2 shown]
	v_cmp_eq_u32_e32 vcc, 20, v0
	ds_read_b32 v116, v114
	v_cndmask_b32_e32 v115, v115, v54, vcc
	v_cmp_eq_u32_e32 vcc, 21, v0
	v_cndmask_b32_e32 v115, v115, v55, vcc
	v_cmp_eq_u32_e32 vcc, 22, v0
	v_cndmask_b32_e32 v115, v115, v56, vcc
	v_cmp_eq_u32_e32 vcc, 23, v0
	v_cndmask_b32_e32 v115, v115, v57, vcc
	s_waitcnt lgkmcnt(0)
	v_mul_f32_e32 v115, v115, v116
	s_cbranch_execz .LBB87_309
	s_branch .LBB87_310
.LBB87_308:
                                        ; implicit-def: $vgpr115
.LBB87_309:
	ds_read_b32 v115, v114
.LBB87_310:
	s_and_saveexec_b64 s[6:7], s[2:3]
	s_cbranch_execz .LBB87_320
; %bb.311:
	v_add_u32_e32 v116, -4, v0
	v_add_u32_e32 v117, -3, v0
	v_cmp_lt_u32_e32 vcc, 6, v116
	v_mov_b32_e32 v116, 3
	s_and_saveexec_b64 s[2:3], vcc
	s_cbranch_execz .LBB87_315
; %bb.312:
	v_and_b32_e32 v116, -8, v117
	v_sub_u32_e32 v118, 0, v116
	s_mov_b64 s[8:9], 10
	s_movk_i32 s12, 0x6c
	s_mov_b64 s[10:11], 0
.LBB87_313:                             ; =>This Inner Loop Header: Depth=1
	s_add_i32 s13, s8, -7
	v_mov_b32_e32 v121, s12
	s_set_gpr_idx_on s13, gpr_idx(SRC0)
	v_mov_b32_e32 v116, v34
	s_set_gpr_idx_off
	ds_read2_b32 v[119:120], v121 offset1:1
	s_add_i32 s13, s8, -6
	s_waitcnt lgkmcnt(0)
	v_fmac_f32_e32 v115, v116, v119
	s_set_gpr_idx_on s13, gpr_idx(SRC0)
	v_mov_b32_e32 v116, v34
	s_set_gpr_idx_off
	s_add_i32 s13, s8, -5
	v_fmac_f32_e32 v115, v116, v120
	s_set_gpr_idx_on s13, gpr_idx(SRC0)
	v_mov_b32_e32 v116, v34
	s_set_gpr_idx_off
	ds_read2_b32 v[119:120], v121 offset0:2 offset1:3
	s_add_i32 s13, s8, -4
	s_waitcnt lgkmcnt(0)
	v_fmac_f32_e32 v115, v116, v119
	s_set_gpr_idx_on s13, gpr_idx(SRC0)
	v_mov_b32_e32 v116, v34
	s_set_gpr_idx_off
	s_add_i32 s13, s8, -3
	v_fmac_f32_e32 v115, v116, v120
	s_set_gpr_idx_on s13, gpr_idx(SRC0)
	v_mov_b32_e32 v116, v34
	s_set_gpr_idx_off
	ds_read2_b32 v[119:120], v121 offset0:4 offset1:5
	s_add_i32 s13, s8, -2
	s_waitcnt lgkmcnt(0)
	v_fmac_f32_e32 v115, v116, v119
	s_set_gpr_idx_on s13, gpr_idx(SRC0)
	v_mov_b32_e32 v116, v34
	s_set_gpr_idx_off
	s_add_i32 s13, s8, -1
	v_fmac_f32_e32 v115, v116, v120
	s_set_gpr_idx_on s13, gpr_idx(SRC0)
	v_mov_b32_e32 v116, v34
	s_set_gpr_idx_off
	ds_read2_b32 v[119:120], v121 offset0:6 offset1:7
	s_waitcnt lgkmcnt(0)
	v_fmac_f32_e32 v115, v116, v119
	s_set_gpr_idx_on s8, gpr_idx(SRC0)
	v_mov_b32_e32 v116, v34
	s_set_gpr_idx_off
	s_add_u32 s8, s8, 8
	v_fmac_f32_e32 v115, v116, v120
	v_add_u32_e32 v116, s8, v118
	s_addc_u32 s9, s9, 0
	s_add_i32 s12, s12, 32
	v_cmp_eq_u32_e32 vcc, 10, v116
	s_add_i32 s13, s8, -7
	s_or_b64 s[10:11], vcc, s[10:11]
	v_mov_b32_e32 v116, s13
	s_andn2_b64 exec, exec, s[10:11]
	s_cbranch_execnz .LBB87_313
; %bb.314:
	s_or_b64 exec, exec, s[10:11]
.LBB87_315:
	s_or_b64 exec, exec, s[2:3]
	v_and_b32_e32 v58, 7, v117
	v_cmp_ne_u32_e32 vcc, 0, v58
	s_and_saveexec_b64 s[8:9], vcc
	s_cbranch_execz .LBB87_319
; %bb.316:
	v_mov_b32_e32 v59, 0x60
	v_lshl_add_u32 v59, v116, 2, v59
	v_mov_b32_e32 v60, 0
	s_mov_b64 s[10:11], 0
.LBB87_317:                             ; =>This Inner Loop Header: Depth=1
	v_cmp_eq_u32_e32 vcc, 1, v116
	v_cndmask_b32_e32 v61, v34, v35, vcc
	v_add_u32_e32 v58, -1, v58
	v_cmp_eq_u32_e32 vcc, 2, v116
	v_cndmask_b32_e32 v61, v61, v36, vcc
	v_cmp_eq_u32_e32 vcc, 0, v58
	v_cmp_eq_u32_e64 s[2:3], 3, v116
	v_cndmask_b32_e64 v61, v61, v37, s[2:3]
	s_or_b64 s[10:11], vcc, s[10:11]
	v_cmp_eq_u32_e32 vcc, 4, v116
	v_cndmask_b32_e32 v61, v61, v38, vcc
	v_cmp_eq_u32_e32 vcc, 5, v116
	v_cndmask_b32_e32 v61, v61, v39, vcc
	;; [unrolled: 2-line block ×15, first 2 shown]
	v_cmp_eq_u32_e32 vcc, 19, v116
	ds_read_b32 v62, v59
	v_cndmask_b32_e32 v61, v61, v53, vcc
	v_cmp_eq_u32_e32 vcc, 20, v116
	v_cndmask_b32_e32 v61, v61, v54, vcc
	v_cmp_eq_u32_e32 vcc, 21, v116
	;; [unrolled: 2-line block ×4, first 2 shown]
	v_add_co_u32_e64 v116, s[2:3], 1, v116
	v_cndmask_b32_e32 v61, v61, v57, vcc
	v_add_u32_e32 v59, 4, v59
	v_addc_co_u32_e64 v60, s[2:3], 0, v60, s[2:3]
	s_waitcnt lgkmcnt(0)
	v_fmac_f32_e32 v115, v61, v62
	s_andn2_b64 exec, exec, s[10:11]
	s_cbranch_execnz .LBB87_317
; %bb.318:
	s_or_b64 exec, exec, s[10:11]
.LBB87_319:
	s_or_b64 exec, exec, s[8:9]
.LBB87_320:
	s_or_b64 exec, exec, s[6:7]
	v_mov_b32_e32 v36, 0
	ds_read_b32 v36, v36 offset:8
	s_waitcnt lgkmcnt(0)
	v_mul_f32_e32 v36, v115, v36
.LBB87_321:
	s_or_b64 exec, exec, s[4:5]
	v_cmp_lt_u32_e64 s[2:3], 1, v0
	ds_write_b32 v114, v35
	s_waitcnt lgkmcnt(0)
	; wave barrier
	s_and_saveexec_b64 s[4:5], s[2:3]
	s_cbranch_execz .LBB87_337
; %bb.322:
	s_andn2_b64 vcc, exec, s[50:51]
	s_cbranch_vccnz .LBB87_324
; %bb.323:
	v_cmp_eq_u32_e32 vcc, 1, v0
	v_cndmask_b32_e32 v115, v34, v35, vcc
	v_cmp_eq_u32_e32 vcc, 2, v0
	v_cndmask_b32_e32 v115, v115, v36, vcc
	;; [unrolled: 2-line block ×19, first 2 shown]
	v_cmp_eq_u32_e32 vcc, 20, v0
	ds_read_b32 v116, v114
	v_cndmask_b32_e32 v115, v115, v54, vcc
	v_cmp_eq_u32_e32 vcc, 21, v0
	v_cndmask_b32_e32 v115, v115, v55, vcc
	v_cmp_eq_u32_e32 vcc, 22, v0
	;; [unrolled: 2-line block ×3, first 2 shown]
	v_cndmask_b32_e32 v115, v115, v57, vcc
	s_waitcnt lgkmcnt(0)
	v_mul_f32_e32 v115, v115, v116
	s_cbranch_execz .LBB87_325
	s_branch .LBB87_326
.LBB87_324:
                                        ; implicit-def: $vgpr115
.LBB87_325:
	ds_read_b32 v115, v114
.LBB87_326:
	s_and_saveexec_b64 s[6:7], s[0:1]
	s_cbranch_execz .LBB87_336
; %bb.327:
	v_add_u32_e32 v116, -3, v0
	v_add_u32_e32 v117, -2, v0
	v_cmp_lt_u32_e32 vcc, 6, v116
	v_mov_b32_e32 v116, 2
	s_and_saveexec_b64 s[0:1], vcc
	s_cbranch_execz .LBB87_331
; %bb.328:
	v_and_b32_e32 v116, -8, v117
	v_sub_u32_e32 v118, 0, v116
	s_mov_b64 s[8:9], 9
	s_movk_i32 s12, 0x68
	s_mov_b64 s[10:11], 0
.LBB87_329:                             ; =>This Inner Loop Header: Depth=1
	s_add_i32 s13, s8, -7
	v_mov_b32_e32 v123, s12
	s_set_gpr_idx_on s13, gpr_idx(SRC0)
	v_mov_b32_e32 v116, v34
	s_set_gpr_idx_off
	ds_read2_b64 v[119:122], v123 offset1:1
	s_add_i32 s13, s8, -6
	s_waitcnt lgkmcnt(0)
	v_fmac_f32_e32 v115, v116, v119
	s_set_gpr_idx_on s13, gpr_idx(SRC0)
	v_mov_b32_e32 v116, v34
	s_set_gpr_idx_off
	s_add_i32 s13, s8, -5
	v_fmac_f32_e32 v115, v116, v120
	s_set_gpr_idx_on s13, gpr_idx(SRC0)
	v_mov_b32_e32 v116, v34
	s_set_gpr_idx_off
	s_add_i32 s13, s8, -4
	;; [unrolled: 5-line block ×3, first 2 shown]
	v_fmac_f32_e32 v115, v116, v122
	s_set_gpr_idx_on s13, gpr_idx(SRC0)
	v_mov_b32_e32 v116, v34
	s_set_gpr_idx_off
	ds_read2_b64 v[119:122], v123 offset0:2 offset1:3
	s_add_i32 s13, s8, -2
	s_waitcnt lgkmcnt(0)
	v_fmac_f32_e32 v115, v116, v119
	s_set_gpr_idx_on s13, gpr_idx(SRC0)
	v_mov_b32_e32 v116, v34
	s_set_gpr_idx_off
	s_add_i32 s13, s8, -1
	v_fmac_f32_e32 v115, v116, v120
	s_set_gpr_idx_on s13, gpr_idx(SRC0)
	v_mov_b32_e32 v116, v34
	s_set_gpr_idx_off
	v_fmac_f32_e32 v115, v116, v121
	s_set_gpr_idx_on s8, gpr_idx(SRC0)
	v_mov_b32_e32 v116, v34
	s_set_gpr_idx_off
	s_add_u32 s8, s8, 8
	v_fmac_f32_e32 v115, v116, v122
	v_add_u32_e32 v116, s8, v118
	s_addc_u32 s9, s9, 0
	s_add_i32 s12, s12, 32
	v_cmp_eq_u32_e32 vcc, 9, v116
	s_add_i32 s13, s8, -7
	s_or_b64 s[10:11], vcc, s[10:11]
	v_mov_b32_e32 v116, s13
	s_andn2_b64 exec, exec, s[10:11]
	s_cbranch_execnz .LBB87_329
; %bb.330:
	s_or_b64 exec, exec, s[10:11]
.LBB87_331:
	s_or_b64 exec, exec, s[0:1]
	v_and_b32_e32 v58, 7, v117
	v_cmp_ne_u32_e32 vcc, 0, v58
	s_and_saveexec_b64 s[8:9], vcc
	s_cbranch_execz .LBB87_335
; %bb.332:
	v_mov_b32_e32 v59, 0x60
	v_lshl_add_u32 v59, v116, 2, v59
	v_mov_b32_e32 v60, 0
	s_mov_b64 s[10:11], 0
.LBB87_333:                             ; =>This Inner Loop Header: Depth=1
	v_cmp_eq_u32_e32 vcc, 1, v116
	v_cndmask_b32_e32 v61, v34, v35, vcc
	v_add_u32_e32 v58, -1, v58
	v_cmp_eq_u32_e32 vcc, 2, v116
	v_cndmask_b32_e32 v61, v61, v36, vcc
	v_cmp_eq_u32_e32 vcc, 0, v58
	v_cmp_eq_u32_e64 s[0:1], 3, v116
	v_cndmask_b32_e64 v61, v61, v37, s[0:1]
	s_or_b64 s[10:11], vcc, s[10:11]
	v_cmp_eq_u32_e32 vcc, 4, v116
	v_cndmask_b32_e32 v61, v61, v38, vcc
	v_cmp_eq_u32_e32 vcc, 5, v116
	v_cndmask_b32_e32 v61, v61, v39, vcc
	v_cmp_eq_u32_e32 vcc, 6, v116
	v_cndmask_b32_e32 v61, v61, v40, vcc
	v_cmp_eq_u32_e32 vcc, 7, v116
	v_cndmask_b32_e32 v61, v61, v41, vcc
	v_cmp_eq_u32_e32 vcc, 8, v116
	v_cndmask_b32_e32 v61, v61, v42, vcc
	v_cmp_eq_u32_e32 vcc, 9, v116
	v_cndmask_b32_e32 v61, v61, v43, vcc
	v_cmp_eq_u32_e32 vcc, 10, v116
	v_cndmask_b32_e32 v61, v61, v44, vcc
	v_cmp_eq_u32_e32 vcc, 11, v116
	v_cndmask_b32_e32 v61, v61, v45, vcc
	v_cmp_eq_u32_e32 vcc, 12, v116
	v_cndmask_b32_e32 v61, v61, v46, vcc
	v_cmp_eq_u32_e32 vcc, 13, v116
	v_cndmask_b32_e32 v61, v61, v47, vcc
	v_cmp_eq_u32_e32 vcc, 14, v116
	v_cndmask_b32_e32 v61, v61, v48, vcc
	v_cmp_eq_u32_e32 vcc, 15, v116
	v_cndmask_b32_e32 v61, v61, v49, vcc
	v_cmp_eq_u32_e32 vcc, 16, v116
	v_cndmask_b32_e32 v61, v61, v50, vcc
	v_cmp_eq_u32_e32 vcc, 17, v116
	v_cndmask_b32_e32 v61, v61, v51, vcc
	v_cmp_eq_u32_e32 vcc, 18, v116
	v_cndmask_b32_e32 v61, v61, v52, vcc
	v_cmp_eq_u32_e32 vcc, 19, v116
	ds_read_b32 v62, v59
	v_cndmask_b32_e32 v61, v61, v53, vcc
	v_cmp_eq_u32_e32 vcc, 20, v116
	v_cndmask_b32_e32 v61, v61, v54, vcc
	v_cmp_eq_u32_e32 vcc, 21, v116
	;; [unrolled: 2-line block ×4, first 2 shown]
	v_add_co_u32_e64 v116, s[0:1], 1, v116
	v_cndmask_b32_e32 v61, v61, v57, vcc
	v_add_u32_e32 v59, 4, v59
	v_addc_co_u32_e64 v60, s[0:1], 0, v60, s[0:1]
	s_waitcnt lgkmcnt(0)
	v_fmac_f32_e32 v115, v61, v62
	s_andn2_b64 exec, exec, s[10:11]
	s_cbranch_execnz .LBB87_333
; %bb.334:
	s_or_b64 exec, exec, s[10:11]
.LBB87_335:
	s_or_b64 exec, exec, s[8:9]
.LBB87_336:
	s_or_b64 exec, exec, s[6:7]
	v_mov_b32_e32 v35, 0
	ds_read_b32 v35, v35 offset:4
	s_waitcnt lgkmcnt(0)
	v_mul_f32_e32 v35, v115, v35
.LBB87_337:
	s_or_b64 exec, exec, s[4:5]
	v_cmp_ne_u32_e32 vcc, 0, v0
	ds_write_b32 v114, v34
	s_waitcnt lgkmcnt(0)
	; wave barrier
	s_and_saveexec_b64 s[4:5], vcc
	s_cbranch_execz .LBB87_353
; %bb.338:
	s_andn2_b64 vcc, exec, s[50:51]
	s_cbranch_vccnz .LBB87_340
; %bb.339:
	v_cmp_eq_u32_e32 vcc, 1, v0
	v_cndmask_b32_e32 v115, v34, v35, vcc
	v_cmp_eq_u32_e32 vcc, 2, v0
	v_cndmask_b32_e32 v115, v115, v36, vcc
	;; [unrolled: 2-line block ×19, first 2 shown]
	v_cmp_eq_u32_e32 vcc, 20, v0
	ds_read_b32 v116, v114
	v_cndmask_b32_e32 v115, v115, v54, vcc
	v_cmp_eq_u32_e32 vcc, 21, v0
	v_cndmask_b32_e32 v115, v115, v55, vcc
	v_cmp_eq_u32_e32 vcc, 22, v0
	;; [unrolled: 2-line block ×3, first 2 shown]
	v_cndmask_b32_e32 v115, v115, v57, vcc
	s_waitcnt lgkmcnt(0)
	v_mul_f32_e32 v115, v115, v116
	s_cbranch_execz .LBB87_341
	s_branch .LBB87_342
.LBB87_340:
                                        ; implicit-def: $vgpr115
.LBB87_341:
	ds_read_b32 v115, v114
.LBB87_342:
	s_and_saveexec_b64 s[6:7], s[2:3]
	s_cbranch_execz .LBB87_352
; %bb.343:
	v_add_u32_e32 v116, -2, v0
	v_add_u32_e32 v117, -1, v0
	v_cmp_lt_u32_e32 vcc, 6, v116
	v_mov_b32_e32 v116, 1
	s_and_saveexec_b64 s[0:1], vcc
	s_cbranch_execz .LBB87_347
; %bb.344:
	v_and_b32_e32 v116, -8, v117
	v_sub_u32_e32 v118, 0, v116
	s_mov_b64 s[2:3], 8
	s_movk_i32 s10, 0x64
	s_mov_b64 s[8:9], 0
.LBB87_345:                             ; =>This Inner Loop Header: Depth=1
	s_add_i32 s11, s2, -7
	v_mov_b32_e32 v121, s10
	s_set_gpr_idx_on s11, gpr_idx(SRC0)
	v_mov_b32_e32 v116, v34
	s_set_gpr_idx_off
	ds_read2_b32 v[119:120], v121 offset1:1
	s_add_i32 s11, s2, -6
	s_waitcnt lgkmcnt(0)
	v_fmac_f32_e32 v115, v116, v119
	s_set_gpr_idx_on s11, gpr_idx(SRC0)
	v_mov_b32_e32 v116, v34
	s_set_gpr_idx_off
	s_add_i32 s11, s2, -5
	v_fmac_f32_e32 v115, v116, v120
	s_set_gpr_idx_on s11, gpr_idx(SRC0)
	v_mov_b32_e32 v116, v34
	s_set_gpr_idx_off
	ds_read2_b32 v[119:120], v121 offset0:2 offset1:3
	s_add_i32 s11, s2, -4
	s_waitcnt lgkmcnt(0)
	v_fmac_f32_e32 v115, v116, v119
	s_set_gpr_idx_on s11, gpr_idx(SRC0)
	v_mov_b32_e32 v116, v34
	s_set_gpr_idx_off
	s_add_i32 s11, s2, -3
	v_fmac_f32_e32 v115, v116, v120
	s_set_gpr_idx_on s11, gpr_idx(SRC0)
	v_mov_b32_e32 v116, v34
	s_set_gpr_idx_off
	ds_read2_b32 v[119:120], v121 offset0:4 offset1:5
	;; [unrolled: 12-line block ×3, first 2 shown]
	s_waitcnt lgkmcnt(0)
	v_fmac_f32_e32 v115, v116, v119
	s_set_gpr_idx_on s2, gpr_idx(SRC0)
	v_mov_b32_e32 v116, v34
	s_set_gpr_idx_off
	s_add_u32 s2, s2, 8
	v_fmac_f32_e32 v115, v116, v120
	v_add_u32_e32 v116, s2, v118
	s_addc_u32 s3, s3, 0
	s_add_i32 s10, s10, 32
	v_cmp_eq_u32_e32 vcc, 8, v116
	s_add_i32 s11, s2, -7
	s_or_b64 s[8:9], vcc, s[8:9]
	v_mov_b32_e32 v116, s11
	s_andn2_b64 exec, exec, s[8:9]
	s_cbranch_execnz .LBB87_345
; %bb.346:
	s_or_b64 exec, exec, s[8:9]
.LBB87_347:
	s_or_b64 exec, exec, s[0:1]
	v_and_b32_e32 v58, 7, v117
	v_cmp_ne_u32_e32 vcc, 0, v58
	s_and_saveexec_b64 s[2:3], vcc
	s_cbranch_execz .LBB87_351
; %bb.348:
	v_mov_b32_e32 v59, 0x60
	v_lshl_add_u32 v59, v116, 2, v59
	v_mov_b32_e32 v60, 0
	s_mov_b64 s[8:9], 0
.LBB87_349:                             ; =>This Inner Loop Header: Depth=1
	v_cmp_eq_u32_e32 vcc, 1, v116
	v_cndmask_b32_e32 v61, v34, v35, vcc
	v_add_u32_e32 v58, -1, v58
	v_cmp_eq_u32_e32 vcc, 2, v116
	v_cndmask_b32_e32 v61, v61, v36, vcc
	v_cmp_eq_u32_e32 vcc, 0, v58
	v_cmp_eq_u32_e64 s[0:1], 3, v116
	v_cndmask_b32_e64 v61, v61, v37, s[0:1]
	s_or_b64 s[8:9], vcc, s[8:9]
	v_cmp_eq_u32_e32 vcc, 4, v116
	v_cndmask_b32_e32 v61, v61, v38, vcc
	v_cmp_eq_u32_e32 vcc, 5, v116
	v_cndmask_b32_e32 v61, v61, v39, vcc
	;; [unrolled: 2-line block ×15, first 2 shown]
	v_cmp_eq_u32_e32 vcc, 19, v116
	ds_read_b32 v62, v59
	v_cndmask_b32_e32 v61, v61, v53, vcc
	v_cmp_eq_u32_e32 vcc, 20, v116
	v_cndmask_b32_e32 v61, v61, v54, vcc
	v_cmp_eq_u32_e32 vcc, 21, v116
	;; [unrolled: 2-line block ×4, first 2 shown]
	v_add_co_u32_e64 v116, s[0:1], 1, v116
	v_cndmask_b32_e32 v61, v61, v57, vcc
	v_add_u32_e32 v59, 4, v59
	v_addc_co_u32_e64 v60, s[0:1], 0, v60, s[0:1]
	s_waitcnt lgkmcnt(0)
	v_fmac_f32_e32 v115, v61, v62
	s_andn2_b64 exec, exec, s[8:9]
	s_cbranch_execnz .LBB87_349
; %bb.350:
	s_or_b64 exec, exec, s[8:9]
.LBB87_351:
	s_or_b64 exec, exec, s[2:3]
.LBB87_352:
	s_or_b64 exec, exec, s[6:7]
	v_mov_b32_e32 v34, 0
	ds_read_b32 v34, v34
	s_waitcnt lgkmcnt(0)
	v_mul_f32_e32 v34, v115, v34
.LBB87_353:
	s_or_b64 exec, exec, s[4:5]
	s_branch .LBB87_587
.LBB87_354:
	v_cmp_eq_u32_e64 s[2:3], 0, v0
	s_waitcnt vmcnt(0) lgkmcnt(0)
	ds_write_b32 v114, v3
	s_waitcnt lgkmcnt(0)
	; wave barrier
	s_and_saveexec_b64 s[0:1], s[2:3]
	s_cbranch_execz .LBB87_360
; %bb.355:
	s_and_b64 vcc, exec, s[50:51]
	s_cbranch_vccz .LBB87_357
; %bb.356:
	v_cmp_eq_u32_e32 vcc, 1, v0
	v_cndmask_b32_e32 v3, v2, v3, vcc
	v_cmp_eq_u32_e32 vcc, 2, v0
	v_cndmask_b32_e32 v3, v3, v4, vcc
	;; [unrolled: 2-line block ×19, first 2 shown]
	v_cmp_eq_u32_e32 vcc, 20, v0
	ds_read_b32 v26, v114
	v_cndmask_b32_e32 v3, v3, v22, vcc
	v_cmp_eq_u32_e32 vcc, 21, v0
	v_cndmask_b32_e32 v3, v3, v23, vcc
	v_cmp_eq_u32_e32 vcc, 22, v0
	;; [unrolled: 2-line block ×3, first 2 shown]
	v_cndmask_b32_e32 v3, v3, v25, vcc
	s_waitcnt lgkmcnt(0)
	v_mul_f32_e32 v3, v3, v26
	s_cbranch_execz .LBB87_358
	s_branch .LBB87_359
.LBB87_357:
                                        ; implicit-def: $vgpr3
.LBB87_358:
	ds_read_b32 v3, v114
.LBB87_359:
	v_mov_b32_e32 v26, 0
	ds_read_b32 v26, v26 offset:4
	s_waitcnt lgkmcnt(0)
	v_mul_f32_e32 v3, v3, v26
.LBB87_360:
	s_or_b64 exec, exec, s[0:1]
	v_cndmask_b32_e64 v34, 0, 1, s[50:51]
	v_cmp_gt_u32_e32 vcc, 2, v0
	v_cmp_ne_u32_e64 s[0:1], 1, v34
	ds_write_b32 v114, v4
	s_waitcnt lgkmcnt(0)
	; wave barrier
	s_and_saveexec_b64 s[4:5], vcc
	s_cbranch_execz .LBB87_366
; %bb.361:
	s_and_b64 vcc, exec, s[0:1]
	s_cbranch_vccnz .LBB87_363
; %bb.362:
	v_cmp_eq_u32_e32 vcc, 1, v0
	v_cndmask_b32_e32 v26, v2, v3, vcc
	v_cmp_eq_u32_e32 vcc, 2, v0
	v_cndmask_b32_e32 v4, v26, v4, vcc
	;; [unrolled: 2-line block ×19, first 2 shown]
	v_cmp_eq_u32_e32 vcc, 20, v0
	ds_read_b32 v26, v114
	v_cndmask_b32_e32 v4, v4, v22, vcc
	v_cmp_eq_u32_e32 vcc, 21, v0
	v_cndmask_b32_e32 v4, v4, v23, vcc
	v_cmp_eq_u32_e32 vcc, 22, v0
	v_cndmask_b32_e32 v4, v4, v24, vcc
	v_cmp_eq_u32_e32 vcc, 23, v0
	v_cndmask_b32_e32 v4, v4, v25, vcc
	s_waitcnt lgkmcnt(0)
	v_mul_f32_e32 v4, v4, v26
	s_cbranch_execz .LBB87_364
	s_branch .LBB87_365
.LBB87_363:
                                        ; implicit-def: $vgpr4
.LBB87_364:
	ds_read_b32 v4, v114
.LBB87_365:
	v_mov_b32_e32 v26, 0
	ds_read2_b32 v[26:27], v26 offset0:2 offset1:25
	s_waitcnt lgkmcnt(0)
	v_fma_f32 v27, v3, v27, v4
	v_cndmask_b32_e64 v4, v4, v27, s[2:3]
	v_mul_f32_e32 v4, v4, v26
.LBB87_366:
	s_or_b64 exec, exec, s[4:5]
	v_add_u32_e32 v34, 1, v0
	v_cmp_gt_u32_e64 s[4:5], 3, v0
	ds_write_b32 v114, v5
	s_waitcnt lgkmcnt(0)
	; wave barrier
	s_and_saveexec_b64 s[6:7], s[4:5]
	s_cbranch_execz .LBB87_374
; %bb.367:
	s_and_b64 vcc, exec, s[0:1]
	s_cbranch_vccnz .LBB87_369
; %bb.368:
	v_cmp_eq_u32_e32 vcc, 1, v0
	v_cndmask_b32_e32 v26, v2, v3, vcc
	v_cmp_eq_u32_e32 vcc, 2, v0
	v_cndmask_b32_e32 v26, v26, v4, vcc
	;; [unrolled: 2-line block ×19, first 2 shown]
	v_cmp_eq_u32_e32 vcc, 20, v0
	ds_read_b32 v27, v114
	v_cndmask_b32_e32 v26, v26, v22, vcc
	v_cmp_eq_u32_e32 vcc, 21, v0
	v_cndmask_b32_e32 v26, v26, v23, vcc
	v_cmp_eq_u32_e32 vcc, 22, v0
	;; [unrolled: 2-line block ×3, first 2 shown]
	v_cndmask_b32_e32 v26, v26, v25, vcc
	s_waitcnt lgkmcnt(0)
	v_mul_f32_e32 v26, v26, v27
	s_cbranch_execz .LBB87_370
	s_branch .LBB87_371
.LBB87_369:
                                        ; implicit-def: $vgpr26
.LBB87_370:
	ds_read_b32 v26, v114
.LBB87_371:
	v_cmp_ne_u32_e32 vcc, 2, v0
	s_and_saveexec_b64 s[8:9], vcc
	s_cbranch_execz .LBB87_373
; %bb.372:
	v_cmp_eq_u32_e32 vcc, 1, v34
	v_cndmask_b32_e32 v27, v2, v3, vcc
	v_cmp_eq_u32_e32 vcc, 2, v34
	v_cndmask_b32_e32 v27, v27, v4, vcc
	v_cmp_eq_u32_e32 vcc, 3, v34
	v_cndmask_b32_e32 v5, v27, v5, vcc
	v_cmp_eq_u32_e32 vcc, 4, v34
	v_cndmask_b32_e32 v5, v5, v6, vcc
	v_cmp_eq_u32_e32 vcc, 5, v34
	v_cndmask_b32_e32 v5, v5, v7, vcc
	v_cmp_eq_u32_e32 vcc, 6, v34
	v_cndmask_b32_e32 v5, v5, v8, vcc
	v_cmp_eq_u32_e32 vcc, 7, v34
	v_cndmask_b32_e32 v5, v5, v9, vcc
	v_cmp_eq_u32_e32 vcc, 8, v34
	v_cndmask_b32_e32 v5, v5, v10, vcc
	v_cmp_eq_u32_e32 vcc, 9, v34
	v_cndmask_b32_e32 v5, v5, v11, vcc
	v_cmp_eq_u32_e32 vcc, 10, v34
	v_cndmask_b32_e32 v5, v5, v12, vcc
	v_cmp_eq_u32_e32 vcc, 11, v34
	v_cndmask_b32_e32 v5, v5, v13, vcc
	v_cmp_eq_u32_e32 vcc, 12, v34
	v_cndmask_b32_e32 v5, v5, v14, vcc
	v_cmp_eq_u32_e32 vcc, 13, v34
	v_cndmask_b32_e32 v5, v5, v15, vcc
	v_cmp_eq_u32_e32 vcc, 14, v34
	v_cndmask_b32_e32 v5, v5, v16, vcc
	v_cmp_eq_u32_e32 vcc, 15, v34
	v_cndmask_b32_e32 v5, v5, v17, vcc
	v_cmp_eq_u32_e32 vcc, 16, v34
	v_cndmask_b32_e32 v5, v5, v18, vcc
	v_cmp_eq_u32_e32 vcc, 17, v34
	v_cndmask_b32_e32 v5, v5, v19, vcc
	v_cmp_eq_u32_e32 vcc, 18, v34
	v_cndmask_b32_e32 v5, v5, v20, vcc
	v_cmp_eq_u32_e32 vcc, 19, v34
	v_cndmask_b32_e32 v5, v5, v21, vcc
	v_cmp_eq_u32_e32 vcc, 20, v34
	v_mov_b32_e32 v27, 0
	v_cndmask_b32_e32 v5, v5, v22, vcc
	v_cmp_eq_u32_e32 vcc, 21, v34
	ds_read_b32 v28, v114 offset:4
	ds_read_b32 v27, v27 offset:104
	v_cndmask_b32_e32 v5, v5, v23, vcc
	v_cmp_eq_u32_e32 vcc, 22, v34
	v_cndmask_b32_e32 v5, v5, v24, vcc
	v_cmp_eq_u32_e32 vcc, 23, v34
	v_cndmask_b32_e32 v5, v5, v25, vcc
	s_waitcnt lgkmcnt(1)
	v_fmac_f32_e32 v26, v5, v28
	s_waitcnt lgkmcnt(0)
	v_fma_f32 v5, v4, v27, v26
	v_cndmask_b32_e64 v26, v26, v5, s[2:3]
.LBB87_373:
	s_or_b64 exec, exec, s[8:9]
	v_mov_b32_e32 v5, 0
	ds_read_b32 v5, v5 offset:12
	s_waitcnt lgkmcnt(0)
	v_mul_f32_e32 v5, v26, v5
.LBB87_374:
	s_or_b64 exec, exec, s[6:7]
	v_cmp_gt_u32_e32 vcc, 4, v0
	ds_write_b32 v114, v6
	s_waitcnt lgkmcnt(0)
	; wave barrier
	s_and_saveexec_b64 s[8:9], vcc
	s_cbranch_execz .LBB87_384
; %bb.375:
	s_and_b64 vcc, exec, s[0:1]
	s_cbranch_vccnz .LBB87_377
; %bb.376:
	v_cmp_eq_u32_e32 vcc, 1, v0
	v_cndmask_b32_e32 v26, v2, v3, vcc
	v_cmp_eq_u32_e32 vcc, 2, v0
	v_cndmask_b32_e32 v26, v26, v4, vcc
	;; [unrolled: 2-line block ×19, first 2 shown]
	v_cmp_eq_u32_e32 vcc, 20, v0
	ds_read_b32 v27, v114
	v_cndmask_b32_e32 v26, v26, v22, vcc
	v_cmp_eq_u32_e32 vcc, 21, v0
	v_cndmask_b32_e32 v26, v26, v23, vcc
	v_cmp_eq_u32_e32 vcc, 22, v0
	;; [unrolled: 2-line block ×3, first 2 shown]
	v_cndmask_b32_e32 v26, v26, v25, vcc
	s_waitcnt lgkmcnt(0)
	v_mul_f32_e32 v28, v26, v27
	s_cbranch_execz .LBB87_378
	s_branch .LBB87_379
.LBB87_377:
                                        ; implicit-def: $vgpr28
.LBB87_378:
	ds_read_b32 v28, v114
.LBB87_379:
	v_cmp_ne_u32_e32 vcc, 3, v0
	s_and_saveexec_b64 s[10:11], vcc
	s_cbranch_execz .LBB87_383
; %bb.380:
	v_mov_b32_e32 v26, 0x64
	v_lshl_add_u32 v29, v0, 2, v26
	v_mov_b32_e32 v27, v1
	s_mov_b64 s[12:13], 0
	v_mov_b32_e32 v26, v0
.LBB87_381:                             ; =>This Inner Loop Header: Depth=1
	v_add_co_u32_e32 v26, vcc, 1, v26
	v_addc_co_u32_e32 v27, vcc, 0, v27, vcc
	v_cmp_eq_u32_e32 vcc, 1, v26
	v_cndmask_b32_e32 v31, v2, v3, vcc
	v_cmp_lt_u32_e32 vcc, 2, v26
	v_cmp_eq_u32_e64 s[6:7], 2, v26
	v_cndmask_b32_e64 v31, v31, v4, s[6:7]
	s_or_b64 s[12:13], vcc, s[12:13]
	v_cmp_eq_u32_e32 vcc, 3, v26
	v_cndmask_b32_e32 v31, v31, v5, vcc
	v_cmp_eq_u32_e32 vcc, 4, v26
	v_cndmask_b32_e32 v31, v31, v6, vcc
	;; [unrolled: 2-line block ×16, first 2 shown]
	v_cmp_eq_u32_e32 vcc, 19, v26
	ds_read_b32 v30, v29
	v_cndmask_b32_e32 v31, v31, v21, vcc
	v_cmp_eq_u32_e32 vcc, 20, v26
	v_cndmask_b32_e32 v31, v31, v22, vcc
	v_cmp_eq_u32_e32 vcc, 21, v26
	;; [unrolled: 2-line block ×4, first 2 shown]
	v_cndmask_b32_e32 v31, v31, v25, vcc
	v_add_u32_e32 v29, 4, v29
	s_waitcnt lgkmcnt(0)
	v_fmac_f32_e32 v28, v31, v30
	s_andn2_b64 exec, exec, s[12:13]
	s_cbranch_execnz .LBB87_381
; %bb.382:
	s_or_b64 exec, exec, s[12:13]
.LBB87_383:
	s_or_b64 exec, exec, s[10:11]
	v_mov_b32_e32 v6, 0
	ds_read_b32 v6, v6 offset:16
	s_waitcnt lgkmcnt(0)
	v_mul_f32_e32 v6, v28, v6
.LBB87_384:
	s_or_b64 exec, exec, s[8:9]
	v_cmp_gt_u32_e64 s[6:7], 5, v0
	ds_write_b32 v114, v7
	s_waitcnt lgkmcnt(0)
	; wave barrier
	s_and_saveexec_b64 s[10:11], s[6:7]
	s_cbranch_execz .LBB87_394
; %bb.385:
	s_and_b64 vcc, exec, s[0:1]
	s_cbranch_vccnz .LBB87_387
; %bb.386:
	v_cmp_eq_u32_e32 vcc, 1, v0
	v_cndmask_b32_e32 v26, v2, v3, vcc
	v_cmp_eq_u32_e32 vcc, 2, v0
	v_cndmask_b32_e32 v26, v26, v4, vcc
	;; [unrolled: 2-line block ×19, first 2 shown]
	v_cmp_eq_u32_e32 vcc, 20, v0
	ds_read_b32 v27, v114
	v_cndmask_b32_e32 v26, v26, v22, vcc
	v_cmp_eq_u32_e32 vcc, 21, v0
	v_cndmask_b32_e32 v26, v26, v23, vcc
	v_cmp_eq_u32_e32 vcc, 22, v0
	;; [unrolled: 2-line block ×3, first 2 shown]
	v_cndmask_b32_e32 v26, v26, v25, vcc
	s_waitcnt lgkmcnt(0)
	v_mul_f32_e32 v28, v26, v27
	s_cbranch_execz .LBB87_388
	s_branch .LBB87_389
.LBB87_387:
                                        ; implicit-def: $vgpr28
.LBB87_388:
	ds_read_b32 v28, v114
.LBB87_389:
	v_cmp_ne_u32_e32 vcc, 4, v0
	s_and_saveexec_b64 s[12:13], vcc
	s_cbranch_execz .LBB87_393
; %bb.390:
	v_mov_b32_e32 v26, 0x64
	v_lshl_add_u32 v29, v0, 2, v26
	v_mov_b32_e32 v27, v1
	s_mov_b64 s[14:15], 0
	v_mov_b32_e32 v26, v0
.LBB87_391:                             ; =>This Inner Loop Header: Depth=1
	v_add_co_u32_e32 v26, vcc, 1, v26
	v_addc_co_u32_e32 v27, vcc, 0, v27, vcc
	v_cmp_eq_u32_e32 vcc, 1, v26
	v_cndmask_b32_e32 v31, v2, v3, vcc
	v_cmp_lt_u32_e32 vcc, 3, v26
	v_cmp_eq_u32_e64 s[8:9], 2, v26
	v_cndmask_b32_e64 v31, v31, v4, s[8:9]
	s_or_b64 s[14:15], vcc, s[14:15]
	v_cmp_eq_u32_e32 vcc, 3, v26
	v_cndmask_b32_e32 v31, v31, v5, vcc
	v_cmp_eq_u32_e32 vcc, 4, v26
	v_cndmask_b32_e32 v31, v31, v6, vcc
	;; [unrolled: 2-line block ×16, first 2 shown]
	v_cmp_eq_u32_e32 vcc, 19, v26
	ds_read_b32 v30, v29
	v_cndmask_b32_e32 v31, v31, v21, vcc
	v_cmp_eq_u32_e32 vcc, 20, v26
	v_cndmask_b32_e32 v31, v31, v22, vcc
	v_cmp_eq_u32_e32 vcc, 21, v26
	;; [unrolled: 2-line block ×4, first 2 shown]
	v_cndmask_b32_e32 v31, v31, v25, vcc
	v_add_u32_e32 v29, 4, v29
	s_waitcnt lgkmcnt(0)
	v_fmac_f32_e32 v28, v31, v30
	s_andn2_b64 exec, exec, s[14:15]
	s_cbranch_execnz .LBB87_391
; %bb.392:
	s_or_b64 exec, exec, s[14:15]
.LBB87_393:
	s_or_b64 exec, exec, s[12:13]
	v_mov_b32_e32 v7, 0
	ds_read_b32 v7, v7 offset:20
	s_waitcnt lgkmcnt(0)
	v_mul_f32_e32 v7, v28, v7
.LBB87_394:
	s_or_b64 exec, exec, s[10:11]
	v_cmp_gt_u32_e32 vcc, 6, v0
	ds_write_b32 v114, v8
	s_waitcnt lgkmcnt(0)
	; wave barrier
	s_and_saveexec_b64 s[10:11], vcc
	s_cbranch_execz .LBB87_404
; %bb.395:
	s_and_b64 vcc, exec, s[0:1]
	s_cbranch_vccnz .LBB87_397
; %bb.396:
	v_cmp_eq_u32_e32 vcc, 1, v0
	v_cndmask_b32_e32 v26, v2, v3, vcc
	v_cmp_eq_u32_e32 vcc, 2, v0
	v_cndmask_b32_e32 v26, v26, v4, vcc
	;; [unrolled: 2-line block ×19, first 2 shown]
	v_cmp_eq_u32_e32 vcc, 20, v0
	ds_read_b32 v27, v114
	v_cndmask_b32_e32 v26, v26, v22, vcc
	v_cmp_eq_u32_e32 vcc, 21, v0
	v_cndmask_b32_e32 v26, v26, v23, vcc
	v_cmp_eq_u32_e32 vcc, 22, v0
	v_cndmask_b32_e32 v26, v26, v24, vcc
	v_cmp_eq_u32_e32 vcc, 23, v0
	v_cndmask_b32_e32 v26, v26, v25, vcc
	s_waitcnt lgkmcnt(0)
	v_mul_f32_e32 v28, v26, v27
	s_cbranch_execz .LBB87_398
	s_branch .LBB87_399
.LBB87_397:
                                        ; implicit-def: $vgpr28
.LBB87_398:
	ds_read_b32 v28, v114
.LBB87_399:
	v_cmp_ne_u32_e32 vcc, 5, v0
	s_and_saveexec_b64 s[12:13], vcc
	s_cbranch_execz .LBB87_403
; %bb.400:
	v_mov_b32_e32 v26, 0x64
	v_lshl_add_u32 v29, v0, 2, v26
	v_mov_b32_e32 v27, v1
	s_mov_b64 s[14:15], 0
	v_mov_b32_e32 v26, v0
.LBB87_401:                             ; =>This Inner Loop Header: Depth=1
	v_add_co_u32_e32 v26, vcc, 1, v26
	v_addc_co_u32_e32 v27, vcc, 0, v27, vcc
	v_cmp_eq_u32_e32 vcc, 1, v26
	v_cndmask_b32_e32 v31, v2, v3, vcc
	v_cmp_lt_u32_e32 vcc, 4, v26
	v_cmp_eq_u32_e64 s[8:9], 2, v26
	v_cndmask_b32_e64 v31, v31, v4, s[8:9]
	s_or_b64 s[14:15], vcc, s[14:15]
	v_cmp_eq_u32_e32 vcc, 3, v26
	v_cndmask_b32_e32 v31, v31, v5, vcc
	v_cmp_eq_u32_e32 vcc, 4, v26
	v_cndmask_b32_e32 v31, v31, v6, vcc
	v_cmp_eq_u32_e32 vcc, 5, v26
	v_cndmask_b32_e32 v31, v31, v7, vcc
	v_cmp_eq_u32_e32 vcc, 6, v26
	v_cndmask_b32_e32 v31, v31, v8, vcc
	v_cmp_eq_u32_e32 vcc, 7, v26
	v_cndmask_b32_e32 v31, v31, v9, vcc
	v_cmp_eq_u32_e32 vcc, 8, v26
	v_cndmask_b32_e32 v31, v31, v10, vcc
	v_cmp_eq_u32_e32 vcc, 9, v26
	v_cndmask_b32_e32 v31, v31, v11, vcc
	v_cmp_eq_u32_e32 vcc, 10, v26
	v_cndmask_b32_e32 v31, v31, v12, vcc
	v_cmp_eq_u32_e32 vcc, 11, v26
	v_cndmask_b32_e32 v31, v31, v13, vcc
	v_cmp_eq_u32_e32 vcc, 12, v26
	v_cndmask_b32_e32 v31, v31, v14, vcc
	v_cmp_eq_u32_e32 vcc, 13, v26
	v_cndmask_b32_e32 v31, v31, v15, vcc
	v_cmp_eq_u32_e32 vcc, 14, v26
	v_cndmask_b32_e32 v31, v31, v16, vcc
	v_cmp_eq_u32_e32 vcc, 15, v26
	v_cndmask_b32_e32 v31, v31, v17, vcc
	v_cmp_eq_u32_e32 vcc, 16, v26
	v_cndmask_b32_e32 v31, v31, v18, vcc
	v_cmp_eq_u32_e32 vcc, 17, v26
	v_cndmask_b32_e32 v31, v31, v19, vcc
	v_cmp_eq_u32_e32 vcc, 18, v26
	v_cndmask_b32_e32 v31, v31, v20, vcc
	v_cmp_eq_u32_e32 vcc, 19, v26
	ds_read_b32 v30, v29
	v_cndmask_b32_e32 v31, v31, v21, vcc
	v_cmp_eq_u32_e32 vcc, 20, v26
	v_cndmask_b32_e32 v31, v31, v22, vcc
	v_cmp_eq_u32_e32 vcc, 21, v26
	;; [unrolled: 2-line block ×4, first 2 shown]
	v_cndmask_b32_e32 v31, v31, v25, vcc
	v_add_u32_e32 v29, 4, v29
	s_waitcnt lgkmcnt(0)
	v_fmac_f32_e32 v28, v31, v30
	s_andn2_b64 exec, exec, s[14:15]
	s_cbranch_execnz .LBB87_401
; %bb.402:
	s_or_b64 exec, exec, s[14:15]
.LBB87_403:
	s_or_b64 exec, exec, s[12:13]
	v_mov_b32_e32 v8, 0
	ds_read_b32 v8, v8 offset:24
	s_waitcnt lgkmcnt(0)
	v_mul_f32_e32 v8, v28, v8
.LBB87_404:
	s_or_b64 exec, exec, s[10:11]
	v_cmp_gt_u32_e64 s[8:9], 7, v0
	ds_write_b32 v114, v9
	s_waitcnt lgkmcnt(0)
	; wave barrier
	s_and_saveexec_b64 s[12:13], s[8:9]
	s_cbranch_execz .LBB87_414
; %bb.405:
	s_and_b64 vcc, exec, s[0:1]
	s_cbranch_vccnz .LBB87_407
; %bb.406:
	v_cmp_eq_u32_e32 vcc, 1, v0
	v_cndmask_b32_e32 v26, v2, v3, vcc
	v_cmp_eq_u32_e32 vcc, 2, v0
	v_cndmask_b32_e32 v26, v26, v4, vcc
	;; [unrolled: 2-line block ×19, first 2 shown]
	v_cmp_eq_u32_e32 vcc, 20, v0
	ds_read_b32 v27, v114
	v_cndmask_b32_e32 v26, v26, v22, vcc
	v_cmp_eq_u32_e32 vcc, 21, v0
	v_cndmask_b32_e32 v26, v26, v23, vcc
	v_cmp_eq_u32_e32 vcc, 22, v0
	v_cndmask_b32_e32 v26, v26, v24, vcc
	v_cmp_eq_u32_e32 vcc, 23, v0
	v_cndmask_b32_e32 v26, v26, v25, vcc
	s_waitcnt lgkmcnt(0)
	v_mul_f32_e32 v28, v26, v27
	s_cbranch_execz .LBB87_408
	s_branch .LBB87_409
.LBB87_407:
                                        ; implicit-def: $vgpr28
.LBB87_408:
	ds_read_b32 v28, v114
.LBB87_409:
	v_cmp_ne_u32_e32 vcc, 6, v0
	s_and_saveexec_b64 s[14:15], vcc
	s_cbranch_execz .LBB87_413
; %bb.410:
	v_mov_b32_e32 v26, 0x64
	v_lshl_add_u32 v29, v0, 2, v26
	v_mov_b32_e32 v27, v1
	s_mov_b64 s[16:17], 0
	v_mov_b32_e32 v26, v0
.LBB87_411:                             ; =>This Inner Loop Header: Depth=1
	v_add_co_u32_e32 v26, vcc, 1, v26
	v_addc_co_u32_e32 v27, vcc, 0, v27, vcc
	v_cmp_eq_u32_e32 vcc, 1, v26
	v_cndmask_b32_e32 v31, v2, v3, vcc
	v_cmp_lt_u32_e32 vcc, 5, v26
	v_cmp_eq_u32_e64 s[10:11], 2, v26
	v_cndmask_b32_e64 v31, v31, v4, s[10:11]
	s_or_b64 s[16:17], vcc, s[16:17]
	v_cmp_eq_u32_e32 vcc, 3, v26
	v_cndmask_b32_e32 v31, v31, v5, vcc
	v_cmp_eq_u32_e32 vcc, 4, v26
	v_cndmask_b32_e32 v31, v31, v6, vcc
	;; [unrolled: 2-line block ×16, first 2 shown]
	v_cmp_eq_u32_e32 vcc, 19, v26
	ds_read_b32 v30, v29
	v_cndmask_b32_e32 v31, v31, v21, vcc
	v_cmp_eq_u32_e32 vcc, 20, v26
	v_cndmask_b32_e32 v31, v31, v22, vcc
	v_cmp_eq_u32_e32 vcc, 21, v26
	;; [unrolled: 2-line block ×4, first 2 shown]
	v_cndmask_b32_e32 v31, v31, v25, vcc
	v_add_u32_e32 v29, 4, v29
	s_waitcnt lgkmcnt(0)
	v_fmac_f32_e32 v28, v31, v30
	s_andn2_b64 exec, exec, s[16:17]
	s_cbranch_execnz .LBB87_411
; %bb.412:
	s_or_b64 exec, exec, s[16:17]
.LBB87_413:
	s_or_b64 exec, exec, s[14:15]
	v_mov_b32_e32 v9, 0
	ds_read_b32 v9, v9 offset:28
	s_waitcnt lgkmcnt(0)
	v_mul_f32_e32 v9, v28, v9
.LBB87_414:
	s_or_b64 exec, exec, s[12:13]
	v_cmp_gt_u32_e32 vcc, 8, v0
	ds_write_b32 v114, v10
	s_waitcnt lgkmcnt(0)
	; wave barrier
	s_and_saveexec_b64 s[12:13], vcc
	s_cbranch_execz .LBB87_424
; %bb.415:
	s_and_b64 vcc, exec, s[0:1]
	s_cbranch_vccnz .LBB87_417
; %bb.416:
	v_cmp_eq_u32_e32 vcc, 1, v0
	v_cndmask_b32_e32 v26, v2, v3, vcc
	v_cmp_eq_u32_e32 vcc, 2, v0
	v_cndmask_b32_e32 v26, v26, v4, vcc
	v_cmp_eq_u32_e32 vcc, 3, v0
	v_cndmask_b32_e32 v26, v26, v5, vcc
	v_cmp_eq_u32_e32 vcc, 4, v0
	v_cndmask_b32_e32 v26, v26, v6, vcc
	v_cmp_eq_u32_e32 vcc, 5, v0
	v_cndmask_b32_e32 v26, v26, v7, vcc
	v_cmp_eq_u32_e32 vcc, 6, v0
	v_cndmask_b32_e32 v26, v26, v8, vcc
	v_cmp_eq_u32_e32 vcc, 7, v0
	v_cndmask_b32_e32 v26, v26, v9, vcc
	v_cmp_eq_u32_e32 vcc, 8, v0
	v_cndmask_b32_e32 v26, v26, v10, vcc
	v_cmp_eq_u32_e32 vcc, 9, v0
	v_cndmask_b32_e32 v26, v26, v11, vcc
	v_cmp_eq_u32_e32 vcc, 10, v0
	v_cndmask_b32_e32 v26, v26, v12, vcc
	v_cmp_eq_u32_e32 vcc, 11, v0
	v_cndmask_b32_e32 v26, v26, v13, vcc
	v_cmp_eq_u32_e32 vcc, 12, v0
	v_cndmask_b32_e32 v26, v26, v14, vcc
	v_cmp_eq_u32_e32 vcc, 13, v0
	v_cndmask_b32_e32 v26, v26, v15, vcc
	v_cmp_eq_u32_e32 vcc, 14, v0
	v_cndmask_b32_e32 v26, v26, v16, vcc
	v_cmp_eq_u32_e32 vcc, 15, v0
	v_cndmask_b32_e32 v26, v26, v17, vcc
	v_cmp_eq_u32_e32 vcc, 16, v0
	v_cndmask_b32_e32 v26, v26, v18, vcc
	v_cmp_eq_u32_e32 vcc, 17, v0
	v_cndmask_b32_e32 v26, v26, v19, vcc
	v_cmp_eq_u32_e32 vcc, 18, v0
	v_cndmask_b32_e32 v26, v26, v20, vcc
	v_cmp_eq_u32_e32 vcc, 19, v0
	v_cndmask_b32_e32 v26, v26, v21, vcc
	v_cmp_eq_u32_e32 vcc, 20, v0
	ds_read_b32 v27, v114
	v_cndmask_b32_e32 v26, v26, v22, vcc
	v_cmp_eq_u32_e32 vcc, 21, v0
	v_cndmask_b32_e32 v26, v26, v23, vcc
	v_cmp_eq_u32_e32 vcc, 22, v0
	v_cndmask_b32_e32 v26, v26, v24, vcc
	v_cmp_eq_u32_e32 vcc, 23, v0
	v_cndmask_b32_e32 v26, v26, v25, vcc
	s_waitcnt lgkmcnt(0)
	v_mul_f32_e32 v28, v26, v27
	s_cbranch_execz .LBB87_418
	s_branch .LBB87_419
.LBB87_417:
                                        ; implicit-def: $vgpr28
.LBB87_418:
	ds_read_b32 v28, v114
.LBB87_419:
	v_cmp_ne_u32_e32 vcc, 7, v0
	s_and_saveexec_b64 s[14:15], vcc
	s_cbranch_execz .LBB87_423
; %bb.420:
	v_mov_b32_e32 v26, 0x64
	v_lshl_add_u32 v29, v0, 2, v26
	v_mov_b32_e32 v27, v1
	s_mov_b64 s[16:17], 0
	v_mov_b32_e32 v26, v0
.LBB87_421:                             ; =>This Inner Loop Header: Depth=1
	v_add_co_u32_e32 v26, vcc, 1, v26
	v_addc_co_u32_e32 v27, vcc, 0, v27, vcc
	v_cmp_eq_u32_e32 vcc, 1, v26
	v_cndmask_b32_e32 v31, v2, v3, vcc
	v_cmp_lt_u32_e32 vcc, 6, v26
	v_cmp_eq_u32_e64 s[10:11], 2, v26
	v_cndmask_b32_e64 v31, v31, v4, s[10:11]
	s_or_b64 s[16:17], vcc, s[16:17]
	v_cmp_eq_u32_e32 vcc, 3, v26
	v_cndmask_b32_e32 v31, v31, v5, vcc
	v_cmp_eq_u32_e32 vcc, 4, v26
	v_cndmask_b32_e32 v31, v31, v6, vcc
	;; [unrolled: 2-line block ×16, first 2 shown]
	v_cmp_eq_u32_e32 vcc, 19, v26
	ds_read_b32 v30, v29
	v_cndmask_b32_e32 v31, v31, v21, vcc
	v_cmp_eq_u32_e32 vcc, 20, v26
	v_cndmask_b32_e32 v31, v31, v22, vcc
	v_cmp_eq_u32_e32 vcc, 21, v26
	;; [unrolled: 2-line block ×4, first 2 shown]
	v_cndmask_b32_e32 v31, v31, v25, vcc
	v_add_u32_e32 v29, 4, v29
	s_waitcnt lgkmcnt(0)
	v_fmac_f32_e32 v28, v31, v30
	s_andn2_b64 exec, exec, s[16:17]
	s_cbranch_execnz .LBB87_421
; %bb.422:
	s_or_b64 exec, exec, s[16:17]
.LBB87_423:
	s_or_b64 exec, exec, s[14:15]
	v_mov_b32_e32 v10, 0
	ds_read_b32 v10, v10 offset:32
	s_waitcnt lgkmcnt(0)
	v_mul_f32_e32 v10, v28, v10
.LBB87_424:
	s_or_b64 exec, exec, s[12:13]
	v_cmp_gt_u32_e32 vcc, 9, v0
	ds_write_b32 v114, v11
	s_waitcnt lgkmcnt(0)
	; wave barrier
	s_and_saveexec_b64 s[10:11], vcc
	s_cbranch_execz .LBB87_446
; %bb.425:
	s_and_b64 vcc, exec, s[0:1]
	s_cbranch_vccnz .LBB87_427
; %bb.426:
	v_cmp_eq_u32_e32 vcc, 1, v0
	v_cndmask_b32_e32 v26, v2, v3, vcc
	v_cmp_eq_u32_e32 vcc, 2, v0
	v_cndmask_b32_e32 v26, v26, v4, vcc
	;; [unrolled: 2-line block ×19, first 2 shown]
	v_cmp_eq_u32_e32 vcc, 20, v0
	ds_read_b32 v27, v114
	v_cndmask_b32_e32 v26, v26, v22, vcc
	v_cmp_eq_u32_e32 vcc, 21, v0
	v_cndmask_b32_e32 v26, v26, v23, vcc
	v_cmp_eq_u32_e32 vcc, 22, v0
	;; [unrolled: 2-line block ×3, first 2 shown]
	v_cndmask_b32_e32 v26, v26, v25, vcc
	s_waitcnt lgkmcnt(0)
	v_mul_f32_e32 v26, v26, v27
	s_cbranch_execz .LBB87_428
	s_branch .LBB87_429
.LBB87_427:
                                        ; implicit-def: $vgpr26
.LBB87_428:
	ds_read_b32 v26, v114
.LBB87_429:
	v_cmp_ne_u32_e32 vcc, 8, v0
	s_and_saveexec_b64 s[12:13], vcc
	s_cbranch_execz .LBB87_445
; %bb.430:
	v_cmp_eq_u32_e32 vcc, 1, v34
	v_cndmask_b32_e32 v27, v2, v3, vcc
	v_cmp_eq_u32_e32 vcc, 2, v34
	v_cndmask_b32_e32 v27, v27, v4, vcc
	;; [unrolled: 2-line block ×19, first 2 shown]
	v_cmp_eq_u32_e32 vcc, 20, v34
	ds_read_b32 v28, v114 offset:4
	v_cndmask_b32_e32 v27, v27, v22, vcc
	v_cmp_eq_u32_e32 vcc, 21, v34
	v_cndmask_b32_e32 v27, v27, v23, vcc
	v_cmp_eq_u32_e32 vcc, 22, v34
	v_cndmask_b32_e32 v27, v27, v24, vcc
	v_cmp_eq_u32_e32 vcc, 23, v34
	v_cndmask_b32_e32 v27, v27, v25, vcc
	s_waitcnt lgkmcnt(0)
	v_fmac_f32_e32 v26, v27, v28
	s_and_saveexec_b64 s[14:15], s[8:9]
	s_cbranch_execz .LBB87_444
; %bb.431:
	v_add_u32_e32 v27, 2, v0
	v_cmp_eq_u32_e32 vcc, 1, v27
	v_cndmask_b32_e32 v28, v2, v3, vcc
	v_cmp_eq_u32_e32 vcc, 2, v27
	v_cndmask_b32_e32 v28, v28, v4, vcc
	;; [unrolled: 2-line block ×19, first 2 shown]
	v_cmp_eq_u32_e32 vcc, 20, v27
	ds_read_b32 v29, v114 offset:8
	v_cndmask_b32_e32 v28, v28, v22, vcc
	v_cmp_eq_u32_e32 vcc, 21, v27
	v_cndmask_b32_e32 v28, v28, v23, vcc
	v_cmp_eq_u32_e32 vcc, 22, v27
	;; [unrolled: 2-line block ×3, first 2 shown]
	v_cndmask_b32_e32 v27, v28, v25, vcc
	s_waitcnt lgkmcnt(0)
	v_fmac_f32_e32 v26, v27, v29
	v_cmp_ne_u32_e32 vcc, 6, v0
	s_and_saveexec_b64 s[8:9], vcc
	s_cbranch_execz .LBB87_443
; %bb.432:
	v_add_u32_e32 v27, 3, v0
	v_cmp_eq_u32_e32 vcc, 1, v27
	v_cndmask_b32_e32 v28, v2, v3, vcc
	v_cmp_eq_u32_e32 vcc, 2, v27
	v_cndmask_b32_e32 v28, v28, v4, vcc
	;; [unrolled: 2-line block ×19, first 2 shown]
	v_cmp_eq_u32_e32 vcc, 20, v27
	ds_read_b32 v29, v114 offset:12
	v_cndmask_b32_e32 v28, v28, v22, vcc
	v_cmp_eq_u32_e32 vcc, 21, v27
	v_cndmask_b32_e32 v28, v28, v23, vcc
	v_cmp_eq_u32_e32 vcc, 22, v27
	v_cndmask_b32_e32 v28, v28, v24, vcc
	v_cmp_eq_u32_e32 vcc, 23, v27
	v_cndmask_b32_e32 v27, v28, v25, vcc
	s_waitcnt lgkmcnt(0)
	v_fmac_f32_e32 v26, v27, v29
	s_and_saveexec_b64 s[16:17], s[6:7]
	s_cbranch_execz .LBB87_442
; %bb.433:
	v_add_u32_e32 v27, 4, v0
	v_cmp_eq_u32_e32 vcc, 1, v27
	v_cndmask_b32_e32 v28, v2, v3, vcc
	v_cmp_eq_u32_e32 vcc, 2, v27
	v_cndmask_b32_e32 v28, v28, v4, vcc
	v_cmp_eq_u32_e32 vcc, 3, v27
	v_cndmask_b32_e32 v28, v28, v5, vcc
	v_cmp_eq_u32_e32 vcc, 4, v27
	v_cndmask_b32_e32 v28, v28, v6, vcc
	v_cmp_eq_u32_e32 vcc, 5, v27
	v_cndmask_b32_e32 v28, v28, v7, vcc
	v_cmp_eq_u32_e32 vcc, 6, v27
	v_cndmask_b32_e32 v28, v28, v8, vcc
	v_cmp_eq_u32_e32 vcc, 7, v27
	v_cndmask_b32_e32 v28, v28, v9, vcc
	v_cmp_eq_u32_e32 vcc, 8, v27
	v_cndmask_b32_e32 v28, v28, v10, vcc
	v_cmp_eq_u32_e32 vcc, 9, v27
	v_cndmask_b32_e32 v28, v28, v11, vcc
	v_cmp_eq_u32_e32 vcc, 10, v27
	v_cndmask_b32_e32 v28, v28, v12, vcc
	v_cmp_eq_u32_e32 vcc, 11, v27
	v_cndmask_b32_e32 v28, v28, v13, vcc
	v_cmp_eq_u32_e32 vcc, 12, v27
	v_cndmask_b32_e32 v28, v28, v14, vcc
	v_cmp_eq_u32_e32 vcc, 13, v27
	v_cndmask_b32_e32 v28, v28, v15, vcc
	v_cmp_eq_u32_e32 vcc, 14, v27
	v_cndmask_b32_e32 v28, v28, v16, vcc
	v_cmp_eq_u32_e32 vcc, 15, v27
	v_cndmask_b32_e32 v28, v28, v17, vcc
	v_cmp_eq_u32_e32 vcc, 16, v27
	v_cndmask_b32_e32 v28, v28, v18, vcc
	v_cmp_eq_u32_e32 vcc, 17, v27
	v_cndmask_b32_e32 v28, v28, v19, vcc
	v_cmp_eq_u32_e32 vcc, 18, v27
	v_cndmask_b32_e32 v28, v28, v20, vcc
	v_cmp_eq_u32_e32 vcc, 19, v27
	v_cndmask_b32_e32 v28, v28, v21, vcc
	v_cmp_eq_u32_e32 vcc, 20, v27
	ds_read_b32 v29, v114 offset:16
	v_cndmask_b32_e32 v28, v28, v22, vcc
	v_cmp_eq_u32_e32 vcc, 21, v27
	v_cndmask_b32_e32 v28, v28, v23, vcc
	v_cmp_eq_u32_e32 vcc, 22, v27
	;; [unrolled: 2-line block ×3, first 2 shown]
	v_cndmask_b32_e32 v27, v28, v25, vcc
	s_waitcnt lgkmcnt(0)
	v_fmac_f32_e32 v26, v27, v29
	v_cmp_ne_u32_e32 vcc, 4, v0
	s_and_saveexec_b64 s[6:7], vcc
	s_cbranch_execz .LBB87_441
; %bb.434:
	v_add_u32_e32 v27, 5, v0
	v_cmp_eq_u32_e32 vcc, 1, v27
	v_cndmask_b32_e32 v28, v2, v3, vcc
	v_cmp_eq_u32_e32 vcc, 2, v27
	v_cndmask_b32_e32 v28, v28, v4, vcc
	v_cmp_eq_u32_e32 vcc, 3, v27
	v_cndmask_b32_e32 v28, v28, v5, vcc
	v_cmp_eq_u32_e32 vcc, 4, v27
	v_cndmask_b32_e32 v28, v28, v6, vcc
	v_cmp_eq_u32_e32 vcc, 5, v27
	v_cndmask_b32_e32 v28, v28, v7, vcc
	v_cmp_eq_u32_e32 vcc, 6, v27
	v_cndmask_b32_e32 v28, v28, v8, vcc
	v_cmp_eq_u32_e32 vcc, 7, v27
	v_cndmask_b32_e32 v28, v28, v9, vcc
	v_cmp_eq_u32_e32 vcc, 8, v27
	v_cndmask_b32_e32 v28, v28, v10, vcc
	v_cmp_eq_u32_e32 vcc, 9, v27
	v_cndmask_b32_e32 v28, v28, v11, vcc
	v_cmp_eq_u32_e32 vcc, 10, v27
	v_cndmask_b32_e32 v28, v28, v12, vcc
	v_cmp_eq_u32_e32 vcc, 11, v27
	v_cndmask_b32_e32 v28, v28, v13, vcc
	v_cmp_eq_u32_e32 vcc, 12, v27
	v_cndmask_b32_e32 v28, v28, v14, vcc
	v_cmp_eq_u32_e32 vcc, 13, v27
	v_cndmask_b32_e32 v28, v28, v15, vcc
	v_cmp_eq_u32_e32 vcc, 14, v27
	v_cndmask_b32_e32 v28, v28, v16, vcc
	v_cmp_eq_u32_e32 vcc, 15, v27
	v_cndmask_b32_e32 v28, v28, v17, vcc
	v_cmp_eq_u32_e32 vcc, 16, v27
	v_cndmask_b32_e32 v28, v28, v18, vcc
	v_cmp_eq_u32_e32 vcc, 17, v27
	v_cndmask_b32_e32 v28, v28, v19, vcc
	v_cmp_eq_u32_e32 vcc, 18, v27
	v_cndmask_b32_e32 v28, v28, v20, vcc
	v_cmp_eq_u32_e32 vcc, 19, v27
	v_cndmask_b32_e32 v28, v28, v21, vcc
	v_cmp_eq_u32_e32 vcc, 20, v27
	ds_read_b32 v29, v114 offset:20
	v_cndmask_b32_e32 v28, v28, v22, vcc
	v_cmp_eq_u32_e32 vcc, 21, v27
	v_cndmask_b32_e32 v28, v28, v23, vcc
	v_cmp_eq_u32_e32 vcc, 22, v27
	;; [unrolled: 2-line block ×3, first 2 shown]
	v_cndmask_b32_e32 v27, v28, v25, vcc
	s_waitcnt lgkmcnt(0)
	v_fmac_f32_e32 v26, v27, v29
	s_and_saveexec_b64 s[18:19], s[4:5]
	s_cbranch_execz .LBB87_440
; %bb.435:
	v_add_u32_e32 v27, 6, v0
	v_cmp_eq_u32_e32 vcc, 1, v27
	v_cndmask_b32_e32 v28, v2, v3, vcc
	v_cmp_eq_u32_e32 vcc, 2, v27
	v_cndmask_b32_e32 v28, v28, v4, vcc
	;; [unrolled: 2-line block ×19, first 2 shown]
	v_cmp_eq_u32_e32 vcc, 20, v27
	ds_read_b32 v29, v114 offset:24
	v_cndmask_b32_e32 v28, v28, v22, vcc
	v_cmp_eq_u32_e32 vcc, 21, v27
	v_cndmask_b32_e32 v28, v28, v23, vcc
	v_cmp_eq_u32_e32 vcc, 22, v27
	;; [unrolled: 2-line block ×3, first 2 shown]
	v_cndmask_b32_e32 v27, v28, v25, vcc
	s_waitcnt lgkmcnt(0)
	v_fmac_f32_e32 v26, v27, v29
	v_cmp_ne_u32_e32 vcc, 2, v0
	s_and_saveexec_b64 s[4:5], vcc
	s_cbranch_execz .LBB87_439
; %bb.436:
	v_add_u32_e32 v27, 7, v0
	v_cmp_eq_u32_e32 vcc, 1, v27
	v_cndmask_b32_e32 v28, v2, v3, vcc
	v_cmp_eq_u32_e32 vcc, 2, v27
	v_cndmask_b32_e32 v28, v28, v4, vcc
	;; [unrolled: 2-line block ×19, first 2 shown]
	v_cmp_eq_u32_e32 vcc, 20, v27
	ds_read_b32 v28, v114 offset:28
	v_cndmask_b32_e32 v11, v11, v22, vcc
	v_cmp_eq_u32_e32 vcc, 21, v27
	v_cndmask_b32_e32 v11, v11, v23, vcc
	v_cmp_eq_u32_e32 vcc, 22, v27
	;; [unrolled: 2-line block ×3, first 2 shown]
	v_cndmask_b32_e32 v11, v11, v25, vcc
	s_waitcnt lgkmcnt(0)
	v_fmac_f32_e32 v26, v11, v28
	s_and_saveexec_b64 s[20:21], s[2:3]
	s_cbranch_execz .LBB87_438
; %bb.437:
	ds_read_b32 v11, v114 offset:32
	s_waitcnt lgkmcnt(0)
	v_fmac_f32_e32 v26, v10, v11
.LBB87_438:
	s_or_b64 exec, exec, s[20:21]
.LBB87_439:
	s_or_b64 exec, exec, s[4:5]
.LBB87_440:
	s_or_b64 exec, exec, s[18:19]
.LBB87_441:
	s_or_b64 exec, exec, s[6:7]
.LBB87_442:
	s_or_b64 exec, exec, s[16:17]
.LBB87_443:
	s_or_b64 exec, exec, s[8:9]
.LBB87_444:
	s_or_b64 exec, exec, s[14:15]
.LBB87_445:
	s_or_b64 exec, exec, s[12:13]
	v_mov_b32_e32 v11, 0
	ds_read_b32 v11, v11 offset:36
	s_waitcnt lgkmcnt(0)
	v_mul_f32_e32 v11, v26, v11
.LBB87_446:
	s_or_b64 exec, exec, s[10:11]
	v_cmp_gt_u32_e32 vcc, 10, v0
	ds_write_b32 v114, v12
	s_waitcnt lgkmcnt(0)
	; wave barrier
	s_and_saveexec_b64 s[4:5], vcc
	s_cbranch_execz .LBB87_456
; %bb.447:
	s_and_b64 vcc, exec, s[0:1]
	s_cbranch_vccnz .LBB87_449
; %bb.448:
	v_cmp_eq_u32_e32 vcc, 1, v0
	v_cndmask_b32_e32 v26, v2, v3, vcc
	v_cmp_eq_u32_e32 vcc, 2, v0
	v_cndmask_b32_e32 v26, v26, v4, vcc
	;; [unrolled: 2-line block ×19, first 2 shown]
	v_cmp_eq_u32_e32 vcc, 20, v0
	ds_read_b32 v27, v114
	v_cndmask_b32_e32 v26, v26, v22, vcc
	v_cmp_eq_u32_e32 vcc, 21, v0
	v_cndmask_b32_e32 v26, v26, v23, vcc
	v_cmp_eq_u32_e32 vcc, 22, v0
	;; [unrolled: 2-line block ×3, first 2 shown]
	v_cndmask_b32_e32 v26, v26, v25, vcc
	s_waitcnt lgkmcnt(0)
	v_mul_f32_e32 v28, v26, v27
	s_cbranch_execz .LBB87_450
	s_branch .LBB87_451
.LBB87_449:
                                        ; implicit-def: $vgpr28
.LBB87_450:
	ds_read_b32 v28, v114
.LBB87_451:
	v_cmp_ne_u32_e32 vcc, 9, v0
	s_and_saveexec_b64 s[6:7], vcc
	s_cbranch_execz .LBB87_455
; %bb.452:
	v_mov_b32_e32 v26, 0x64
	v_lshl_add_u32 v29, v0, 2, v26
	v_mov_b32_e32 v27, v1
	s_mov_b64 s[8:9], 0
	v_mov_b32_e32 v26, v0
.LBB87_453:                             ; =>This Inner Loop Header: Depth=1
	v_add_co_u32_e32 v26, vcc, 1, v26
	v_addc_co_u32_e32 v27, vcc, 0, v27, vcc
	v_cmp_eq_u32_e32 vcc, 1, v26
	v_cndmask_b32_e32 v31, v2, v3, vcc
	v_cmp_lt_u32_e32 vcc, 8, v26
	v_cmp_eq_u32_e64 s[2:3], 2, v26
	v_cndmask_b32_e64 v31, v31, v4, s[2:3]
	s_or_b64 s[8:9], vcc, s[8:9]
	v_cmp_eq_u32_e32 vcc, 3, v26
	v_cndmask_b32_e32 v31, v31, v5, vcc
	v_cmp_eq_u32_e32 vcc, 4, v26
	v_cndmask_b32_e32 v31, v31, v6, vcc
	;; [unrolled: 2-line block ×16, first 2 shown]
	v_cmp_eq_u32_e32 vcc, 19, v26
	ds_read_b32 v30, v29
	v_cndmask_b32_e32 v31, v31, v21, vcc
	v_cmp_eq_u32_e32 vcc, 20, v26
	v_cndmask_b32_e32 v31, v31, v22, vcc
	v_cmp_eq_u32_e32 vcc, 21, v26
	;; [unrolled: 2-line block ×4, first 2 shown]
	v_cndmask_b32_e32 v31, v31, v25, vcc
	v_add_u32_e32 v29, 4, v29
	s_waitcnt lgkmcnt(0)
	v_fmac_f32_e32 v28, v31, v30
	s_andn2_b64 exec, exec, s[8:9]
	s_cbranch_execnz .LBB87_453
; %bb.454:
	s_or_b64 exec, exec, s[8:9]
.LBB87_455:
	s_or_b64 exec, exec, s[6:7]
	v_mov_b32_e32 v12, 0
	ds_read_b32 v12, v12 offset:40
	s_waitcnt lgkmcnt(0)
	v_mul_f32_e32 v12, v28, v12
.LBB87_456:
	s_or_b64 exec, exec, s[4:5]
	v_cmp_gt_u32_e32 vcc, 11, v0
	ds_write_b32 v114, v13
	s_waitcnt lgkmcnt(0)
	; wave barrier
	s_and_saveexec_b64 s[4:5], vcc
	s_cbranch_execz .LBB87_466
; %bb.457:
	s_and_b64 vcc, exec, s[0:1]
	s_cbranch_vccnz .LBB87_459
; %bb.458:
	v_cmp_eq_u32_e32 vcc, 1, v0
	v_cndmask_b32_e32 v26, v2, v3, vcc
	v_cmp_eq_u32_e32 vcc, 2, v0
	v_cndmask_b32_e32 v26, v26, v4, vcc
	v_cmp_eq_u32_e32 vcc, 3, v0
	v_cndmask_b32_e32 v26, v26, v5, vcc
	v_cmp_eq_u32_e32 vcc, 4, v0
	v_cndmask_b32_e32 v26, v26, v6, vcc
	v_cmp_eq_u32_e32 vcc, 5, v0
	v_cndmask_b32_e32 v26, v26, v7, vcc
	v_cmp_eq_u32_e32 vcc, 6, v0
	v_cndmask_b32_e32 v26, v26, v8, vcc
	v_cmp_eq_u32_e32 vcc, 7, v0
	v_cndmask_b32_e32 v26, v26, v9, vcc
	v_cmp_eq_u32_e32 vcc, 8, v0
	v_cndmask_b32_e32 v26, v26, v10, vcc
	v_cmp_eq_u32_e32 vcc, 9, v0
	v_cndmask_b32_e32 v26, v26, v11, vcc
	v_cmp_eq_u32_e32 vcc, 10, v0
	v_cndmask_b32_e32 v26, v26, v12, vcc
	v_cmp_eq_u32_e32 vcc, 11, v0
	v_cndmask_b32_e32 v26, v26, v13, vcc
	v_cmp_eq_u32_e32 vcc, 12, v0
	v_cndmask_b32_e32 v26, v26, v14, vcc
	v_cmp_eq_u32_e32 vcc, 13, v0
	v_cndmask_b32_e32 v26, v26, v15, vcc
	v_cmp_eq_u32_e32 vcc, 14, v0
	v_cndmask_b32_e32 v26, v26, v16, vcc
	v_cmp_eq_u32_e32 vcc, 15, v0
	v_cndmask_b32_e32 v26, v26, v17, vcc
	v_cmp_eq_u32_e32 vcc, 16, v0
	v_cndmask_b32_e32 v26, v26, v18, vcc
	v_cmp_eq_u32_e32 vcc, 17, v0
	v_cndmask_b32_e32 v26, v26, v19, vcc
	v_cmp_eq_u32_e32 vcc, 18, v0
	v_cndmask_b32_e32 v26, v26, v20, vcc
	v_cmp_eq_u32_e32 vcc, 19, v0
	v_cndmask_b32_e32 v26, v26, v21, vcc
	v_cmp_eq_u32_e32 vcc, 20, v0
	ds_read_b32 v27, v114
	v_cndmask_b32_e32 v26, v26, v22, vcc
	v_cmp_eq_u32_e32 vcc, 21, v0
	v_cndmask_b32_e32 v26, v26, v23, vcc
	v_cmp_eq_u32_e32 vcc, 22, v0
	;; [unrolled: 2-line block ×3, first 2 shown]
	v_cndmask_b32_e32 v26, v26, v25, vcc
	s_waitcnt lgkmcnt(0)
	v_mul_f32_e32 v28, v26, v27
	s_cbranch_execz .LBB87_460
	s_branch .LBB87_461
.LBB87_459:
                                        ; implicit-def: $vgpr28
.LBB87_460:
	ds_read_b32 v28, v114
.LBB87_461:
	v_cmp_ne_u32_e32 vcc, 10, v0
	s_and_saveexec_b64 s[6:7], vcc
	s_cbranch_execz .LBB87_465
; %bb.462:
	v_mov_b32_e32 v26, 0x64
	v_lshl_add_u32 v29, v0, 2, v26
	v_mov_b32_e32 v27, v1
	s_mov_b64 s[8:9], 0
	v_mov_b32_e32 v26, v0
.LBB87_463:                             ; =>This Inner Loop Header: Depth=1
	v_add_co_u32_e32 v26, vcc, 1, v26
	v_addc_co_u32_e32 v27, vcc, 0, v27, vcc
	v_cmp_eq_u32_e32 vcc, 1, v26
	v_cndmask_b32_e32 v31, v2, v3, vcc
	v_cmp_lt_u32_e32 vcc, 9, v26
	v_cmp_eq_u32_e64 s[2:3], 2, v26
	v_cndmask_b32_e64 v31, v31, v4, s[2:3]
	s_or_b64 s[8:9], vcc, s[8:9]
	v_cmp_eq_u32_e32 vcc, 3, v26
	v_cndmask_b32_e32 v31, v31, v5, vcc
	v_cmp_eq_u32_e32 vcc, 4, v26
	v_cndmask_b32_e32 v31, v31, v6, vcc
	;; [unrolled: 2-line block ×16, first 2 shown]
	v_cmp_eq_u32_e32 vcc, 19, v26
	ds_read_b32 v30, v29
	v_cndmask_b32_e32 v31, v31, v21, vcc
	v_cmp_eq_u32_e32 vcc, 20, v26
	v_cndmask_b32_e32 v31, v31, v22, vcc
	v_cmp_eq_u32_e32 vcc, 21, v26
	;; [unrolled: 2-line block ×4, first 2 shown]
	v_cndmask_b32_e32 v31, v31, v25, vcc
	v_add_u32_e32 v29, 4, v29
	s_waitcnt lgkmcnt(0)
	v_fmac_f32_e32 v28, v31, v30
	s_andn2_b64 exec, exec, s[8:9]
	s_cbranch_execnz .LBB87_463
; %bb.464:
	s_or_b64 exec, exec, s[8:9]
.LBB87_465:
	s_or_b64 exec, exec, s[6:7]
	v_mov_b32_e32 v13, 0
	ds_read_b32 v13, v13 offset:44
	s_waitcnt lgkmcnt(0)
	v_mul_f32_e32 v13, v28, v13
.LBB87_466:
	s_or_b64 exec, exec, s[4:5]
	v_cmp_gt_u32_e32 vcc, 12, v0
	ds_write_b32 v114, v14
	s_waitcnt lgkmcnt(0)
	; wave barrier
	s_and_saveexec_b64 s[4:5], vcc
	s_cbranch_execz .LBB87_476
; %bb.467:
	s_and_b64 vcc, exec, s[0:1]
	s_cbranch_vccnz .LBB87_469
; %bb.468:
	v_cmp_eq_u32_e32 vcc, 1, v0
	v_cndmask_b32_e32 v26, v2, v3, vcc
	v_cmp_eq_u32_e32 vcc, 2, v0
	v_cndmask_b32_e32 v26, v26, v4, vcc
	v_cmp_eq_u32_e32 vcc, 3, v0
	v_cndmask_b32_e32 v26, v26, v5, vcc
	v_cmp_eq_u32_e32 vcc, 4, v0
	v_cndmask_b32_e32 v26, v26, v6, vcc
	v_cmp_eq_u32_e32 vcc, 5, v0
	v_cndmask_b32_e32 v26, v26, v7, vcc
	v_cmp_eq_u32_e32 vcc, 6, v0
	v_cndmask_b32_e32 v26, v26, v8, vcc
	v_cmp_eq_u32_e32 vcc, 7, v0
	v_cndmask_b32_e32 v26, v26, v9, vcc
	v_cmp_eq_u32_e32 vcc, 8, v0
	v_cndmask_b32_e32 v26, v26, v10, vcc
	v_cmp_eq_u32_e32 vcc, 9, v0
	v_cndmask_b32_e32 v26, v26, v11, vcc
	v_cmp_eq_u32_e32 vcc, 10, v0
	v_cndmask_b32_e32 v26, v26, v12, vcc
	v_cmp_eq_u32_e32 vcc, 11, v0
	v_cndmask_b32_e32 v26, v26, v13, vcc
	v_cmp_eq_u32_e32 vcc, 12, v0
	v_cndmask_b32_e32 v26, v26, v14, vcc
	v_cmp_eq_u32_e32 vcc, 13, v0
	v_cndmask_b32_e32 v26, v26, v15, vcc
	v_cmp_eq_u32_e32 vcc, 14, v0
	v_cndmask_b32_e32 v26, v26, v16, vcc
	v_cmp_eq_u32_e32 vcc, 15, v0
	v_cndmask_b32_e32 v26, v26, v17, vcc
	v_cmp_eq_u32_e32 vcc, 16, v0
	v_cndmask_b32_e32 v26, v26, v18, vcc
	v_cmp_eq_u32_e32 vcc, 17, v0
	v_cndmask_b32_e32 v26, v26, v19, vcc
	v_cmp_eq_u32_e32 vcc, 18, v0
	v_cndmask_b32_e32 v26, v26, v20, vcc
	v_cmp_eq_u32_e32 vcc, 19, v0
	v_cndmask_b32_e32 v26, v26, v21, vcc
	v_cmp_eq_u32_e32 vcc, 20, v0
	ds_read_b32 v27, v114
	v_cndmask_b32_e32 v26, v26, v22, vcc
	v_cmp_eq_u32_e32 vcc, 21, v0
	v_cndmask_b32_e32 v26, v26, v23, vcc
	v_cmp_eq_u32_e32 vcc, 22, v0
	;; [unrolled: 2-line block ×3, first 2 shown]
	v_cndmask_b32_e32 v26, v26, v25, vcc
	s_waitcnt lgkmcnt(0)
	v_mul_f32_e32 v28, v26, v27
	s_cbranch_execz .LBB87_470
	s_branch .LBB87_471
.LBB87_469:
                                        ; implicit-def: $vgpr28
.LBB87_470:
	ds_read_b32 v28, v114
.LBB87_471:
	v_cmp_ne_u32_e32 vcc, 11, v0
	s_and_saveexec_b64 s[6:7], vcc
	s_cbranch_execz .LBB87_475
; %bb.472:
	v_mov_b32_e32 v26, 0x64
	v_lshl_add_u32 v29, v0, 2, v26
	v_mov_b32_e32 v27, v1
	s_mov_b64 s[8:9], 0
	v_mov_b32_e32 v26, v0
.LBB87_473:                             ; =>This Inner Loop Header: Depth=1
	v_add_co_u32_e32 v26, vcc, 1, v26
	v_addc_co_u32_e32 v27, vcc, 0, v27, vcc
	v_cmp_eq_u32_e32 vcc, 1, v26
	v_cndmask_b32_e32 v31, v2, v3, vcc
	v_cmp_lt_u32_e32 vcc, 10, v26
	v_cmp_eq_u32_e64 s[2:3], 2, v26
	v_cndmask_b32_e64 v31, v31, v4, s[2:3]
	s_or_b64 s[8:9], vcc, s[8:9]
	v_cmp_eq_u32_e32 vcc, 3, v26
	v_cndmask_b32_e32 v31, v31, v5, vcc
	v_cmp_eq_u32_e32 vcc, 4, v26
	v_cndmask_b32_e32 v31, v31, v6, vcc
	;; [unrolled: 2-line block ×16, first 2 shown]
	v_cmp_eq_u32_e32 vcc, 19, v26
	ds_read_b32 v30, v29
	v_cndmask_b32_e32 v31, v31, v21, vcc
	v_cmp_eq_u32_e32 vcc, 20, v26
	v_cndmask_b32_e32 v31, v31, v22, vcc
	v_cmp_eq_u32_e32 vcc, 21, v26
	;; [unrolled: 2-line block ×4, first 2 shown]
	v_cndmask_b32_e32 v31, v31, v25, vcc
	v_add_u32_e32 v29, 4, v29
	s_waitcnt lgkmcnt(0)
	v_fmac_f32_e32 v28, v31, v30
	s_andn2_b64 exec, exec, s[8:9]
	s_cbranch_execnz .LBB87_473
; %bb.474:
	s_or_b64 exec, exec, s[8:9]
.LBB87_475:
	s_or_b64 exec, exec, s[6:7]
	v_mov_b32_e32 v14, 0
	ds_read_b32 v14, v14 offset:48
	s_waitcnt lgkmcnt(0)
	v_mul_f32_e32 v14, v28, v14
.LBB87_476:
	s_or_b64 exec, exec, s[4:5]
	v_cmp_gt_u32_e32 vcc, 13, v0
	ds_write_b32 v114, v15
	s_waitcnt lgkmcnt(0)
	; wave barrier
	s_and_saveexec_b64 s[4:5], vcc
	s_cbranch_execz .LBB87_486
; %bb.477:
	s_and_b64 vcc, exec, s[0:1]
	s_cbranch_vccnz .LBB87_479
; %bb.478:
	v_cmp_eq_u32_e32 vcc, 1, v0
	v_cndmask_b32_e32 v26, v2, v3, vcc
	v_cmp_eq_u32_e32 vcc, 2, v0
	v_cndmask_b32_e32 v26, v26, v4, vcc
	;; [unrolled: 2-line block ×19, first 2 shown]
	v_cmp_eq_u32_e32 vcc, 20, v0
	ds_read_b32 v27, v114
	v_cndmask_b32_e32 v26, v26, v22, vcc
	v_cmp_eq_u32_e32 vcc, 21, v0
	v_cndmask_b32_e32 v26, v26, v23, vcc
	v_cmp_eq_u32_e32 vcc, 22, v0
	v_cndmask_b32_e32 v26, v26, v24, vcc
	v_cmp_eq_u32_e32 vcc, 23, v0
	v_cndmask_b32_e32 v26, v26, v25, vcc
	s_waitcnt lgkmcnt(0)
	v_mul_f32_e32 v28, v26, v27
	s_cbranch_execz .LBB87_480
	s_branch .LBB87_481
.LBB87_479:
                                        ; implicit-def: $vgpr28
.LBB87_480:
	ds_read_b32 v28, v114
.LBB87_481:
	v_cmp_ne_u32_e32 vcc, 12, v0
	s_and_saveexec_b64 s[6:7], vcc
	s_cbranch_execz .LBB87_485
; %bb.482:
	v_mov_b32_e32 v26, 0x64
	v_lshl_add_u32 v29, v0, 2, v26
	v_mov_b32_e32 v27, v1
	s_mov_b64 s[8:9], 0
	v_mov_b32_e32 v26, v0
.LBB87_483:                             ; =>This Inner Loop Header: Depth=1
	v_add_co_u32_e32 v26, vcc, 1, v26
	v_addc_co_u32_e32 v27, vcc, 0, v27, vcc
	v_cmp_eq_u32_e32 vcc, 1, v26
	v_cndmask_b32_e32 v31, v2, v3, vcc
	v_cmp_lt_u32_e32 vcc, 11, v26
	v_cmp_eq_u32_e64 s[2:3], 2, v26
	v_cndmask_b32_e64 v31, v31, v4, s[2:3]
	s_or_b64 s[8:9], vcc, s[8:9]
	v_cmp_eq_u32_e32 vcc, 3, v26
	v_cndmask_b32_e32 v31, v31, v5, vcc
	v_cmp_eq_u32_e32 vcc, 4, v26
	v_cndmask_b32_e32 v31, v31, v6, vcc
	;; [unrolled: 2-line block ×16, first 2 shown]
	v_cmp_eq_u32_e32 vcc, 19, v26
	ds_read_b32 v30, v29
	v_cndmask_b32_e32 v31, v31, v21, vcc
	v_cmp_eq_u32_e32 vcc, 20, v26
	v_cndmask_b32_e32 v31, v31, v22, vcc
	v_cmp_eq_u32_e32 vcc, 21, v26
	;; [unrolled: 2-line block ×4, first 2 shown]
	v_cndmask_b32_e32 v31, v31, v25, vcc
	v_add_u32_e32 v29, 4, v29
	s_waitcnt lgkmcnt(0)
	v_fmac_f32_e32 v28, v31, v30
	s_andn2_b64 exec, exec, s[8:9]
	s_cbranch_execnz .LBB87_483
; %bb.484:
	s_or_b64 exec, exec, s[8:9]
.LBB87_485:
	s_or_b64 exec, exec, s[6:7]
	v_mov_b32_e32 v15, 0
	ds_read_b32 v15, v15 offset:52
	s_waitcnt lgkmcnt(0)
	v_mul_f32_e32 v15, v28, v15
.LBB87_486:
	s_or_b64 exec, exec, s[4:5]
	v_cmp_gt_u32_e32 vcc, 14, v0
	ds_write_b32 v114, v16
	s_waitcnt lgkmcnt(0)
	; wave barrier
	s_and_saveexec_b64 s[4:5], vcc
	s_cbranch_execz .LBB87_496
; %bb.487:
	s_and_b64 vcc, exec, s[0:1]
	s_cbranch_vccnz .LBB87_489
; %bb.488:
	v_cmp_eq_u32_e32 vcc, 1, v0
	v_cndmask_b32_e32 v26, v2, v3, vcc
	v_cmp_eq_u32_e32 vcc, 2, v0
	v_cndmask_b32_e32 v26, v26, v4, vcc
	;; [unrolled: 2-line block ×19, first 2 shown]
	v_cmp_eq_u32_e32 vcc, 20, v0
	ds_read_b32 v27, v114
	v_cndmask_b32_e32 v26, v26, v22, vcc
	v_cmp_eq_u32_e32 vcc, 21, v0
	v_cndmask_b32_e32 v26, v26, v23, vcc
	v_cmp_eq_u32_e32 vcc, 22, v0
	;; [unrolled: 2-line block ×3, first 2 shown]
	v_cndmask_b32_e32 v26, v26, v25, vcc
	s_waitcnt lgkmcnt(0)
	v_mul_f32_e32 v28, v26, v27
	s_cbranch_execz .LBB87_490
	s_branch .LBB87_491
.LBB87_489:
                                        ; implicit-def: $vgpr28
.LBB87_490:
	ds_read_b32 v28, v114
.LBB87_491:
	v_cmp_ne_u32_e32 vcc, 13, v0
	s_and_saveexec_b64 s[6:7], vcc
	s_cbranch_execz .LBB87_495
; %bb.492:
	v_mov_b32_e32 v26, 0x64
	v_lshl_add_u32 v29, v0, 2, v26
	v_mov_b32_e32 v27, v1
	s_mov_b64 s[8:9], 0
	v_mov_b32_e32 v26, v0
.LBB87_493:                             ; =>This Inner Loop Header: Depth=1
	v_add_co_u32_e32 v26, vcc, 1, v26
	v_addc_co_u32_e32 v27, vcc, 0, v27, vcc
	v_cmp_eq_u32_e32 vcc, 1, v26
	v_cndmask_b32_e32 v31, v2, v3, vcc
	v_cmp_lt_u32_e32 vcc, 12, v26
	v_cmp_eq_u32_e64 s[2:3], 2, v26
	v_cndmask_b32_e64 v31, v31, v4, s[2:3]
	s_or_b64 s[8:9], vcc, s[8:9]
	v_cmp_eq_u32_e32 vcc, 3, v26
	v_cndmask_b32_e32 v31, v31, v5, vcc
	v_cmp_eq_u32_e32 vcc, 4, v26
	v_cndmask_b32_e32 v31, v31, v6, vcc
	v_cmp_eq_u32_e32 vcc, 5, v26
	v_cndmask_b32_e32 v31, v31, v7, vcc
	v_cmp_eq_u32_e32 vcc, 6, v26
	v_cndmask_b32_e32 v31, v31, v8, vcc
	v_cmp_eq_u32_e32 vcc, 7, v26
	v_cndmask_b32_e32 v31, v31, v9, vcc
	v_cmp_eq_u32_e32 vcc, 8, v26
	v_cndmask_b32_e32 v31, v31, v10, vcc
	v_cmp_eq_u32_e32 vcc, 9, v26
	v_cndmask_b32_e32 v31, v31, v11, vcc
	v_cmp_eq_u32_e32 vcc, 10, v26
	v_cndmask_b32_e32 v31, v31, v12, vcc
	v_cmp_eq_u32_e32 vcc, 11, v26
	v_cndmask_b32_e32 v31, v31, v13, vcc
	v_cmp_eq_u32_e32 vcc, 12, v26
	v_cndmask_b32_e32 v31, v31, v14, vcc
	v_cmp_eq_u32_e32 vcc, 13, v26
	v_cndmask_b32_e32 v31, v31, v15, vcc
	v_cmp_eq_u32_e32 vcc, 14, v26
	v_cndmask_b32_e32 v31, v31, v16, vcc
	v_cmp_eq_u32_e32 vcc, 15, v26
	v_cndmask_b32_e32 v31, v31, v17, vcc
	v_cmp_eq_u32_e32 vcc, 16, v26
	v_cndmask_b32_e32 v31, v31, v18, vcc
	v_cmp_eq_u32_e32 vcc, 17, v26
	v_cndmask_b32_e32 v31, v31, v19, vcc
	v_cmp_eq_u32_e32 vcc, 18, v26
	v_cndmask_b32_e32 v31, v31, v20, vcc
	v_cmp_eq_u32_e32 vcc, 19, v26
	ds_read_b32 v30, v29
	v_cndmask_b32_e32 v31, v31, v21, vcc
	v_cmp_eq_u32_e32 vcc, 20, v26
	v_cndmask_b32_e32 v31, v31, v22, vcc
	v_cmp_eq_u32_e32 vcc, 21, v26
	;; [unrolled: 2-line block ×4, first 2 shown]
	v_cndmask_b32_e32 v31, v31, v25, vcc
	v_add_u32_e32 v29, 4, v29
	s_waitcnt lgkmcnt(0)
	v_fmac_f32_e32 v28, v31, v30
	s_andn2_b64 exec, exec, s[8:9]
	s_cbranch_execnz .LBB87_493
; %bb.494:
	s_or_b64 exec, exec, s[8:9]
.LBB87_495:
	s_or_b64 exec, exec, s[6:7]
	v_mov_b32_e32 v16, 0
	ds_read_b32 v16, v16 offset:56
	s_waitcnt lgkmcnt(0)
	v_mul_f32_e32 v16, v28, v16
.LBB87_496:
	s_or_b64 exec, exec, s[4:5]
	v_cmp_gt_u32_e32 vcc, 15, v0
	ds_write_b32 v114, v17
	s_waitcnt lgkmcnt(0)
	; wave barrier
	s_and_saveexec_b64 s[4:5], vcc
	s_cbranch_execz .LBB87_506
; %bb.497:
	s_and_b64 vcc, exec, s[0:1]
	s_cbranch_vccnz .LBB87_499
; %bb.498:
	v_cmp_eq_u32_e32 vcc, 1, v0
	v_cndmask_b32_e32 v26, v2, v3, vcc
	v_cmp_eq_u32_e32 vcc, 2, v0
	v_cndmask_b32_e32 v26, v26, v4, vcc
	;; [unrolled: 2-line block ×19, first 2 shown]
	v_cmp_eq_u32_e32 vcc, 20, v0
	ds_read_b32 v27, v114
	v_cndmask_b32_e32 v26, v26, v22, vcc
	v_cmp_eq_u32_e32 vcc, 21, v0
	v_cndmask_b32_e32 v26, v26, v23, vcc
	v_cmp_eq_u32_e32 vcc, 22, v0
	;; [unrolled: 2-line block ×3, first 2 shown]
	v_cndmask_b32_e32 v26, v26, v25, vcc
	s_waitcnt lgkmcnt(0)
	v_mul_f32_e32 v28, v26, v27
	s_cbranch_execz .LBB87_500
	s_branch .LBB87_501
.LBB87_499:
                                        ; implicit-def: $vgpr28
.LBB87_500:
	ds_read_b32 v28, v114
.LBB87_501:
	v_cmp_ne_u32_e32 vcc, 14, v0
	s_and_saveexec_b64 s[6:7], vcc
	s_cbranch_execz .LBB87_505
; %bb.502:
	v_mov_b32_e32 v26, 0x64
	v_lshl_add_u32 v29, v0, 2, v26
	v_mov_b32_e32 v27, v1
	s_mov_b64 s[8:9], 0
	v_mov_b32_e32 v26, v0
.LBB87_503:                             ; =>This Inner Loop Header: Depth=1
	v_add_co_u32_e32 v26, vcc, 1, v26
	v_addc_co_u32_e32 v27, vcc, 0, v27, vcc
	v_cmp_eq_u32_e32 vcc, 1, v26
	v_cndmask_b32_e32 v31, v2, v3, vcc
	v_cmp_lt_u32_e32 vcc, 13, v26
	v_cmp_eq_u32_e64 s[2:3], 2, v26
	v_cndmask_b32_e64 v31, v31, v4, s[2:3]
	s_or_b64 s[8:9], vcc, s[8:9]
	v_cmp_eq_u32_e32 vcc, 3, v26
	v_cndmask_b32_e32 v31, v31, v5, vcc
	v_cmp_eq_u32_e32 vcc, 4, v26
	v_cndmask_b32_e32 v31, v31, v6, vcc
	v_cmp_eq_u32_e32 vcc, 5, v26
	v_cndmask_b32_e32 v31, v31, v7, vcc
	v_cmp_eq_u32_e32 vcc, 6, v26
	v_cndmask_b32_e32 v31, v31, v8, vcc
	v_cmp_eq_u32_e32 vcc, 7, v26
	v_cndmask_b32_e32 v31, v31, v9, vcc
	v_cmp_eq_u32_e32 vcc, 8, v26
	v_cndmask_b32_e32 v31, v31, v10, vcc
	v_cmp_eq_u32_e32 vcc, 9, v26
	v_cndmask_b32_e32 v31, v31, v11, vcc
	v_cmp_eq_u32_e32 vcc, 10, v26
	v_cndmask_b32_e32 v31, v31, v12, vcc
	v_cmp_eq_u32_e32 vcc, 11, v26
	v_cndmask_b32_e32 v31, v31, v13, vcc
	v_cmp_eq_u32_e32 vcc, 12, v26
	v_cndmask_b32_e32 v31, v31, v14, vcc
	v_cmp_eq_u32_e32 vcc, 13, v26
	v_cndmask_b32_e32 v31, v31, v15, vcc
	v_cmp_eq_u32_e32 vcc, 14, v26
	v_cndmask_b32_e32 v31, v31, v16, vcc
	v_cmp_eq_u32_e32 vcc, 15, v26
	v_cndmask_b32_e32 v31, v31, v17, vcc
	v_cmp_eq_u32_e32 vcc, 16, v26
	v_cndmask_b32_e32 v31, v31, v18, vcc
	v_cmp_eq_u32_e32 vcc, 17, v26
	v_cndmask_b32_e32 v31, v31, v19, vcc
	v_cmp_eq_u32_e32 vcc, 18, v26
	v_cndmask_b32_e32 v31, v31, v20, vcc
	v_cmp_eq_u32_e32 vcc, 19, v26
	ds_read_b32 v30, v29
	v_cndmask_b32_e32 v31, v31, v21, vcc
	v_cmp_eq_u32_e32 vcc, 20, v26
	v_cndmask_b32_e32 v31, v31, v22, vcc
	v_cmp_eq_u32_e32 vcc, 21, v26
	;; [unrolled: 2-line block ×4, first 2 shown]
	v_cndmask_b32_e32 v31, v31, v25, vcc
	v_add_u32_e32 v29, 4, v29
	s_waitcnt lgkmcnt(0)
	v_fmac_f32_e32 v28, v31, v30
	s_andn2_b64 exec, exec, s[8:9]
	s_cbranch_execnz .LBB87_503
; %bb.504:
	s_or_b64 exec, exec, s[8:9]
.LBB87_505:
	s_or_b64 exec, exec, s[6:7]
	v_mov_b32_e32 v17, 0
	ds_read_b32 v17, v17 offset:60
	s_waitcnt lgkmcnt(0)
	v_mul_f32_e32 v17, v28, v17
.LBB87_506:
	s_or_b64 exec, exec, s[4:5]
	v_cmp_gt_u32_e32 vcc, 16, v0
	ds_write_b32 v114, v18
	s_waitcnt lgkmcnt(0)
	; wave barrier
	s_and_saveexec_b64 s[4:5], vcc
	s_cbranch_execz .LBB87_516
; %bb.507:
	s_and_b64 vcc, exec, s[0:1]
	s_cbranch_vccnz .LBB87_509
; %bb.508:
	v_cmp_eq_u32_e32 vcc, 1, v0
	v_cndmask_b32_e32 v26, v2, v3, vcc
	v_cmp_eq_u32_e32 vcc, 2, v0
	v_cndmask_b32_e32 v26, v26, v4, vcc
	;; [unrolled: 2-line block ×19, first 2 shown]
	v_cmp_eq_u32_e32 vcc, 20, v0
	ds_read_b32 v27, v114
	v_cndmask_b32_e32 v26, v26, v22, vcc
	v_cmp_eq_u32_e32 vcc, 21, v0
	v_cndmask_b32_e32 v26, v26, v23, vcc
	v_cmp_eq_u32_e32 vcc, 22, v0
	;; [unrolled: 2-line block ×3, first 2 shown]
	v_cndmask_b32_e32 v26, v26, v25, vcc
	s_waitcnt lgkmcnt(0)
	v_mul_f32_e32 v28, v26, v27
	s_cbranch_execz .LBB87_510
	s_branch .LBB87_511
.LBB87_509:
                                        ; implicit-def: $vgpr28
.LBB87_510:
	ds_read_b32 v28, v114
.LBB87_511:
	v_cmp_ne_u32_e32 vcc, 15, v0
	s_and_saveexec_b64 s[6:7], vcc
	s_cbranch_execz .LBB87_515
; %bb.512:
	v_mov_b32_e32 v26, 0x64
	v_lshl_add_u32 v29, v0, 2, v26
	v_mov_b32_e32 v27, v1
	s_mov_b64 s[8:9], 0
	v_mov_b32_e32 v26, v0
.LBB87_513:                             ; =>This Inner Loop Header: Depth=1
	v_add_co_u32_e32 v26, vcc, 1, v26
	v_addc_co_u32_e32 v27, vcc, 0, v27, vcc
	v_cmp_eq_u32_e32 vcc, 1, v26
	v_cndmask_b32_e32 v31, v2, v3, vcc
	v_cmp_lt_u32_e32 vcc, 14, v26
	v_cmp_eq_u32_e64 s[2:3], 2, v26
	v_cndmask_b32_e64 v31, v31, v4, s[2:3]
	s_or_b64 s[8:9], vcc, s[8:9]
	v_cmp_eq_u32_e32 vcc, 3, v26
	v_cndmask_b32_e32 v31, v31, v5, vcc
	v_cmp_eq_u32_e32 vcc, 4, v26
	v_cndmask_b32_e32 v31, v31, v6, vcc
	;; [unrolled: 2-line block ×16, first 2 shown]
	v_cmp_eq_u32_e32 vcc, 19, v26
	ds_read_b32 v30, v29
	v_cndmask_b32_e32 v31, v31, v21, vcc
	v_cmp_eq_u32_e32 vcc, 20, v26
	v_cndmask_b32_e32 v31, v31, v22, vcc
	v_cmp_eq_u32_e32 vcc, 21, v26
	;; [unrolled: 2-line block ×4, first 2 shown]
	v_cndmask_b32_e32 v31, v31, v25, vcc
	v_add_u32_e32 v29, 4, v29
	s_waitcnt lgkmcnt(0)
	v_fmac_f32_e32 v28, v31, v30
	s_andn2_b64 exec, exec, s[8:9]
	s_cbranch_execnz .LBB87_513
; %bb.514:
	s_or_b64 exec, exec, s[8:9]
.LBB87_515:
	s_or_b64 exec, exec, s[6:7]
	v_mov_b32_e32 v18, 0
	ds_read_b32 v18, v18 offset:64
	s_waitcnt lgkmcnt(0)
	v_mul_f32_e32 v18, v28, v18
.LBB87_516:
	s_or_b64 exec, exec, s[4:5]
	v_cmp_gt_u32_e32 vcc, 17, v0
	ds_write_b32 v114, v19
	s_waitcnt lgkmcnt(0)
	; wave barrier
	s_and_saveexec_b64 s[4:5], vcc
	s_cbranch_execz .LBB87_526
; %bb.517:
	s_and_b64 vcc, exec, s[0:1]
	s_cbranch_vccnz .LBB87_519
; %bb.518:
	v_cmp_eq_u32_e32 vcc, 1, v0
	v_cndmask_b32_e32 v26, v2, v3, vcc
	v_cmp_eq_u32_e32 vcc, 2, v0
	v_cndmask_b32_e32 v26, v26, v4, vcc
	;; [unrolled: 2-line block ×19, first 2 shown]
	v_cmp_eq_u32_e32 vcc, 20, v0
	ds_read_b32 v27, v114
	v_cndmask_b32_e32 v26, v26, v22, vcc
	v_cmp_eq_u32_e32 vcc, 21, v0
	v_cndmask_b32_e32 v26, v26, v23, vcc
	v_cmp_eq_u32_e32 vcc, 22, v0
	;; [unrolled: 2-line block ×3, first 2 shown]
	v_cndmask_b32_e32 v26, v26, v25, vcc
	s_waitcnt lgkmcnt(0)
	v_mul_f32_e32 v28, v26, v27
	s_cbranch_execz .LBB87_520
	s_branch .LBB87_521
.LBB87_519:
                                        ; implicit-def: $vgpr28
.LBB87_520:
	ds_read_b32 v28, v114
.LBB87_521:
	v_cmp_ne_u32_e32 vcc, 16, v0
	s_and_saveexec_b64 s[6:7], vcc
	s_cbranch_execz .LBB87_525
; %bb.522:
	v_mov_b32_e32 v26, 0x64
	v_lshl_add_u32 v29, v0, 2, v26
	v_mov_b32_e32 v27, v1
	s_mov_b64 s[8:9], 0
	v_mov_b32_e32 v26, v0
.LBB87_523:                             ; =>This Inner Loop Header: Depth=1
	v_add_co_u32_e32 v26, vcc, 1, v26
	v_addc_co_u32_e32 v27, vcc, 0, v27, vcc
	v_cmp_eq_u32_e32 vcc, 1, v26
	v_cndmask_b32_e32 v31, v2, v3, vcc
	v_cmp_lt_u32_e32 vcc, 15, v26
	v_cmp_eq_u32_e64 s[2:3], 2, v26
	v_cndmask_b32_e64 v31, v31, v4, s[2:3]
	s_or_b64 s[8:9], vcc, s[8:9]
	v_cmp_eq_u32_e32 vcc, 3, v26
	v_cndmask_b32_e32 v31, v31, v5, vcc
	v_cmp_eq_u32_e32 vcc, 4, v26
	v_cndmask_b32_e32 v31, v31, v6, vcc
	;; [unrolled: 2-line block ×16, first 2 shown]
	v_cmp_eq_u32_e32 vcc, 19, v26
	ds_read_b32 v30, v29
	v_cndmask_b32_e32 v31, v31, v21, vcc
	v_cmp_eq_u32_e32 vcc, 20, v26
	v_cndmask_b32_e32 v31, v31, v22, vcc
	v_cmp_eq_u32_e32 vcc, 21, v26
	;; [unrolled: 2-line block ×4, first 2 shown]
	v_cndmask_b32_e32 v31, v31, v25, vcc
	v_add_u32_e32 v29, 4, v29
	s_waitcnt lgkmcnt(0)
	v_fmac_f32_e32 v28, v31, v30
	s_andn2_b64 exec, exec, s[8:9]
	s_cbranch_execnz .LBB87_523
; %bb.524:
	s_or_b64 exec, exec, s[8:9]
.LBB87_525:
	s_or_b64 exec, exec, s[6:7]
	v_mov_b32_e32 v19, 0
	ds_read_b32 v19, v19 offset:68
	s_waitcnt lgkmcnt(0)
	v_mul_f32_e32 v19, v28, v19
.LBB87_526:
	s_or_b64 exec, exec, s[4:5]
	v_cmp_gt_u32_e32 vcc, 18, v0
	ds_write_b32 v114, v20
	s_waitcnt lgkmcnt(0)
	; wave barrier
	s_and_saveexec_b64 s[4:5], vcc
	s_cbranch_execz .LBB87_536
; %bb.527:
	s_and_b64 vcc, exec, s[0:1]
	s_cbranch_vccnz .LBB87_529
; %bb.528:
	v_cmp_eq_u32_e32 vcc, 1, v0
	v_cndmask_b32_e32 v26, v2, v3, vcc
	v_cmp_eq_u32_e32 vcc, 2, v0
	v_cndmask_b32_e32 v26, v26, v4, vcc
	;; [unrolled: 2-line block ×19, first 2 shown]
	v_cmp_eq_u32_e32 vcc, 20, v0
	ds_read_b32 v27, v114
	v_cndmask_b32_e32 v26, v26, v22, vcc
	v_cmp_eq_u32_e32 vcc, 21, v0
	v_cndmask_b32_e32 v26, v26, v23, vcc
	v_cmp_eq_u32_e32 vcc, 22, v0
	;; [unrolled: 2-line block ×3, first 2 shown]
	v_cndmask_b32_e32 v26, v26, v25, vcc
	s_waitcnt lgkmcnt(0)
	v_mul_f32_e32 v28, v26, v27
	s_cbranch_execz .LBB87_530
	s_branch .LBB87_531
.LBB87_529:
                                        ; implicit-def: $vgpr28
.LBB87_530:
	ds_read_b32 v28, v114
.LBB87_531:
	v_cmp_ne_u32_e32 vcc, 17, v0
	s_and_saveexec_b64 s[6:7], vcc
	s_cbranch_execz .LBB87_535
; %bb.532:
	v_mov_b32_e32 v26, 0x64
	v_lshl_add_u32 v29, v0, 2, v26
	v_mov_b32_e32 v27, v1
	s_mov_b64 s[8:9], 0
	v_mov_b32_e32 v26, v0
.LBB87_533:                             ; =>This Inner Loop Header: Depth=1
	v_add_co_u32_e32 v26, vcc, 1, v26
	v_addc_co_u32_e32 v27, vcc, 0, v27, vcc
	v_cmp_eq_u32_e32 vcc, 1, v26
	v_cndmask_b32_e32 v31, v2, v3, vcc
	v_cmp_lt_u32_e32 vcc, 16, v26
	v_cmp_eq_u32_e64 s[2:3], 2, v26
	v_cndmask_b32_e64 v31, v31, v4, s[2:3]
	s_or_b64 s[8:9], vcc, s[8:9]
	v_cmp_eq_u32_e32 vcc, 3, v26
	v_cndmask_b32_e32 v31, v31, v5, vcc
	v_cmp_eq_u32_e32 vcc, 4, v26
	v_cndmask_b32_e32 v31, v31, v6, vcc
	;; [unrolled: 2-line block ×16, first 2 shown]
	v_cmp_eq_u32_e32 vcc, 19, v26
	ds_read_b32 v30, v29
	v_cndmask_b32_e32 v31, v31, v21, vcc
	v_cmp_eq_u32_e32 vcc, 20, v26
	v_cndmask_b32_e32 v31, v31, v22, vcc
	v_cmp_eq_u32_e32 vcc, 21, v26
	;; [unrolled: 2-line block ×4, first 2 shown]
	v_cndmask_b32_e32 v31, v31, v25, vcc
	v_add_u32_e32 v29, 4, v29
	s_waitcnt lgkmcnt(0)
	v_fmac_f32_e32 v28, v31, v30
	s_andn2_b64 exec, exec, s[8:9]
	s_cbranch_execnz .LBB87_533
; %bb.534:
	s_or_b64 exec, exec, s[8:9]
.LBB87_535:
	s_or_b64 exec, exec, s[6:7]
	v_mov_b32_e32 v20, 0
	ds_read_b32 v20, v20 offset:72
	s_waitcnt lgkmcnt(0)
	v_mul_f32_e32 v20, v28, v20
.LBB87_536:
	s_or_b64 exec, exec, s[4:5]
	v_cmp_gt_u32_e32 vcc, 19, v0
	ds_write_b32 v114, v21
	s_waitcnt lgkmcnt(0)
	; wave barrier
	s_and_saveexec_b64 s[4:5], vcc
	s_cbranch_execz .LBB87_546
; %bb.537:
	s_and_b64 vcc, exec, s[0:1]
	s_cbranch_vccnz .LBB87_539
; %bb.538:
	v_cmp_eq_u32_e32 vcc, 1, v0
	v_cndmask_b32_e32 v26, v2, v3, vcc
	v_cmp_eq_u32_e32 vcc, 2, v0
	v_cndmask_b32_e32 v26, v26, v4, vcc
	;; [unrolled: 2-line block ×19, first 2 shown]
	v_cmp_eq_u32_e32 vcc, 20, v0
	ds_read_b32 v27, v114
	v_cndmask_b32_e32 v26, v26, v22, vcc
	v_cmp_eq_u32_e32 vcc, 21, v0
	v_cndmask_b32_e32 v26, v26, v23, vcc
	v_cmp_eq_u32_e32 vcc, 22, v0
	;; [unrolled: 2-line block ×3, first 2 shown]
	v_cndmask_b32_e32 v26, v26, v25, vcc
	s_waitcnt lgkmcnt(0)
	v_mul_f32_e32 v28, v26, v27
	s_cbranch_execz .LBB87_540
	s_branch .LBB87_541
.LBB87_539:
                                        ; implicit-def: $vgpr28
.LBB87_540:
	ds_read_b32 v28, v114
.LBB87_541:
	v_cmp_ne_u32_e32 vcc, 18, v0
	s_and_saveexec_b64 s[6:7], vcc
	s_cbranch_execz .LBB87_545
; %bb.542:
	v_mov_b32_e32 v26, 0x64
	v_lshl_add_u32 v29, v0, 2, v26
	v_mov_b32_e32 v27, v1
	s_mov_b64 s[8:9], 0
	v_mov_b32_e32 v26, v0
.LBB87_543:                             ; =>This Inner Loop Header: Depth=1
	v_add_co_u32_e32 v26, vcc, 1, v26
	v_addc_co_u32_e32 v27, vcc, 0, v27, vcc
	v_cmp_eq_u32_e32 vcc, 1, v26
	v_cndmask_b32_e32 v31, v2, v3, vcc
	v_cmp_lt_u32_e32 vcc, 17, v26
	v_cmp_eq_u32_e64 s[2:3], 2, v26
	v_cndmask_b32_e64 v31, v31, v4, s[2:3]
	s_or_b64 s[8:9], vcc, s[8:9]
	v_cmp_eq_u32_e32 vcc, 3, v26
	v_cndmask_b32_e32 v31, v31, v5, vcc
	v_cmp_eq_u32_e32 vcc, 4, v26
	v_cndmask_b32_e32 v31, v31, v6, vcc
	;; [unrolled: 2-line block ×16, first 2 shown]
	v_cmp_eq_u32_e32 vcc, 19, v26
	ds_read_b32 v30, v29
	v_cndmask_b32_e32 v31, v31, v21, vcc
	v_cmp_eq_u32_e32 vcc, 20, v26
	v_cndmask_b32_e32 v31, v31, v22, vcc
	v_cmp_eq_u32_e32 vcc, 21, v26
	;; [unrolled: 2-line block ×4, first 2 shown]
	v_cndmask_b32_e32 v31, v31, v25, vcc
	v_add_u32_e32 v29, 4, v29
	s_waitcnt lgkmcnt(0)
	v_fmac_f32_e32 v28, v31, v30
	s_andn2_b64 exec, exec, s[8:9]
	s_cbranch_execnz .LBB87_543
; %bb.544:
	s_or_b64 exec, exec, s[8:9]
.LBB87_545:
	s_or_b64 exec, exec, s[6:7]
	v_mov_b32_e32 v21, 0
	ds_read_b32 v21, v21 offset:76
	s_waitcnt lgkmcnt(0)
	v_mul_f32_e32 v21, v28, v21
.LBB87_546:
	s_or_b64 exec, exec, s[4:5]
	v_cmp_gt_u32_e32 vcc, 20, v0
	ds_write_b32 v114, v22
	s_waitcnt lgkmcnt(0)
	; wave barrier
	s_and_saveexec_b64 s[4:5], vcc
	s_cbranch_execz .LBB87_556
; %bb.547:
	s_and_b64 vcc, exec, s[0:1]
	s_cbranch_vccnz .LBB87_549
; %bb.548:
	v_cmp_eq_u32_e32 vcc, 1, v0
	v_cndmask_b32_e32 v26, v2, v3, vcc
	v_cmp_eq_u32_e32 vcc, 2, v0
	v_cndmask_b32_e32 v26, v26, v4, vcc
	v_cmp_eq_u32_e32 vcc, 3, v0
	v_cndmask_b32_e32 v26, v26, v5, vcc
	v_cmp_eq_u32_e32 vcc, 4, v0
	v_cndmask_b32_e32 v26, v26, v6, vcc
	v_cmp_eq_u32_e32 vcc, 5, v0
	v_cndmask_b32_e32 v26, v26, v7, vcc
	v_cmp_eq_u32_e32 vcc, 6, v0
	v_cndmask_b32_e32 v26, v26, v8, vcc
	v_cmp_eq_u32_e32 vcc, 7, v0
	v_cndmask_b32_e32 v26, v26, v9, vcc
	v_cmp_eq_u32_e32 vcc, 8, v0
	v_cndmask_b32_e32 v26, v26, v10, vcc
	v_cmp_eq_u32_e32 vcc, 9, v0
	v_cndmask_b32_e32 v26, v26, v11, vcc
	v_cmp_eq_u32_e32 vcc, 10, v0
	v_cndmask_b32_e32 v26, v26, v12, vcc
	v_cmp_eq_u32_e32 vcc, 11, v0
	v_cndmask_b32_e32 v26, v26, v13, vcc
	v_cmp_eq_u32_e32 vcc, 12, v0
	v_cndmask_b32_e32 v26, v26, v14, vcc
	v_cmp_eq_u32_e32 vcc, 13, v0
	v_cndmask_b32_e32 v26, v26, v15, vcc
	v_cmp_eq_u32_e32 vcc, 14, v0
	v_cndmask_b32_e32 v26, v26, v16, vcc
	v_cmp_eq_u32_e32 vcc, 15, v0
	v_cndmask_b32_e32 v26, v26, v17, vcc
	v_cmp_eq_u32_e32 vcc, 16, v0
	v_cndmask_b32_e32 v26, v26, v18, vcc
	v_cmp_eq_u32_e32 vcc, 17, v0
	v_cndmask_b32_e32 v26, v26, v19, vcc
	v_cmp_eq_u32_e32 vcc, 18, v0
	v_cndmask_b32_e32 v26, v26, v20, vcc
	v_cmp_eq_u32_e32 vcc, 19, v0
	v_cndmask_b32_e32 v26, v26, v21, vcc
	v_cmp_eq_u32_e32 vcc, 20, v0
	ds_read_b32 v27, v114
	v_cndmask_b32_e32 v26, v26, v22, vcc
	v_cmp_eq_u32_e32 vcc, 21, v0
	v_cndmask_b32_e32 v26, v26, v23, vcc
	v_cmp_eq_u32_e32 vcc, 22, v0
	;; [unrolled: 2-line block ×3, first 2 shown]
	v_cndmask_b32_e32 v26, v26, v25, vcc
	s_waitcnt lgkmcnt(0)
	v_mul_f32_e32 v28, v26, v27
	s_cbranch_execz .LBB87_550
	s_branch .LBB87_551
.LBB87_549:
                                        ; implicit-def: $vgpr28
.LBB87_550:
	ds_read_b32 v28, v114
.LBB87_551:
	v_cmp_ne_u32_e32 vcc, 19, v0
	s_and_saveexec_b64 s[6:7], vcc
	s_cbranch_execz .LBB87_555
; %bb.552:
	v_mov_b32_e32 v26, 0x64
	v_lshl_add_u32 v29, v0, 2, v26
	v_mov_b32_e32 v27, v1
	s_mov_b64 s[8:9], 0
	v_mov_b32_e32 v26, v0
.LBB87_553:                             ; =>This Inner Loop Header: Depth=1
	v_add_co_u32_e32 v26, vcc, 1, v26
	v_addc_co_u32_e32 v27, vcc, 0, v27, vcc
	v_cmp_eq_u32_e32 vcc, 1, v26
	v_cndmask_b32_e32 v31, v2, v3, vcc
	v_cmp_lt_u32_e32 vcc, 18, v26
	v_cmp_eq_u32_e64 s[2:3], 2, v26
	v_cndmask_b32_e64 v31, v31, v4, s[2:3]
	s_or_b64 s[8:9], vcc, s[8:9]
	v_cmp_eq_u32_e32 vcc, 3, v26
	v_cndmask_b32_e32 v31, v31, v5, vcc
	v_cmp_eq_u32_e32 vcc, 4, v26
	v_cndmask_b32_e32 v31, v31, v6, vcc
	;; [unrolled: 2-line block ×16, first 2 shown]
	v_cmp_eq_u32_e32 vcc, 19, v26
	ds_read_b32 v30, v29
	v_cndmask_b32_e32 v31, v31, v21, vcc
	v_cmp_eq_u32_e32 vcc, 20, v26
	v_cndmask_b32_e32 v31, v31, v22, vcc
	v_cmp_eq_u32_e32 vcc, 21, v26
	;; [unrolled: 2-line block ×4, first 2 shown]
	v_cndmask_b32_e32 v31, v31, v25, vcc
	v_add_u32_e32 v29, 4, v29
	s_waitcnt lgkmcnt(0)
	v_fmac_f32_e32 v28, v31, v30
	s_andn2_b64 exec, exec, s[8:9]
	s_cbranch_execnz .LBB87_553
; %bb.554:
	s_or_b64 exec, exec, s[8:9]
.LBB87_555:
	s_or_b64 exec, exec, s[6:7]
	v_mov_b32_e32 v22, 0
	ds_read_b32 v22, v22 offset:80
	s_waitcnt lgkmcnt(0)
	v_mul_f32_e32 v22, v28, v22
.LBB87_556:
	s_or_b64 exec, exec, s[4:5]
	v_cmp_gt_u32_e32 vcc, 21, v0
	ds_write_b32 v114, v23
	s_waitcnt lgkmcnt(0)
	; wave barrier
	s_and_saveexec_b64 s[4:5], vcc
	s_cbranch_execz .LBB87_566
; %bb.557:
	s_and_b64 vcc, exec, s[0:1]
	s_cbranch_vccnz .LBB87_559
; %bb.558:
	v_cmp_eq_u32_e32 vcc, 1, v0
	v_cndmask_b32_e32 v26, v2, v3, vcc
	v_cmp_eq_u32_e32 vcc, 2, v0
	v_cndmask_b32_e32 v26, v26, v4, vcc
	;; [unrolled: 2-line block ×19, first 2 shown]
	v_cmp_eq_u32_e32 vcc, 20, v0
	ds_read_b32 v27, v114
	v_cndmask_b32_e32 v26, v26, v22, vcc
	v_cmp_eq_u32_e32 vcc, 21, v0
	v_cndmask_b32_e32 v26, v26, v23, vcc
	v_cmp_eq_u32_e32 vcc, 22, v0
	;; [unrolled: 2-line block ×3, first 2 shown]
	v_cndmask_b32_e32 v26, v26, v25, vcc
	s_waitcnt lgkmcnt(0)
	v_mul_f32_e32 v28, v26, v27
	s_cbranch_execz .LBB87_560
	s_branch .LBB87_561
.LBB87_559:
                                        ; implicit-def: $vgpr28
.LBB87_560:
	ds_read_b32 v28, v114
.LBB87_561:
	v_cmp_ne_u32_e32 vcc, 20, v0
	s_and_saveexec_b64 s[6:7], vcc
	s_cbranch_execz .LBB87_565
; %bb.562:
	v_mov_b32_e32 v26, 0x64
	v_lshl_add_u32 v29, v0, 2, v26
	v_mov_b32_e32 v27, v1
	s_mov_b64 s[8:9], 0
	v_mov_b32_e32 v26, v0
.LBB87_563:                             ; =>This Inner Loop Header: Depth=1
	v_add_co_u32_e32 v26, vcc, 1, v26
	v_addc_co_u32_e32 v27, vcc, 0, v27, vcc
	v_cmp_eq_u32_e32 vcc, 1, v26
	v_cndmask_b32_e32 v31, v2, v3, vcc
	v_cmp_lt_u32_e32 vcc, 19, v26
	v_cmp_eq_u32_e64 s[2:3], 2, v26
	v_cndmask_b32_e64 v31, v31, v4, s[2:3]
	s_or_b64 s[8:9], vcc, s[8:9]
	v_cmp_eq_u32_e32 vcc, 3, v26
	v_cndmask_b32_e32 v31, v31, v5, vcc
	v_cmp_eq_u32_e32 vcc, 4, v26
	v_cndmask_b32_e32 v31, v31, v6, vcc
	;; [unrolled: 2-line block ×16, first 2 shown]
	v_cmp_eq_u32_e32 vcc, 19, v26
	ds_read_b32 v30, v29
	v_cndmask_b32_e32 v31, v31, v21, vcc
	v_cmp_eq_u32_e32 vcc, 20, v26
	v_cndmask_b32_e32 v31, v31, v22, vcc
	v_cmp_eq_u32_e32 vcc, 21, v26
	;; [unrolled: 2-line block ×4, first 2 shown]
	v_cndmask_b32_e32 v31, v31, v25, vcc
	v_add_u32_e32 v29, 4, v29
	s_waitcnt lgkmcnt(0)
	v_fmac_f32_e32 v28, v31, v30
	s_andn2_b64 exec, exec, s[8:9]
	s_cbranch_execnz .LBB87_563
; %bb.564:
	s_or_b64 exec, exec, s[8:9]
.LBB87_565:
	s_or_b64 exec, exec, s[6:7]
	v_mov_b32_e32 v23, 0
	ds_read_b32 v23, v23 offset:84
	s_waitcnt lgkmcnt(0)
	v_mul_f32_e32 v23, v28, v23
.LBB87_566:
	s_or_b64 exec, exec, s[4:5]
	v_cmp_gt_u32_e64 s[2:3], 22, v0
	ds_write_b32 v114, v24
	s_waitcnt lgkmcnt(0)
	; wave barrier
	s_and_saveexec_b64 s[6:7], s[2:3]
	s_cbranch_execz .LBB87_576
; %bb.567:
	s_and_b64 vcc, exec, s[0:1]
	s_cbranch_vccnz .LBB87_569
; %bb.568:
	v_cmp_eq_u32_e32 vcc, 1, v0
	v_cndmask_b32_e32 v26, v2, v3, vcc
	v_cmp_eq_u32_e32 vcc, 2, v0
	v_cndmask_b32_e32 v26, v26, v4, vcc
	;; [unrolled: 2-line block ×19, first 2 shown]
	v_cmp_eq_u32_e32 vcc, 20, v0
	ds_read_b32 v27, v114
	v_cndmask_b32_e32 v26, v26, v22, vcc
	v_cmp_eq_u32_e32 vcc, 21, v0
	v_cndmask_b32_e32 v26, v26, v23, vcc
	v_cmp_eq_u32_e32 vcc, 22, v0
	;; [unrolled: 2-line block ×3, first 2 shown]
	v_cndmask_b32_e32 v26, v26, v25, vcc
	s_waitcnt lgkmcnt(0)
	v_mul_f32_e32 v28, v26, v27
	s_cbranch_execz .LBB87_570
	s_branch .LBB87_571
.LBB87_569:
                                        ; implicit-def: $vgpr28
.LBB87_570:
	ds_read_b32 v28, v114
.LBB87_571:
	v_cmp_ne_u32_e32 vcc, 21, v0
	s_and_saveexec_b64 s[8:9], vcc
	s_cbranch_execz .LBB87_575
; %bb.572:
	v_mov_b32_e32 v26, 0x64
	v_lshl_add_u32 v29, v0, 2, v26
	v_mov_b32_e32 v27, v1
	s_mov_b64 s[10:11], 0
	v_mov_b32_e32 v26, v0
.LBB87_573:                             ; =>This Inner Loop Header: Depth=1
	v_add_co_u32_e32 v26, vcc, 1, v26
	v_addc_co_u32_e32 v27, vcc, 0, v27, vcc
	v_cmp_eq_u32_e32 vcc, 1, v26
	v_cndmask_b32_e32 v31, v2, v3, vcc
	v_cmp_lt_u32_e32 vcc, 20, v26
	v_cmp_eq_u32_e64 s[4:5], 2, v26
	v_cndmask_b32_e64 v31, v31, v4, s[4:5]
	s_or_b64 s[10:11], vcc, s[10:11]
	v_cmp_eq_u32_e32 vcc, 3, v26
	v_cndmask_b32_e32 v31, v31, v5, vcc
	v_cmp_eq_u32_e32 vcc, 4, v26
	v_cndmask_b32_e32 v31, v31, v6, vcc
	;; [unrolled: 2-line block ×16, first 2 shown]
	v_cmp_eq_u32_e32 vcc, 19, v26
	ds_read_b32 v30, v29
	v_cndmask_b32_e32 v31, v31, v21, vcc
	v_cmp_eq_u32_e32 vcc, 20, v26
	v_cndmask_b32_e32 v31, v31, v22, vcc
	v_cmp_eq_u32_e32 vcc, 21, v26
	;; [unrolled: 2-line block ×4, first 2 shown]
	v_cndmask_b32_e32 v31, v31, v25, vcc
	v_add_u32_e32 v29, 4, v29
	s_waitcnt lgkmcnt(0)
	v_fmac_f32_e32 v28, v31, v30
	s_andn2_b64 exec, exec, s[10:11]
	s_cbranch_execnz .LBB87_573
; %bb.574:
	s_or_b64 exec, exec, s[10:11]
.LBB87_575:
	s_or_b64 exec, exec, s[8:9]
	v_mov_b32_e32 v24, 0
	ds_read_b32 v24, v24 offset:88
	s_waitcnt lgkmcnt(0)
	v_mul_f32_e32 v24, v28, v24
.LBB87_576:
	s_or_b64 exec, exec, s[6:7]
	v_cmp_ne_u32_e32 vcc, 23, v0
	ds_write_b32 v114, v25
	s_waitcnt lgkmcnt(0)
	; wave barrier
	s_and_saveexec_b64 s[4:5], vcc
	s_cbranch_execz .LBB87_586
; %bb.577:
	s_and_b64 vcc, exec, s[0:1]
	s_cbranch_vccnz .LBB87_579
; %bb.578:
	v_cmp_eq_u32_e32 vcc, 1, v0
	v_cndmask_b32_e32 v26, v2, v3, vcc
	v_cmp_eq_u32_e32 vcc, 2, v0
	v_cndmask_b32_e32 v26, v26, v4, vcc
	;; [unrolled: 2-line block ×19, first 2 shown]
	v_cmp_eq_u32_e32 vcc, 20, v0
	ds_read_b32 v27, v114
	v_cndmask_b32_e32 v26, v26, v22, vcc
	v_cmp_eq_u32_e32 vcc, 21, v0
	v_cndmask_b32_e32 v26, v26, v23, vcc
	v_cmp_eq_u32_e32 vcc, 22, v0
	;; [unrolled: 2-line block ×3, first 2 shown]
	v_cndmask_b32_e32 v26, v26, v25, vcc
	s_waitcnt lgkmcnt(0)
	v_mul_f32_e32 v26, v26, v27
	s_cbranch_execz .LBB87_580
	s_branch .LBB87_581
.LBB87_579:
                                        ; implicit-def: $vgpr26
.LBB87_580:
	ds_read_b32 v26, v114
.LBB87_581:
	s_and_saveexec_b64 s[6:7], s[2:3]
	s_cbranch_execz .LBB87_585
; %bb.582:
	v_mov_b32_e32 v27, 0x64
	v_lshl_add_u32 v27, v0, 2, v27
	s_mov_b64 s[2:3], 0
.LBB87_583:                             ; =>This Inner Loop Header: Depth=1
	v_add_co_u32_e32 v0, vcc, 1, v0
	v_addc_co_u32_e32 v1, vcc, 0, v1, vcc
	v_cmp_eq_u32_e32 vcc, 1, v0
	v_cndmask_b32_e32 v29, v2, v3, vcc
	v_cmp_lt_u32_e32 vcc, 21, v0
	v_cmp_eq_u32_e64 s[0:1], 2, v0
	v_cndmask_b32_e64 v29, v29, v4, s[0:1]
	s_or_b64 s[2:3], vcc, s[2:3]
	v_cmp_eq_u32_e32 vcc, 3, v0
	v_cndmask_b32_e32 v29, v29, v5, vcc
	v_cmp_eq_u32_e32 vcc, 4, v0
	v_cndmask_b32_e32 v29, v29, v6, vcc
	;; [unrolled: 2-line block ×16, first 2 shown]
	v_cmp_eq_u32_e32 vcc, 19, v0
	ds_read_b32 v28, v27
	v_cndmask_b32_e32 v29, v29, v21, vcc
	v_cmp_eq_u32_e32 vcc, 20, v0
	v_cndmask_b32_e32 v29, v29, v22, vcc
	v_cmp_eq_u32_e32 vcc, 21, v0
	;; [unrolled: 2-line block ×4, first 2 shown]
	v_cndmask_b32_e32 v29, v29, v25, vcc
	v_add_u32_e32 v27, 4, v27
	s_waitcnt lgkmcnt(0)
	v_fmac_f32_e32 v26, v29, v28
	s_andn2_b64 exec, exec, s[2:3]
	s_cbranch_execnz .LBB87_583
; %bb.584:
	s_or_b64 exec, exec, s[2:3]
.LBB87_585:
	s_or_b64 exec, exec, s[6:7]
	v_mov_b32_e32 v0, 0
	ds_read_b32 v0, v0 offset:92
	s_waitcnt lgkmcnt(0)
	v_mul_f32_e32 v25, v26, v0
.LBB87_586:
	s_or_b64 exec, exec, s[4:5]
	v_mov_b32_e32 v65, v33
	v_mov_b32_e32 v64, v32
	;; [unrolled: 1-line block ×32, first 2 shown]
.LBB87_587:
	flat_store_dword v[110:111], v34
	flat_store_dword v[112:113], v35
	;; [unrolled: 1-line block ×24, first 2 shown]
.LBB87_588:
	s_endpgm
	.section	.rodata,"a",@progbits
	.p2align	6, 0x0
	.amdhsa_kernel _ZN9rocsolver6v33100L18trti2_kernel_smallILi24EfPKPfEEv13rocblas_fill_17rocblas_diagonal_T1_iil
		.amdhsa_group_segment_fixed_size 192
		.amdhsa_private_segment_fixed_size 0
		.amdhsa_kernarg_size 32
		.amdhsa_user_sgpr_count 6
		.amdhsa_user_sgpr_private_segment_buffer 1
		.amdhsa_user_sgpr_dispatch_ptr 0
		.amdhsa_user_sgpr_queue_ptr 0
		.amdhsa_user_sgpr_kernarg_segment_ptr 1
		.amdhsa_user_sgpr_dispatch_id 0
		.amdhsa_user_sgpr_flat_scratch_init 0
		.amdhsa_user_sgpr_private_segment_size 0
		.amdhsa_uses_dynamic_stack 0
		.amdhsa_system_sgpr_private_segment_wavefront_offset 0
		.amdhsa_system_sgpr_workgroup_id_x 1
		.amdhsa_system_sgpr_workgroup_id_y 0
		.amdhsa_system_sgpr_workgroup_id_z 0
		.amdhsa_system_sgpr_workgroup_info 0
		.amdhsa_system_vgpr_workitem_id 0
		.amdhsa_next_free_vgpr 127
		.amdhsa_next_free_sgpr 56
		.amdhsa_reserve_vcc 1
		.amdhsa_reserve_flat_scratch 0
		.amdhsa_float_round_mode_32 0
		.amdhsa_float_round_mode_16_64 0
		.amdhsa_float_denorm_mode_32 3
		.amdhsa_float_denorm_mode_16_64 3
		.amdhsa_dx10_clamp 1
		.amdhsa_ieee_mode 1
		.amdhsa_fp16_overflow 0
		.amdhsa_exception_fp_ieee_invalid_op 0
		.amdhsa_exception_fp_denorm_src 0
		.amdhsa_exception_fp_ieee_div_zero 0
		.amdhsa_exception_fp_ieee_overflow 0
		.amdhsa_exception_fp_ieee_underflow 0
		.amdhsa_exception_fp_ieee_inexact 0
		.amdhsa_exception_int_div_zero 0
	.end_amdhsa_kernel
	.section	.text._ZN9rocsolver6v33100L18trti2_kernel_smallILi24EfPKPfEEv13rocblas_fill_17rocblas_diagonal_T1_iil,"axG",@progbits,_ZN9rocsolver6v33100L18trti2_kernel_smallILi24EfPKPfEEv13rocblas_fill_17rocblas_diagonal_T1_iil,comdat
.Lfunc_end87:
	.size	_ZN9rocsolver6v33100L18trti2_kernel_smallILi24EfPKPfEEv13rocblas_fill_17rocblas_diagonal_T1_iil, .Lfunc_end87-_ZN9rocsolver6v33100L18trti2_kernel_smallILi24EfPKPfEEv13rocblas_fill_17rocblas_diagonal_T1_iil
                                        ; -- End function
	.set _ZN9rocsolver6v33100L18trti2_kernel_smallILi24EfPKPfEEv13rocblas_fill_17rocblas_diagonal_T1_iil.num_vgpr, 127
	.set _ZN9rocsolver6v33100L18trti2_kernel_smallILi24EfPKPfEEv13rocblas_fill_17rocblas_diagonal_T1_iil.num_agpr, 0
	.set _ZN9rocsolver6v33100L18trti2_kernel_smallILi24EfPKPfEEv13rocblas_fill_17rocblas_diagonal_T1_iil.numbered_sgpr, 56
	.set _ZN9rocsolver6v33100L18trti2_kernel_smallILi24EfPKPfEEv13rocblas_fill_17rocblas_diagonal_T1_iil.num_named_barrier, 0
	.set _ZN9rocsolver6v33100L18trti2_kernel_smallILi24EfPKPfEEv13rocblas_fill_17rocblas_diagonal_T1_iil.private_seg_size, 0
	.set _ZN9rocsolver6v33100L18trti2_kernel_smallILi24EfPKPfEEv13rocblas_fill_17rocblas_diagonal_T1_iil.uses_vcc, 1
	.set _ZN9rocsolver6v33100L18trti2_kernel_smallILi24EfPKPfEEv13rocblas_fill_17rocblas_diagonal_T1_iil.uses_flat_scratch, 0
	.set _ZN9rocsolver6v33100L18trti2_kernel_smallILi24EfPKPfEEv13rocblas_fill_17rocblas_diagonal_T1_iil.has_dyn_sized_stack, 0
	.set _ZN9rocsolver6v33100L18trti2_kernel_smallILi24EfPKPfEEv13rocblas_fill_17rocblas_diagonal_T1_iil.has_recursion, 0
	.set _ZN9rocsolver6v33100L18trti2_kernel_smallILi24EfPKPfEEv13rocblas_fill_17rocblas_diagonal_T1_iil.has_indirect_call, 0
	.section	.AMDGPU.csdata,"",@progbits
; Kernel info:
; codeLenInByte = 34492
; TotalNumSgprs: 60
; NumVgprs: 127
; ScratchSize: 0
; MemoryBound: 0
; FloatMode: 240
; IeeeMode: 1
; LDSByteSize: 192 bytes/workgroup (compile time only)
; SGPRBlocks: 7
; VGPRBlocks: 31
; NumSGPRsForWavesPerEU: 60
; NumVGPRsForWavesPerEU: 127
; Occupancy: 2
; WaveLimiterHint : 1
; COMPUTE_PGM_RSRC2:SCRATCH_EN: 0
; COMPUTE_PGM_RSRC2:USER_SGPR: 6
; COMPUTE_PGM_RSRC2:TRAP_HANDLER: 0
; COMPUTE_PGM_RSRC2:TGID_X_EN: 1
; COMPUTE_PGM_RSRC2:TGID_Y_EN: 0
; COMPUTE_PGM_RSRC2:TGID_Z_EN: 0
; COMPUTE_PGM_RSRC2:TIDIG_COMP_CNT: 0
	.section	.text._ZN9rocsolver6v33100L18trti2_kernel_smallILi25EfPKPfEEv13rocblas_fill_17rocblas_diagonal_T1_iil,"axG",@progbits,_ZN9rocsolver6v33100L18trti2_kernel_smallILi25EfPKPfEEv13rocblas_fill_17rocblas_diagonal_T1_iil,comdat
	.globl	_ZN9rocsolver6v33100L18trti2_kernel_smallILi25EfPKPfEEv13rocblas_fill_17rocblas_diagonal_T1_iil ; -- Begin function _ZN9rocsolver6v33100L18trti2_kernel_smallILi25EfPKPfEEv13rocblas_fill_17rocblas_diagonal_T1_iil
	.p2align	8
	.type	_ZN9rocsolver6v33100L18trti2_kernel_smallILi25EfPKPfEEv13rocblas_fill_17rocblas_diagonal_T1_iil,@function
_ZN9rocsolver6v33100L18trti2_kernel_smallILi25EfPKPfEEv13rocblas_fill_17rocblas_diagonal_T1_iil: ; @_ZN9rocsolver6v33100L18trti2_kernel_smallILi25EfPKPfEEv13rocblas_fill_17rocblas_diagonal_T1_iil
; %bb.0:
	v_cmp_gt_u32_e32 vcc, 25, v0
	s_and_saveexec_b64 s[0:1], vcc
	s_cbranch_execz .LBB88_614
; %bb.1:
	s_load_dwordx2 s[0:1], s[4:5], 0x10
	s_load_dwordx4 s[52:55], s[4:5], 0x0
	s_ashr_i32 s7, s6, 31
	s_lshl_b64 s[2:3], s[6:7], 3
	v_lshlrev_b32_e32 v34, 2, v0
	s_waitcnt lgkmcnt(0)
	s_ashr_i32 s5, s0, 31
	s_add_u32 s2, s54, s2
	s_addc_u32 s3, s55, s3
	s_load_dwordx2 s[2:3], s[2:3], 0x0
	s_mov_b32 s4, s0
	s_lshl_b64 s[4:5], s[4:5], 2
	v_mov_b32_e32 v35, -1.0
	s_waitcnt lgkmcnt(0)
	s_add_u32 s0, s2, s4
	s_addc_u32 s2, s3, s5
	s_add_i32 s3, s1, s1
	v_add_u32_e32 v1, s3, v0
	v_ashrrev_i32_e32 v2, 31, v1
	v_lshlrev_b64 v[2:3], 2, v[1:2]
	v_add_u32_e32 v1, s1, v1
	v_mov_b32_e32 v4, s2
	v_add_co_u32_e32 v66, vcc, s0, v2
	v_ashrrev_i32_e32 v2, 31, v1
	v_addc_co_u32_e32 v67, vcc, v4, v3, vcc
	v_lshlrev_b64 v[2:3], 2, v[1:2]
	v_add_u32_e32 v1, s1, v1
	v_add_co_u32_e32 v68, vcc, s0, v2
	v_ashrrev_i32_e32 v2, 31, v1
	v_addc_co_u32_e32 v69, vcc, v4, v3, vcc
	v_lshlrev_b64 v[2:3], 2, v[1:2]
	v_add_u32_e32 v1, s1, v1
	;; [unrolled: 5-line block ×21, first 2 shown]
	v_add_co_u32_e32 v108, vcc, s0, v2
	v_ashrrev_i32_e32 v2, 31, v1
	v_lshlrev_b64 v[1:2], 2, v[1:2]
	v_addc_co_u32_e32 v109, vcc, v4, v3, vcc
	v_mov_b32_e32 v3, s2
	v_add_co_u32_e32 v110, vcc, s0, v1
	v_addc_co_u32_e32 v111, vcc, v3, v2, vcc
	v_mov_b32_e32 v1, s2
	v_add_co_u32_e32 v112, vcc, s0, v34
	s_ashr_i32 s3, s1, 31
	s_mov_b32 s2, s1
	v_addc_co_u32_e32 v113, vcc, 0, v1, vcc
	s_lshl_b64 s[0:1], s[2:3], 2
	v_mov_b32_e32 v1, s1
	v_add_co_u32_e32 v114, vcc, s0, v112
	v_addc_co_u32_e32 v115, vcc, v113, v1, vcc
	flat_load_dword v2, v[112:113]
	flat_load_dword v3, v[114:115]
	;; [unrolled: 1-line block ×25, first 2 shown]
	s_cmpk_lg_i32 s53, 0x84
	v_mov_b32_e32 v1, 0
	s_cselect_b64 s[54:55], -1, 0
	s_cmpk_eq_i32 s53, 0x84
	v_cmp_eq_u32_e64 s[0:1], 0, v0
	s_cbranch_scc1 .LBB88_3
; %bb.2:
	v_cmp_eq_u32_e64 s[2:3], 1, v0
	s_waitcnt vmcnt(0) lgkmcnt(0)
	v_cndmask_b32_e64 v27, v2, v3, s[2:3]
	v_cmp_eq_u32_e64 s[4:5], 2, v0
	v_cndmask_b32_e64 v27, v27, v4, s[4:5]
	v_cmp_eq_u32_e64 s[6:7], 3, v0
	;; [unrolled: 2-line block ×23, first 2 shown]
	v_cndmask_b32_e64 v27, v27, v26, s[50:51]
	v_div_scale_f32 v28, s[56:57], v27, v27, 1.0
	v_div_scale_f32 v29, vcc, 1.0, v27, 1.0
	v_rcp_f32_e32 v30, v28
	v_fma_f32 v31, -v28, v30, 1.0
	v_fmac_f32_e32 v30, v31, v30
	v_mul_f32_e32 v31, v29, v30
	v_fma_f32 v32, -v28, v31, v29
	v_fmac_f32_e32 v31, v32, v30
	v_fma_f32 v28, -v28, v31, v29
	v_div_fmas_f32 v28, v28, v30, v31
	v_div_fixup_f32 v27, v28, v27, 1.0
	v_cndmask_b32_e64 v26, v26, v27, s[50:51]
	v_cndmask_b32_e64 v25, v25, v27, s[48:49]
	;; [unrolled: 1-line block ×25, first 2 shown]
	v_xor_b32_e32 v35, 0x80000000, v27
.LBB88_3:
	s_cmpk_eq_i32 s52, 0x79
	v_add_u32_e32 v116, 0x70, v34
	ds_write_b32 v34, v35
	s_cbranch_scc1 .LBB88_7
; %bb.4:
	s_waitcnt vmcnt(0) lgkmcnt(0)
	v_mov_b32_e32 v65, v33
	v_mov_b32_e32 v64, v32
	;; [unrolled: 1-line block ×32, first 2 shown]
	v_cmp_eq_u32_e64 s[2:3], 24, v0
	ds_write_b32 v116, v25
	s_waitcnt lgkmcnt(0)
	; wave barrier
	s_and_saveexec_b64 s[0:1], s[2:3]
	s_cbranch_execz .LBB88_11
; %bb.5:
	s_and_b64 vcc, exec, s[54:55]
	s_cbranch_vccz .LBB88_8
; %bb.6:
	v_cmp_eq_u32_e32 vcc, 1, v0
	v_cndmask_b32_e32 v34, v2, v3, vcc
	v_cmp_eq_u32_e32 vcc, 2, v0
	v_cndmask_b32_e32 v34, v34, v4, vcc
	;; [unrolled: 2-line block ×20, first 2 shown]
	v_cmp_eq_u32_e32 vcc, 21, v0
	ds_read_b32 v35, v116
	v_cndmask_b32_e32 v34, v34, v23, vcc
	v_cmp_eq_u32_e32 vcc, 22, v0
	v_cndmask_b32_e32 v34, v34, v24, vcc
	v_cmp_eq_u32_e32 vcc, 23, v0
	;; [unrolled: 2-line block ×3, first 2 shown]
	v_cndmask_b32_e32 v34, v34, v26, vcc
	s_waitcnt lgkmcnt(0)
	v_mul_f32_e32 v38, v34, v35
	s_cbranch_execz .LBB88_9
	s_branch .LBB88_10
.LBB88_7:
                                        ; implicit-def: $vgpr34_vgpr35_vgpr36_vgpr37_vgpr38_vgpr39_vgpr40_vgpr41_vgpr42_vgpr43_vgpr44_vgpr45_vgpr46_vgpr47_vgpr48_vgpr49_vgpr50_vgpr51_vgpr52_vgpr53_vgpr54_vgpr55_vgpr56_vgpr57_vgpr58_vgpr59_vgpr60_vgpr61_vgpr62_vgpr63_vgpr64_vgpr65
	s_cbranch_execnz .LBB88_370
	s_branch .LBB88_613
.LBB88_8:
                                        ; implicit-def: $vgpr38
.LBB88_9:
	ds_read_b32 v38, v116
.LBB88_10:
	v_mov_b32_e32 v34, 0
	ds_read_b32 v39, v34 offset:92
	v_mov_b32_e32 v34, v2
	v_mov_b32_e32 v35, v3
	;; [unrolled: 1-line block ×4, first 2 shown]
	s_waitcnt lgkmcnt(0)
	v_mul_f32_e32 v57, v38, v39
	v_mov_b32_e32 v38, v6
	v_mov_b32_e32 v39, v7
	;; [unrolled: 1-line block ×20, first 2 shown]
.LBB88_11:
	s_or_b64 exec, exec, s[0:1]
	v_cmp_lt_u32_e64 s[0:1], 22, v0
	ds_write_b32 v116, v56
	s_waitcnt lgkmcnt(0)
	; wave barrier
	s_and_saveexec_b64 s[4:5], s[0:1]
	s_cbranch_execz .LBB88_17
; %bb.12:
	s_andn2_b64 vcc, exec, s[54:55]
	s_cbranch_vccnz .LBB88_14
; %bb.13:
	v_cmp_eq_u32_e32 vcc, 1, v0
	v_cndmask_b32_e32 v59, v34, v35, vcc
	v_cmp_eq_u32_e32 vcc, 2, v0
	v_cndmask_b32_e32 v59, v59, v36, vcc
	;; [unrolled: 2-line block ×22, first 2 shown]
	ds_read_b32 v59, v116
	v_cmp_eq_u32_e32 vcc, 23, v0
	v_cndmask_b32_e32 v56, v56, v57, vcc
	v_cmp_eq_u32_e32 vcc, 24, v0
	v_cndmask_b32_e32 v56, v56, v58, vcc
	s_waitcnt lgkmcnt(0)
	v_mul_f32_e32 v56, v56, v59
	s_cbranch_execz .LBB88_15
	s_branch .LBB88_16
.LBB88_14:
                                        ; implicit-def: $vgpr56
.LBB88_15:
	ds_read_b32 v56, v116
.LBB88_16:
	v_mov_b32_e32 v59, 0
	ds_read2_b32 v[59:60], v59 offset0:22 offset1:51
	s_waitcnt lgkmcnt(0)
	v_fma_f32 v60, v57, v60, v56
	v_cndmask_b32_e64 v56, v56, v60, s[2:3]
	v_mul_f32_e32 v56, v56, v59
.LBB88_17:
	s_or_b64 exec, exec, s[4:5]
	v_cmp_lt_u32_e64 s[2:3], 21, v0
	ds_write_b32 v116, v55
	s_waitcnt lgkmcnt(0)
	; wave barrier
	s_and_saveexec_b64 s[4:5], s[2:3]
	s_cbranch_execz .LBB88_33
; %bb.18:
	s_andn2_b64 vcc, exec, s[54:55]
	s_cbranch_vccnz .LBB88_20
; %bb.19:
	v_cmp_eq_u32_e32 vcc, 1, v0
	v_cndmask_b32_e32 v117, v34, v35, vcc
	v_cmp_eq_u32_e32 vcc, 2, v0
	v_cndmask_b32_e32 v117, v117, v36, vcc
	;; [unrolled: 2-line block ×20, first 2 shown]
	v_cmp_eq_u32_e32 vcc, 21, v0
	ds_read_b32 v118, v116
	v_cndmask_b32_e32 v117, v117, v55, vcc
	v_cmp_eq_u32_e32 vcc, 22, v0
	v_cndmask_b32_e32 v117, v117, v56, vcc
	v_cmp_eq_u32_e32 vcc, 23, v0
	;; [unrolled: 2-line block ×3, first 2 shown]
	v_cndmask_b32_e32 v117, v117, v58, vcc
	s_waitcnt lgkmcnt(0)
	v_mul_f32_e32 v117, v117, v118
	s_cbranch_execz .LBB88_21
	s_branch .LBB88_22
.LBB88_20:
                                        ; implicit-def: $vgpr117
.LBB88_21:
	ds_read_b32 v117, v116
.LBB88_22:
	s_and_saveexec_b64 s[6:7], s[0:1]
	s_cbranch_execz .LBB88_32
; %bb.23:
	v_subrev_u32_e32 v120, 23, v0
	v_mov_b32_e32 v118, 22
	v_subrev_u32_e32 v119, 22, v0
	v_cmp_lt_u32_e32 vcc, 6, v120
	s_and_saveexec_b64 s[0:1], vcc
	s_cbranch_execz .LBB88_27
; %bb.24:
	v_and_b32_e32 v118, -8, v119
	v_sub_u32_e32 v120, 0, v118
	s_mov_b64 s[8:9], 29
	s_movk_i32 s12, 0xc8
	s_mov_b64 s[10:11], 0
.LBB88_25:                              ; =>This Inner Loop Header: Depth=1
	s_add_i32 s13, s8, -7
	v_mov_b32_e32 v125, s12
	s_set_gpr_idx_on s13, gpr_idx(SRC0)
	v_mov_b32_e32 v118, v34
	s_set_gpr_idx_off
	ds_read2_b64 v[121:124], v125 offset1:1
	s_add_i32 s13, s8, -6
	s_waitcnt lgkmcnt(0)
	v_fmac_f32_e32 v117, v118, v121
	s_set_gpr_idx_on s13, gpr_idx(SRC0)
	v_mov_b32_e32 v118, v34
	s_set_gpr_idx_off
	s_add_i32 s13, s8, -5
	v_fmac_f32_e32 v117, v118, v122
	s_set_gpr_idx_on s13, gpr_idx(SRC0)
	v_mov_b32_e32 v118, v34
	s_set_gpr_idx_off
	s_add_i32 s13, s8, -4
	;; [unrolled: 5-line block ×3, first 2 shown]
	v_fmac_f32_e32 v117, v118, v124
	s_set_gpr_idx_on s13, gpr_idx(SRC0)
	v_mov_b32_e32 v118, v34
	s_set_gpr_idx_off
	ds_read2_b64 v[121:124], v125 offset0:2 offset1:3
	s_add_i32 s13, s8, -2
	s_waitcnt lgkmcnt(0)
	v_fmac_f32_e32 v117, v118, v121
	s_set_gpr_idx_on s13, gpr_idx(SRC0)
	v_mov_b32_e32 v118, v34
	s_set_gpr_idx_off
	s_add_i32 s13, s8, -1
	v_fmac_f32_e32 v117, v118, v122
	s_set_gpr_idx_on s13, gpr_idx(SRC0)
	v_mov_b32_e32 v118, v34
	s_set_gpr_idx_off
	v_fmac_f32_e32 v117, v118, v123
	s_set_gpr_idx_on s8, gpr_idx(SRC0)
	v_mov_b32_e32 v118, v34
	s_set_gpr_idx_off
	s_add_u32 s8, s8, 8
	v_fmac_f32_e32 v117, v118, v124
	v_add_u32_e32 v118, s8, v120
	s_addc_u32 s9, s9, 0
	s_add_i32 s12, s12, 32
	v_cmp_eq_u32_e32 vcc, 29, v118
	s_add_i32 s13, s8, -7
	s_or_b64 s[10:11], vcc, s[10:11]
	v_mov_b32_e32 v118, s13
	s_andn2_b64 exec, exec, s[10:11]
	s_cbranch_execnz .LBB88_25
; %bb.26:
	s_or_b64 exec, exec, s[10:11]
.LBB88_27:
	s_or_b64 exec, exec, s[0:1]
	v_and_b32_e32 v59, 7, v119
	v_cmp_ne_u32_e32 vcc, 0, v59
	s_and_saveexec_b64 s[8:9], vcc
	s_cbranch_execz .LBB88_31
; %bb.28:
	v_mov_b32_e32 v60, 0x70
	v_lshl_add_u32 v60, v118, 2, v60
	v_mov_b32_e32 v61, 0
	s_mov_b64 s[10:11], 0
.LBB88_29:                              ; =>This Inner Loop Header: Depth=1
	v_cmp_eq_u32_e32 vcc, 1, v118
	v_cndmask_b32_e32 v62, v34, v35, vcc
	v_add_u32_e32 v59, -1, v59
	v_cmp_eq_u32_e32 vcc, 2, v118
	v_cndmask_b32_e32 v62, v62, v36, vcc
	v_cmp_eq_u32_e32 vcc, 0, v59
	v_cmp_eq_u32_e64 s[0:1], 3, v118
	v_cndmask_b32_e64 v62, v62, v37, s[0:1]
	s_or_b64 s[10:11], vcc, s[10:11]
	v_cmp_eq_u32_e32 vcc, 4, v118
	v_cndmask_b32_e32 v62, v62, v38, vcc
	v_cmp_eq_u32_e32 vcc, 5, v118
	v_cndmask_b32_e32 v62, v62, v39, vcc
	v_cmp_eq_u32_e32 vcc, 6, v118
	v_cndmask_b32_e32 v62, v62, v40, vcc
	v_cmp_eq_u32_e32 vcc, 7, v118
	v_cndmask_b32_e32 v62, v62, v41, vcc
	v_cmp_eq_u32_e32 vcc, 8, v118
	v_cndmask_b32_e32 v62, v62, v42, vcc
	v_cmp_eq_u32_e32 vcc, 9, v118
	v_cndmask_b32_e32 v62, v62, v43, vcc
	v_cmp_eq_u32_e32 vcc, 10, v118
	v_cndmask_b32_e32 v62, v62, v44, vcc
	v_cmp_eq_u32_e32 vcc, 11, v118
	v_cndmask_b32_e32 v62, v62, v45, vcc
	v_cmp_eq_u32_e32 vcc, 12, v118
	v_cndmask_b32_e32 v62, v62, v46, vcc
	v_cmp_eq_u32_e32 vcc, 13, v118
	v_cndmask_b32_e32 v62, v62, v47, vcc
	v_cmp_eq_u32_e32 vcc, 14, v118
	v_cndmask_b32_e32 v62, v62, v48, vcc
	v_cmp_eq_u32_e32 vcc, 15, v118
	v_cndmask_b32_e32 v62, v62, v49, vcc
	v_cmp_eq_u32_e32 vcc, 16, v118
	v_cndmask_b32_e32 v62, v62, v50, vcc
	v_cmp_eq_u32_e32 vcc, 17, v118
	v_cndmask_b32_e32 v62, v62, v51, vcc
	v_cmp_eq_u32_e32 vcc, 18, v118
	v_cndmask_b32_e32 v62, v62, v52, vcc
	v_cmp_eq_u32_e32 vcc, 19, v118
	v_cndmask_b32_e32 v62, v62, v53, vcc
	v_cmp_eq_u32_e32 vcc, 20, v118
	ds_read_b32 v63, v60
	v_cndmask_b32_e32 v62, v62, v54, vcc
	v_cmp_eq_u32_e32 vcc, 21, v118
	v_cndmask_b32_e32 v62, v62, v55, vcc
	v_cmp_eq_u32_e32 vcc, 22, v118
	v_cndmask_b32_e32 v62, v62, v56, vcc
	v_cmp_eq_u32_e32 vcc, 23, v118
	v_cndmask_b32_e32 v62, v62, v57, vcc
	v_cmp_eq_u32_e32 vcc, 24, v118
	v_add_co_u32_e64 v118, s[0:1], 1, v118
	v_cndmask_b32_e32 v62, v62, v58, vcc
	v_add_u32_e32 v60, 4, v60
	v_addc_co_u32_e64 v61, s[0:1], 0, v61, s[0:1]
	s_waitcnt lgkmcnt(0)
	v_fmac_f32_e32 v117, v62, v63
	s_andn2_b64 exec, exec, s[10:11]
	s_cbranch_execnz .LBB88_29
; %bb.30:
	s_or_b64 exec, exec, s[10:11]
.LBB88_31:
	s_or_b64 exec, exec, s[8:9]
.LBB88_32:
	s_or_b64 exec, exec, s[6:7]
	v_mov_b32_e32 v55, 0
	ds_read_b32 v55, v55 offset:84
	s_waitcnt lgkmcnt(0)
	v_mul_f32_e32 v55, v117, v55
.LBB88_33:
	s_or_b64 exec, exec, s[4:5]
	v_cmp_lt_u32_e64 s[0:1], 20, v0
	ds_write_b32 v116, v54
	s_waitcnt lgkmcnt(0)
	; wave barrier
	s_and_saveexec_b64 s[4:5], s[0:1]
	s_cbranch_execz .LBB88_49
; %bb.34:
	s_andn2_b64 vcc, exec, s[54:55]
	s_cbranch_vccnz .LBB88_36
; %bb.35:
	v_cmp_eq_u32_e32 vcc, 1, v0
	v_cndmask_b32_e32 v117, v34, v35, vcc
	v_cmp_eq_u32_e32 vcc, 2, v0
	v_cndmask_b32_e32 v117, v117, v36, vcc
	;; [unrolled: 2-line block ×20, first 2 shown]
	v_cmp_eq_u32_e32 vcc, 21, v0
	ds_read_b32 v118, v116
	v_cndmask_b32_e32 v117, v117, v55, vcc
	v_cmp_eq_u32_e32 vcc, 22, v0
	v_cndmask_b32_e32 v117, v117, v56, vcc
	v_cmp_eq_u32_e32 vcc, 23, v0
	;; [unrolled: 2-line block ×3, first 2 shown]
	v_cndmask_b32_e32 v117, v117, v58, vcc
	s_waitcnt lgkmcnt(0)
	v_mul_f32_e32 v117, v117, v118
	s_cbranch_execz .LBB88_37
	s_branch .LBB88_38
.LBB88_36:
                                        ; implicit-def: $vgpr117
.LBB88_37:
	ds_read_b32 v117, v116
.LBB88_38:
	s_and_saveexec_b64 s[6:7], s[2:3]
	s_cbranch_execz .LBB88_48
; %bb.39:
	v_subrev_u32_e32 v120, 22, v0
	v_mov_b32_e32 v118, 21
	v_subrev_u32_e32 v119, 21, v0
	v_cmp_lt_u32_e32 vcc, 6, v120
	s_and_saveexec_b64 s[2:3], vcc
	s_cbranch_execz .LBB88_43
; %bb.40:
	v_and_b32_e32 v118, -8, v119
	v_sub_u32_e32 v120, 0, v118
	s_mov_b64 s[8:9], 28
	s_movk_i32 s12, 0xc4
	s_mov_b64 s[10:11], 0
.LBB88_41:                              ; =>This Inner Loop Header: Depth=1
	s_add_i32 s13, s8, -7
	v_mov_b32_e32 v123, s12
	s_set_gpr_idx_on s13, gpr_idx(SRC0)
	v_mov_b32_e32 v118, v34
	s_set_gpr_idx_off
	ds_read2_b32 v[121:122], v123 offset1:1
	s_add_i32 s13, s8, -6
	s_waitcnt lgkmcnt(0)
	v_fmac_f32_e32 v117, v118, v121
	s_set_gpr_idx_on s13, gpr_idx(SRC0)
	v_mov_b32_e32 v118, v34
	s_set_gpr_idx_off
	s_add_i32 s13, s8, -5
	v_fmac_f32_e32 v117, v118, v122
	s_set_gpr_idx_on s13, gpr_idx(SRC0)
	v_mov_b32_e32 v118, v34
	s_set_gpr_idx_off
	ds_read2_b32 v[121:122], v123 offset0:2 offset1:3
	s_add_i32 s13, s8, -4
	s_waitcnt lgkmcnt(0)
	v_fmac_f32_e32 v117, v118, v121
	s_set_gpr_idx_on s13, gpr_idx(SRC0)
	v_mov_b32_e32 v118, v34
	s_set_gpr_idx_off
	s_add_i32 s13, s8, -3
	v_fmac_f32_e32 v117, v118, v122
	s_set_gpr_idx_on s13, gpr_idx(SRC0)
	v_mov_b32_e32 v118, v34
	s_set_gpr_idx_off
	ds_read2_b32 v[121:122], v123 offset0:4 offset1:5
	;; [unrolled: 12-line block ×3, first 2 shown]
	s_waitcnt lgkmcnt(0)
	v_fmac_f32_e32 v117, v118, v121
	s_set_gpr_idx_on s8, gpr_idx(SRC0)
	v_mov_b32_e32 v118, v34
	s_set_gpr_idx_off
	s_add_u32 s8, s8, 8
	v_fmac_f32_e32 v117, v118, v122
	v_add_u32_e32 v118, s8, v120
	s_addc_u32 s9, s9, 0
	s_add_i32 s12, s12, 32
	v_cmp_eq_u32_e32 vcc, 28, v118
	s_add_i32 s13, s8, -7
	s_or_b64 s[10:11], vcc, s[10:11]
	v_mov_b32_e32 v118, s13
	s_andn2_b64 exec, exec, s[10:11]
	s_cbranch_execnz .LBB88_41
; %bb.42:
	s_or_b64 exec, exec, s[10:11]
.LBB88_43:
	s_or_b64 exec, exec, s[2:3]
	v_and_b32_e32 v59, 7, v119
	v_cmp_ne_u32_e32 vcc, 0, v59
	s_and_saveexec_b64 s[8:9], vcc
	s_cbranch_execz .LBB88_47
; %bb.44:
	v_mov_b32_e32 v60, 0x70
	v_lshl_add_u32 v60, v118, 2, v60
	v_mov_b32_e32 v61, 0
	s_mov_b64 s[10:11], 0
.LBB88_45:                              ; =>This Inner Loop Header: Depth=1
	v_cmp_eq_u32_e32 vcc, 1, v118
	v_cndmask_b32_e32 v62, v34, v35, vcc
	v_add_u32_e32 v59, -1, v59
	v_cmp_eq_u32_e32 vcc, 2, v118
	v_cndmask_b32_e32 v62, v62, v36, vcc
	v_cmp_eq_u32_e32 vcc, 0, v59
	v_cmp_eq_u32_e64 s[2:3], 3, v118
	v_cndmask_b32_e64 v62, v62, v37, s[2:3]
	s_or_b64 s[10:11], vcc, s[10:11]
	v_cmp_eq_u32_e32 vcc, 4, v118
	v_cndmask_b32_e32 v62, v62, v38, vcc
	v_cmp_eq_u32_e32 vcc, 5, v118
	v_cndmask_b32_e32 v62, v62, v39, vcc
	;; [unrolled: 2-line block ×16, first 2 shown]
	v_cmp_eq_u32_e32 vcc, 20, v118
	ds_read_b32 v63, v60
	v_cndmask_b32_e32 v62, v62, v54, vcc
	v_cmp_eq_u32_e32 vcc, 21, v118
	v_cndmask_b32_e32 v62, v62, v55, vcc
	v_cmp_eq_u32_e32 vcc, 22, v118
	v_cndmask_b32_e32 v62, v62, v56, vcc
	v_cmp_eq_u32_e32 vcc, 23, v118
	v_cndmask_b32_e32 v62, v62, v57, vcc
	v_cmp_eq_u32_e32 vcc, 24, v118
	v_add_co_u32_e64 v118, s[2:3], 1, v118
	v_cndmask_b32_e32 v62, v62, v58, vcc
	v_add_u32_e32 v60, 4, v60
	v_addc_co_u32_e64 v61, s[2:3], 0, v61, s[2:3]
	s_waitcnt lgkmcnt(0)
	v_fmac_f32_e32 v117, v62, v63
	s_andn2_b64 exec, exec, s[10:11]
	s_cbranch_execnz .LBB88_45
; %bb.46:
	s_or_b64 exec, exec, s[10:11]
.LBB88_47:
	s_or_b64 exec, exec, s[8:9]
.LBB88_48:
	s_or_b64 exec, exec, s[6:7]
	v_mov_b32_e32 v54, 0
	ds_read_b32 v54, v54 offset:80
	s_waitcnt lgkmcnt(0)
	v_mul_f32_e32 v54, v117, v54
.LBB88_49:
	s_or_b64 exec, exec, s[4:5]
	v_cmp_lt_u32_e64 s[2:3], 19, v0
	ds_write_b32 v116, v53
	s_waitcnt lgkmcnt(0)
	; wave barrier
	s_and_saveexec_b64 s[4:5], s[2:3]
	s_cbranch_execz .LBB88_65
; %bb.50:
	s_andn2_b64 vcc, exec, s[54:55]
	s_cbranch_vccnz .LBB88_52
; %bb.51:
	v_cmp_eq_u32_e32 vcc, 1, v0
	v_cndmask_b32_e32 v117, v34, v35, vcc
	v_cmp_eq_u32_e32 vcc, 2, v0
	v_cndmask_b32_e32 v117, v117, v36, vcc
	;; [unrolled: 2-line block ×20, first 2 shown]
	v_cmp_eq_u32_e32 vcc, 21, v0
	ds_read_b32 v118, v116
	v_cndmask_b32_e32 v117, v117, v55, vcc
	v_cmp_eq_u32_e32 vcc, 22, v0
	v_cndmask_b32_e32 v117, v117, v56, vcc
	v_cmp_eq_u32_e32 vcc, 23, v0
	;; [unrolled: 2-line block ×3, first 2 shown]
	v_cndmask_b32_e32 v117, v117, v58, vcc
	s_waitcnt lgkmcnt(0)
	v_mul_f32_e32 v117, v117, v118
	s_cbranch_execz .LBB88_53
	s_branch .LBB88_54
.LBB88_52:
                                        ; implicit-def: $vgpr117
.LBB88_53:
	ds_read_b32 v117, v116
.LBB88_54:
	s_and_saveexec_b64 s[6:7], s[0:1]
	s_cbranch_execz .LBB88_64
; %bb.55:
	v_subrev_u32_e32 v120, 21, v0
	v_mov_b32_e32 v118, 20
	v_subrev_u32_e32 v119, 20, v0
	v_cmp_lt_u32_e32 vcc, 6, v120
	s_and_saveexec_b64 s[0:1], vcc
	s_cbranch_execz .LBB88_59
; %bb.56:
	v_and_b32_e32 v118, -8, v119
	v_sub_u32_e32 v120, 0, v118
	s_mov_b64 s[8:9], 27
	s_movk_i32 s12, 0xc0
	s_mov_b64 s[10:11], 0
.LBB88_57:                              ; =>This Inner Loop Header: Depth=1
	s_add_i32 s13, s8, -7
	v_mov_b32_e32 v118, s12
	s_add_i32 s14, s8, -6
	s_set_gpr_idx_on s13, gpr_idx(SRC0)
	v_mov_b32_e32 v129, v34
	s_set_gpr_idx_off
	s_add_i32 s15, s8, -5
	ds_read_b128 v[121:124], v118
	ds_read_b128 v[125:128], v118 offset:16
	s_set_gpr_idx_on s14, gpr_idx(SRC0)
	v_mov_b32_e32 v118, v34
	s_set_gpr_idx_off
	s_add_i32 s16, s8, -4
	s_set_gpr_idx_on s15, gpr_idx(SRC0)
	v_mov_b32_e32 v130, v34
	s_set_gpr_idx_off
	s_add_i32 s17, s8, -3
	;; [unrolled: 4-line block ×4, first 2 shown]
	s_waitcnt lgkmcnt(1)
	v_fmac_f32_e32 v117, v129, v121
	s_set_gpr_idx_on s18, gpr_idx(SRC0)
	v_mov_b32_e32 v121, v34
	s_set_gpr_idx_off
	v_fmac_f32_e32 v117, v118, v122
	s_set_gpr_idx_on s19, gpr_idx(SRC0)
	v_mov_b32_e32 v122, v34
	s_set_gpr_idx_off
	;; [unrolled: 4-line block ×3, first 2 shown]
	v_fmac_f32_e32 v117, v131, v124
	s_add_u32 s8, s8, 8
	s_waitcnt lgkmcnt(0)
	v_fmac_f32_e32 v117, v132, v125
	v_add_u32_e32 v118, s8, v120
	v_fmac_f32_e32 v117, v121, v126
	s_addc_u32 s9, s9, 0
	s_add_i32 s12, s12, 32
	s_add_i32 s13, s8, -7
	v_cmp_eq_u32_e32 vcc, 27, v118
	v_fmac_f32_e32 v117, v122, v127
	v_mov_b32_e32 v118, s13
	s_or_b64 s[10:11], vcc, s[10:11]
	v_fmac_f32_e32 v117, v123, v128
	s_andn2_b64 exec, exec, s[10:11]
	s_cbranch_execnz .LBB88_57
; %bb.58:
	s_or_b64 exec, exec, s[10:11]
.LBB88_59:
	s_or_b64 exec, exec, s[0:1]
	v_and_b32_e32 v59, 7, v119
	v_cmp_ne_u32_e32 vcc, 0, v59
	s_and_saveexec_b64 s[8:9], vcc
	s_cbranch_execz .LBB88_63
; %bb.60:
	v_mov_b32_e32 v60, 0x70
	v_lshl_add_u32 v60, v118, 2, v60
	v_mov_b32_e32 v61, 0
	s_mov_b64 s[10:11], 0
.LBB88_61:                              ; =>This Inner Loop Header: Depth=1
	v_cmp_eq_u32_e32 vcc, 1, v118
	v_cndmask_b32_e32 v62, v34, v35, vcc
	v_add_u32_e32 v59, -1, v59
	v_cmp_eq_u32_e32 vcc, 2, v118
	v_cndmask_b32_e32 v62, v62, v36, vcc
	v_cmp_eq_u32_e32 vcc, 0, v59
	v_cmp_eq_u32_e64 s[0:1], 3, v118
	v_cndmask_b32_e64 v62, v62, v37, s[0:1]
	s_or_b64 s[10:11], vcc, s[10:11]
	v_cmp_eq_u32_e32 vcc, 4, v118
	v_cndmask_b32_e32 v62, v62, v38, vcc
	v_cmp_eq_u32_e32 vcc, 5, v118
	v_cndmask_b32_e32 v62, v62, v39, vcc
	;; [unrolled: 2-line block ×16, first 2 shown]
	v_cmp_eq_u32_e32 vcc, 20, v118
	ds_read_b32 v63, v60
	v_cndmask_b32_e32 v62, v62, v54, vcc
	v_cmp_eq_u32_e32 vcc, 21, v118
	v_cndmask_b32_e32 v62, v62, v55, vcc
	v_cmp_eq_u32_e32 vcc, 22, v118
	;; [unrolled: 2-line block ×4, first 2 shown]
	v_add_co_u32_e64 v118, s[0:1], 1, v118
	v_cndmask_b32_e32 v62, v62, v58, vcc
	v_add_u32_e32 v60, 4, v60
	v_addc_co_u32_e64 v61, s[0:1], 0, v61, s[0:1]
	s_waitcnt lgkmcnt(0)
	v_fmac_f32_e32 v117, v62, v63
	s_andn2_b64 exec, exec, s[10:11]
	s_cbranch_execnz .LBB88_61
; %bb.62:
	s_or_b64 exec, exec, s[10:11]
.LBB88_63:
	s_or_b64 exec, exec, s[8:9]
.LBB88_64:
	s_or_b64 exec, exec, s[6:7]
	v_mov_b32_e32 v53, 0
	ds_read_b32 v53, v53 offset:76
	s_waitcnt lgkmcnt(0)
	v_mul_f32_e32 v53, v117, v53
.LBB88_65:
	s_or_b64 exec, exec, s[4:5]
	v_cmp_lt_u32_e64 s[0:1], 18, v0
	ds_write_b32 v116, v52
	s_waitcnt lgkmcnt(0)
	; wave barrier
	s_and_saveexec_b64 s[4:5], s[0:1]
	s_cbranch_execz .LBB88_81
; %bb.66:
	s_andn2_b64 vcc, exec, s[54:55]
	s_cbranch_vccnz .LBB88_68
; %bb.67:
	v_cmp_eq_u32_e32 vcc, 1, v0
	v_cndmask_b32_e32 v117, v34, v35, vcc
	v_cmp_eq_u32_e32 vcc, 2, v0
	v_cndmask_b32_e32 v117, v117, v36, vcc
	;; [unrolled: 2-line block ×20, first 2 shown]
	v_cmp_eq_u32_e32 vcc, 21, v0
	ds_read_b32 v118, v116
	v_cndmask_b32_e32 v117, v117, v55, vcc
	v_cmp_eq_u32_e32 vcc, 22, v0
	v_cndmask_b32_e32 v117, v117, v56, vcc
	v_cmp_eq_u32_e32 vcc, 23, v0
	;; [unrolled: 2-line block ×3, first 2 shown]
	v_cndmask_b32_e32 v117, v117, v58, vcc
	s_waitcnt lgkmcnt(0)
	v_mul_f32_e32 v117, v117, v118
	s_cbranch_execz .LBB88_69
	s_branch .LBB88_70
.LBB88_68:
                                        ; implicit-def: $vgpr117
.LBB88_69:
	ds_read_b32 v117, v116
.LBB88_70:
	s_and_saveexec_b64 s[6:7], s[2:3]
	s_cbranch_execz .LBB88_80
; %bb.71:
	v_subrev_u32_e32 v120, 20, v0
	v_mov_b32_e32 v118, 19
	v_subrev_u32_e32 v119, 19, v0
	v_cmp_lt_u32_e32 vcc, 6, v120
	s_and_saveexec_b64 s[2:3], vcc
	s_cbranch_execz .LBB88_75
; %bb.72:
	v_and_b32_e32 v118, -8, v119
	v_sub_u32_e32 v120, 0, v118
	s_mov_b64 s[8:9], 26
	s_movk_i32 s12, 0xbc
	s_mov_b64 s[10:11], 0
.LBB88_73:                              ; =>This Inner Loop Header: Depth=1
	s_add_i32 s13, s8, -7
	v_mov_b32_e32 v118, s12
	s_add_i32 s14, s8, -6
	s_set_gpr_idx_on s13, gpr_idx(SRC0)
	v_mov_b32_e32 v127, v34
	s_set_gpr_idx_off
	ds_read2_b32 v[121:122], v118 offset1:1
	s_add_i32 s15, s8, -5
	s_set_gpr_idx_on s14, gpr_idx(SRC0)
	v_mov_b32_e32 v128, v34
	s_set_gpr_idx_off
	s_add_i32 s16, s8, -4
	s_set_gpr_idx_on s15, gpr_idx(SRC0)
	v_mov_b32_e32 v129, v34
	s_set_gpr_idx_off
	ds_read2_b32 v[123:124], v118 offset0:2 offset1:3
	s_add_i32 s17, s8, -3
	s_set_gpr_idx_on s16, gpr_idx(SRC0)
	v_mov_b32_e32 v130, v34
	s_set_gpr_idx_off
	s_add_i32 s18, s8, -2
	s_set_gpr_idx_on s17, gpr_idx(SRC0)
	v_mov_b32_e32 v131, v34
	s_set_gpr_idx_off
	ds_read2_b32 v[125:126], v118 offset0:4 offset1:5
	s_add_i32 s19, s8, -1
	s_waitcnt lgkmcnt(2)
	v_fmac_f32_e32 v117, v127, v121
	s_set_gpr_idx_on s18, gpr_idx(SRC0)
	v_mov_b32_e32 v127, v34
	s_set_gpr_idx_off
	v_fmac_f32_e32 v117, v128, v122
	s_set_gpr_idx_on s19, gpr_idx(SRC0)
	v_mov_b32_e32 v128, v34
	s_set_gpr_idx_off
	ds_read2_b32 v[121:122], v118 offset0:6 offset1:7
	s_waitcnt lgkmcnt(2)
	v_fmac_f32_e32 v117, v129, v123
	s_set_gpr_idx_on s8, gpr_idx(SRC0)
	v_mov_b32_e32 v123, v34
	s_set_gpr_idx_off
	v_fmac_f32_e32 v117, v130, v124
	s_add_u32 s8, s8, 8
	s_waitcnt lgkmcnt(1)
	v_fmac_f32_e32 v117, v131, v125
	v_add_u32_e32 v118, s8, v120
	v_fmac_f32_e32 v117, v127, v126
	s_addc_u32 s9, s9, 0
	s_add_i32 s12, s12, 32
	s_add_i32 s13, s8, -7
	v_cmp_eq_u32_e32 vcc, 26, v118
	s_waitcnt lgkmcnt(0)
	v_fmac_f32_e32 v117, v128, v121
	v_mov_b32_e32 v118, s13
	s_or_b64 s[10:11], vcc, s[10:11]
	v_fmac_f32_e32 v117, v123, v122
	s_andn2_b64 exec, exec, s[10:11]
	s_cbranch_execnz .LBB88_73
; %bb.74:
	s_or_b64 exec, exec, s[10:11]
.LBB88_75:
	s_or_b64 exec, exec, s[2:3]
	v_and_b32_e32 v59, 7, v119
	v_cmp_ne_u32_e32 vcc, 0, v59
	s_and_saveexec_b64 s[8:9], vcc
	s_cbranch_execz .LBB88_79
; %bb.76:
	v_mov_b32_e32 v60, 0x70
	v_lshl_add_u32 v60, v118, 2, v60
	v_mov_b32_e32 v61, 0
	s_mov_b64 s[10:11], 0
.LBB88_77:                              ; =>This Inner Loop Header: Depth=1
	v_cmp_eq_u32_e32 vcc, 1, v118
	v_cndmask_b32_e32 v62, v34, v35, vcc
	v_add_u32_e32 v59, -1, v59
	v_cmp_eq_u32_e32 vcc, 2, v118
	v_cndmask_b32_e32 v62, v62, v36, vcc
	v_cmp_eq_u32_e32 vcc, 0, v59
	v_cmp_eq_u32_e64 s[2:3], 3, v118
	v_cndmask_b32_e64 v62, v62, v37, s[2:3]
	s_or_b64 s[10:11], vcc, s[10:11]
	v_cmp_eq_u32_e32 vcc, 4, v118
	v_cndmask_b32_e32 v62, v62, v38, vcc
	v_cmp_eq_u32_e32 vcc, 5, v118
	v_cndmask_b32_e32 v62, v62, v39, vcc
	;; [unrolled: 2-line block ×16, first 2 shown]
	v_cmp_eq_u32_e32 vcc, 20, v118
	ds_read_b32 v63, v60
	v_cndmask_b32_e32 v62, v62, v54, vcc
	v_cmp_eq_u32_e32 vcc, 21, v118
	v_cndmask_b32_e32 v62, v62, v55, vcc
	v_cmp_eq_u32_e32 vcc, 22, v118
	;; [unrolled: 2-line block ×4, first 2 shown]
	v_add_co_u32_e64 v118, s[2:3], 1, v118
	v_cndmask_b32_e32 v62, v62, v58, vcc
	v_add_u32_e32 v60, 4, v60
	v_addc_co_u32_e64 v61, s[2:3], 0, v61, s[2:3]
	s_waitcnt lgkmcnt(0)
	v_fmac_f32_e32 v117, v62, v63
	s_andn2_b64 exec, exec, s[10:11]
	s_cbranch_execnz .LBB88_77
; %bb.78:
	s_or_b64 exec, exec, s[10:11]
.LBB88_79:
	s_or_b64 exec, exec, s[8:9]
.LBB88_80:
	s_or_b64 exec, exec, s[6:7]
	v_mov_b32_e32 v52, 0
	ds_read_b32 v52, v52 offset:72
	s_waitcnt lgkmcnt(0)
	v_mul_f32_e32 v52, v117, v52
.LBB88_81:
	s_or_b64 exec, exec, s[4:5]
	v_cmp_lt_u32_e64 s[2:3], 17, v0
	ds_write_b32 v116, v51
	s_waitcnt lgkmcnt(0)
	; wave barrier
	s_and_saveexec_b64 s[4:5], s[2:3]
	s_cbranch_execz .LBB88_97
; %bb.82:
	s_andn2_b64 vcc, exec, s[54:55]
	s_cbranch_vccnz .LBB88_84
; %bb.83:
	v_cmp_eq_u32_e32 vcc, 1, v0
	v_cndmask_b32_e32 v117, v34, v35, vcc
	v_cmp_eq_u32_e32 vcc, 2, v0
	v_cndmask_b32_e32 v117, v117, v36, vcc
	;; [unrolled: 2-line block ×20, first 2 shown]
	v_cmp_eq_u32_e32 vcc, 21, v0
	ds_read_b32 v118, v116
	v_cndmask_b32_e32 v117, v117, v55, vcc
	v_cmp_eq_u32_e32 vcc, 22, v0
	v_cndmask_b32_e32 v117, v117, v56, vcc
	v_cmp_eq_u32_e32 vcc, 23, v0
	;; [unrolled: 2-line block ×3, first 2 shown]
	v_cndmask_b32_e32 v117, v117, v58, vcc
	s_waitcnt lgkmcnt(0)
	v_mul_f32_e32 v117, v117, v118
	s_cbranch_execz .LBB88_85
	s_branch .LBB88_86
.LBB88_84:
                                        ; implicit-def: $vgpr117
.LBB88_85:
	ds_read_b32 v117, v116
.LBB88_86:
	s_and_saveexec_b64 s[6:7], s[0:1]
	s_cbranch_execz .LBB88_96
; %bb.87:
	v_subrev_u32_e32 v120, 19, v0
	v_mov_b32_e32 v118, 18
	v_subrev_u32_e32 v119, 18, v0
	v_cmp_lt_u32_e32 vcc, 6, v120
	s_and_saveexec_b64 s[0:1], vcc
	s_cbranch_execz .LBB88_91
; %bb.88:
	v_and_b32_e32 v118, -8, v119
	v_sub_u32_e32 v120, 0, v118
	s_mov_b64 s[8:9], 25
	s_movk_i32 s12, 0xb8
	s_mov_b64 s[10:11], 0
.LBB88_89:                              ; =>This Inner Loop Header: Depth=1
	s_add_i32 s13, s8, -7
	v_mov_b32_e32 v118, s12
	s_add_i32 s14, s8, -6
	s_set_gpr_idx_on s13, gpr_idx(SRC0)
	v_mov_b32_e32 v129, v34
	s_set_gpr_idx_off
	ds_read2_b64 v[121:124], v118 offset1:1
	s_add_i32 s15, s8, -5
	s_set_gpr_idx_on s14, gpr_idx(SRC0)
	v_mov_b32_e32 v130, v34
	s_set_gpr_idx_off
	s_add_i32 s16, s8, -4
	s_set_gpr_idx_on s15, gpr_idx(SRC0)
	v_mov_b32_e32 v131, v34
	s_set_gpr_idx_off
	;; [unrolled: 4-line block ×4, first 2 shown]
	ds_read2_b64 v[125:128], v118 offset0:2 offset1:3
	s_add_i32 s19, s8, -1
	s_waitcnt lgkmcnt(1)
	v_fmac_f32_e32 v117, v129, v121
	s_set_gpr_idx_on s18, gpr_idx(SRC0)
	v_mov_b32_e32 v121, v34
	s_set_gpr_idx_off
	v_fmac_f32_e32 v117, v130, v122
	s_set_gpr_idx_on s19, gpr_idx(SRC0)
	v_mov_b32_e32 v122, v34
	s_set_gpr_idx_off
	;; [unrolled: 4-line block ×3, first 2 shown]
	v_fmac_f32_e32 v117, v132, v124
	s_add_u32 s8, s8, 8
	s_waitcnt lgkmcnt(0)
	v_fmac_f32_e32 v117, v133, v125
	v_add_u32_e32 v118, s8, v120
	v_fmac_f32_e32 v117, v121, v126
	s_addc_u32 s9, s9, 0
	s_add_i32 s12, s12, 32
	s_add_i32 s13, s8, -7
	v_cmp_eq_u32_e32 vcc, 25, v118
	v_fmac_f32_e32 v117, v122, v127
	v_mov_b32_e32 v118, s13
	s_or_b64 s[10:11], vcc, s[10:11]
	v_fmac_f32_e32 v117, v123, v128
	s_andn2_b64 exec, exec, s[10:11]
	s_cbranch_execnz .LBB88_89
; %bb.90:
	s_or_b64 exec, exec, s[10:11]
.LBB88_91:
	s_or_b64 exec, exec, s[0:1]
	v_and_b32_e32 v59, 7, v119
	v_cmp_ne_u32_e32 vcc, 0, v59
	s_and_saveexec_b64 s[8:9], vcc
	s_cbranch_execz .LBB88_95
; %bb.92:
	v_mov_b32_e32 v60, 0x70
	v_lshl_add_u32 v60, v118, 2, v60
	v_mov_b32_e32 v61, 0
	s_mov_b64 s[10:11], 0
.LBB88_93:                              ; =>This Inner Loop Header: Depth=1
	v_cmp_eq_u32_e32 vcc, 1, v118
	v_cndmask_b32_e32 v62, v34, v35, vcc
	v_add_u32_e32 v59, -1, v59
	v_cmp_eq_u32_e32 vcc, 2, v118
	v_cndmask_b32_e32 v62, v62, v36, vcc
	v_cmp_eq_u32_e32 vcc, 0, v59
	v_cmp_eq_u32_e64 s[0:1], 3, v118
	v_cndmask_b32_e64 v62, v62, v37, s[0:1]
	s_or_b64 s[10:11], vcc, s[10:11]
	v_cmp_eq_u32_e32 vcc, 4, v118
	v_cndmask_b32_e32 v62, v62, v38, vcc
	v_cmp_eq_u32_e32 vcc, 5, v118
	v_cndmask_b32_e32 v62, v62, v39, vcc
	;; [unrolled: 2-line block ×16, first 2 shown]
	v_cmp_eq_u32_e32 vcc, 20, v118
	ds_read_b32 v63, v60
	v_cndmask_b32_e32 v62, v62, v54, vcc
	v_cmp_eq_u32_e32 vcc, 21, v118
	v_cndmask_b32_e32 v62, v62, v55, vcc
	v_cmp_eq_u32_e32 vcc, 22, v118
	;; [unrolled: 2-line block ×4, first 2 shown]
	v_add_co_u32_e64 v118, s[0:1], 1, v118
	v_cndmask_b32_e32 v62, v62, v58, vcc
	v_add_u32_e32 v60, 4, v60
	v_addc_co_u32_e64 v61, s[0:1], 0, v61, s[0:1]
	s_waitcnt lgkmcnt(0)
	v_fmac_f32_e32 v117, v62, v63
	s_andn2_b64 exec, exec, s[10:11]
	s_cbranch_execnz .LBB88_93
; %bb.94:
	s_or_b64 exec, exec, s[10:11]
.LBB88_95:
	s_or_b64 exec, exec, s[8:9]
.LBB88_96:
	s_or_b64 exec, exec, s[6:7]
	v_mov_b32_e32 v51, 0
	ds_read_b32 v51, v51 offset:68
	s_waitcnt lgkmcnt(0)
	v_mul_f32_e32 v51, v117, v51
.LBB88_97:
	s_or_b64 exec, exec, s[4:5]
	v_cmp_lt_u32_e64 s[0:1], 16, v0
	ds_write_b32 v116, v50
	s_waitcnt lgkmcnt(0)
	; wave barrier
	s_and_saveexec_b64 s[4:5], s[0:1]
	s_cbranch_execz .LBB88_113
; %bb.98:
	s_andn2_b64 vcc, exec, s[54:55]
	s_cbranch_vccnz .LBB88_100
; %bb.99:
	v_cmp_eq_u32_e32 vcc, 1, v0
	v_cndmask_b32_e32 v117, v34, v35, vcc
	v_cmp_eq_u32_e32 vcc, 2, v0
	v_cndmask_b32_e32 v117, v117, v36, vcc
	;; [unrolled: 2-line block ×20, first 2 shown]
	v_cmp_eq_u32_e32 vcc, 21, v0
	ds_read_b32 v118, v116
	v_cndmask_b32_e32 v117, v117, v55, vcc
	v_cmp_eq_u32_e32 vcc, 22, v0
	v_cndmask_b32_e32 v117, v117, v56, vcc
	v_cmp_eq_u32_e32 vcc, 23, v0
	;; [unrolled: 2-line block ×3, first 2 shown]
	v_cndmask_b32_e32 v117, v117, v58, vcc
	s_waitcnt lgkmcnt(0)
	v_mul_f32_e32 v117, v117, v118
	s_cbranch_execz .LBB88_101
	s_branch .LBB88_102
.LBB88_100:
                                        ; implicit-def: $vgpr117
.LBB88_101:
	ds_read_b32 v117, v116
.LBB88_102:
	s_and_saveexec_b64 s[6:7], s[2:3]
	s_cbranch_execz .LBB88_112
; %bb.103:
	v_subrev_u32_e32 v120, 18, v0
	v_mov_b32_e32 v118, 17
	v_subrev_u32_e32 v119, 17, v0
	v_cmp_lt_u32_e32 vcc, 6, v120
	s_and_saveexec_b64 s[2:3], vcc
	s_cbranch_execz .LBB88_107
; %bb.104:
	v_and_b32_e32 v118, -8, v119
	v_sub_u32_e32 v120, 0, v118
	s_mov_b64 s[8:9], 24
	s_movk_i32 s12, 0xb4
	s_mov_b64 s[10:11], 0
.LBB88_105:                             ; =>This Inner Loop Header: Depth=1
	s_add_i32 s13, s8, -7
	v_mov_b32_e32 v118, s12
	s_add_i32 s14, s8, -6
	s_set_gpr_idx_on s13, gpr_idx(SRC0)
	v_mov_b32_e32 v127, v34
	s_set_gpr_idx_off
	ds_read2_b32 v[121:122], v118 offset1:1
	s_add_i32 s15, s8, -5
	s_set_gpr_idx_on s14, gpr_idx(SRC0)
	v_mov_b32_e32 v128, v34
	s_set_gpr_idx_off
	s_add_i32 s16, s8, -4
	s_set_gpr_idx_on s15, gpr_idx(SRC0)
	v_mov_b32_e32 v129, v34
	s_set_gpr_idx_off
	ds_read2_b32 v[123:124], v118 offset0:2 offset1:3
	s_add_i32 s17, s8, -3
	s_set_gpr_idx_on s16, gpr_idx(SRC0)
	v_mov_b32_e32 v130, v34
	s_set_gpr_idx_off
	s_add_i32 s18, s8, -2
	s_set_gpr_idx_on s17, gpr_idx(SRC0)
	v_mov_b32_e32 v131, v34
	s_set_gpr_idx_off
	ds_read2_b32 v[125:126], v118 offset0:4 offset1:5
	s_add_i32 s19, s8, -1
	s_waitcnt lgkmcnt(2)
	v_fmac_f32_e32 v117, v127, v121
	s_set_gpr_idx_on s18, gpr_idx(SRC0)
	v_mov_b32_e32 v127, v34
	s_set_gpr_idx_off
	v_fmac_f32_e32 v117, v128, v122
	s_set_gpr_idx_on s19, gpr_idx(SRC0)
	v_mov_b32_e32 v128, v34
	s_set_gpr_idx_off
	ds_read2_b32 v[121:122], v118 offset0:6 offset1:7
	s_waitcnt lgkmcnt(2)
	v_fmac_f32_e32 v117, v129, v123
	s_set_gpr_idx_on s8, gpr_idx(SRC0)
	v_mov_b32_e32 v123, v34
	s_set_gpr_idx_off
	v_fmac_f32_e32 v117, v130, v124
	s_add_u32 s8, s8, 8
	s_waitcnt lgkmcnt(1)
	v_fmac_f32_e32 v117, v131, v125
	v_add_u32_e32 v118, s8, v120
	v_fmac_f32_e32 v117, v127, v126
	s_addc_u32 s9, s9, 0
	s_add_i32 s12, s12, 32
	s_add_i32 s13, s8, -7
	v_cmp_eq_u32_e32 vcc, 24, v118
	s_waitcnt lgkmcnt(0)
	v_fmac_f32_e32 v117, v128, v121
	v_mov_b32_e32 v118, s13
	s_or_b64 s[10:11], vcc, s[10:11]
	v_fmac_f32_e32 v117, v123, v122
	s_andn2_b64 exec, exec, s[10:11]
	s_cbranch_execnz .LBB88_105
; %bb.106:
	s_or_b64 exec, exec, s[10:11]
.LBB88_107:
	s_or_b64 exec, exec, s[2:3]
	v_and_b32_e32 v59, 7, v119
	v_cmp_ne_u32_e32 vcc, 0, v59
	s_and_saveexec_b64 s[8:9], vcc
	s_cbranch_execz .LBB88_111
; %bb.108:
	v_mov_b32_e32 v60, 0x70
	v_lshl_add_u32 v60, v118, 2, v60
	v_mov_b32_e32 v61, 0
	s_mov_b64 s[10:11], 0
.LBB88_109:                             ; =>This Inner Loop Header: Depth=1
	v_cmp_eq_u32_e32 vcc, 1, v118
	v_cndmask_b32_e32 v62, v34, v35, vcc
	v_add_u32_e32 v59, -1, v59
	v_cmp_eq_u32_e32 vcc, 2, v118
	v_cndmask_b32_e32 v62, v62, v36, vcc
	v_cmp_eq_u32_e32 vcc, 0, v59
	v_cmp_eq_u32_e64 s[2:3], 3, v118
	v_cndmask_b32_e64 v62, v62, v37, s[2:3]
	s_or_b64 s[10:11], vcc, s[10:11]
	v_cmp_eq_u32_e32 vcc, 4, v118
	v_cndmask_b32_e32 v62, v62, v38, vcc
	v_cmp_eq_u32_e32 vcc, 5, v118
	v_cndmask_b32_e32 v62, v62, v39, vcc
	;; [unrolled: 2-line block ×16, first 2 shown]
	v_cmp_eq_u32_e32 vcc, 20, v118
	ds_read_b32 v63, v60
	v_cndmask_b32_e32 v62, v62, v54, vcc
	v_cmp_eq_u32_e32 vcc, 21, v118
	v_cndmask_b32_e32 v62, v62, v55, vcc
	v_cmp_eq_u32_e32 vcc, 22, v118
	;; [unrolled: 2-line block ×4, first 2 shown]
	v_add_co_u32_e64 v118, s[2:3], 1, v118
	v_cndmask_b32_e32 v62, v62, v58, vcc
	v_add_u32_e32 v60, 4, v60
	v_addc_co_u32_e64 v61, s[2:3], 0, v61, s[2:3]
	s_waitcnt lgkmcnt(0)
	v_fmac_f32_e32 v117, v62, v63
	s_andn2_b64 exec, exec, s[10:11]
	s_cbranch_execnz .LBB88_109
; %bb.110:
	s_or_b64 exec, exec, s[10:11]
.LBB88_111:
	s_or_b64 exec, exec, s[8:9]
.LBB88_112:
	s_or_b64 exec, exec, s[6:7]
	v_mov_b32_e32 v50, 0
	ds_read_b32 v50, v50 offset:64
	s_waitcnt lgkmcnt(0)
	v_mul_f32_e32 v50, v117, v50
.LBB88_113:
	s_or_b64 exec, exec, s[4:5]
	v_cmp_lt_u32_e64 s[2:3], 15, v0
	ds_write_b32 v116, v49
	s_waitcnt lgkmcnt(0)
	; wave barrier
	s_and_saveexec_b64 s[4:5], s[2:3]
	s_cbranch_execz .LBB88_129
; %bb.114:
	s_andn2_b64 vcc, exec, s[54:55]
	s_cbranch_vccnz .LBB88_116
; %bb.115:
	v_cmp_eq_u32_e32 vcc, 1, v0
	v_cndmask_b32_e32 v117, v34, v35, vcc
	v_cmp_eq_u32_e32 vcc, 2, v0
	v_cndmask_b32_e32 v117, v117, v36, vcc
	;; [unrolled: 2-line block ×20, first 2 shown]
	v_cmp_eq_u32_e32 vcc, 21, v0
	ds_read_b32 v118, v116
	v_cndmask_b32_e32 v117, v117, v55, vcc
	v_cmp_eq_u32_e32 vcc, 22, v0
	v_cndmask_b32_e32 v117, v117, v56, vcc
	v_cmp_eq_u32_e32 vcc, 23, v0
	;; [unrolled: 2-line block ×3, first 2 shown]
	v_cndmask_b32_e32 v117, v117, v58, vcc
	s_waitcnt lgkmcnt(0)
	v_mul_f32_e32 v117, v117, v118
	s_cbranch_execz .LBB88_117
	s_branch .LBB88_118
.LBB88_116:
                                        ; implicit-def: $vgpr117
.LBB88_117:
	ds_read_b32 v117, v116
.LBB88_118:
	s_and_saveexec_b64 s[6:7], s[0:1]
	s_cbranch_execz .LBB88_128
; %bb.119:
	v_subrev_u32_e32 v118, 17, v0
	v_cmp_lt_u32_e32 vcc, 6, v118
	v_mov_b32_e32 v118, 16
	s_and_saveexec_b64 s[0:1], vcc
	s_cbranch_execz .LBB88_123
; %bb.120:
	v_and_b32_e32 v118, 24, v0
	v_sub_u32_e32 v119, 0, v118
	s_mov_b64 s[8:9], 23
	s_movk_i32 s12, 0xb0
	s_mov_b64 s[10:11], 0
.LBB88_121:                             ; =>This Inner Loop Header: Depth=1
	s_add_i32 s13, s8, -7
	v_mov_b32_e32 v118, s12
	s_add_i32 s14, s8, -6
	s_set_gpr_idx_on s13, gpr_idx(SRC0)
	v_mov_b32_e32 v128, v34
	s_set_gpr_idx_off
	s_add_i32 s15, s8, -5
	ds_read_b128 v[120:123], v118
	ds_read_b128 v[124:127], v118 offset:16
	s_set_gpr_idx_on s14, gpr_idx(SRC0)
	v_mov_b32_e32 v118, v34
	s_set_gpr_idx_off
	s_add_i32 s16, s8, -4
	s_set_gpr_idx_on s15, gpr_idx(SRC0)
	v_mov_b32_e32 v129, v34
	s_set_gpr_idx_off
	s_add_i32 s17, s8, -3
	;; [unrolled: 4-line block ×4, first 2 shown]
	s_waitcnt lgkmcnt(1)
	v_fmac_f32_e32 v117, v128, v120
	s_set_gpr_idx_on s18, gpr_idx(SRC0)
	v_mov_b32_e32 v120, v34
	s_set_gpr_idx_off
	v_fmac_f32_e32 v117, v118, v121
	s_set_gpr_idx_on s19, gpr_idx(SRC0)
	v_mov_b32_e32 v121, v34
	s_set_gpr_idx_off
	;; [unrolled: 4-line block ×3, first 2 shown]
	v_fmac_f32_e32 v117, v130, v123
	s_add_u32 s8, s8, 8
	s_waitcnt lgkmcnt(0)
	v_fmac_f32_e32 v117, v131, v124
	v_add_u32_e32 v118, s8, v119
	v_fmac_f32_e32 v117, v120, v125
	s_addc_u32 s9, s9, 0
	s_add_i32 s12, s12, 32
	s_add_i32 s13, s8, -7
	v_cmp_eq_u32_e32 vcc, 7, v118
	v_fmac_f32_e32 v117, v121, v126
	v_mov_b32_e32 v118, s13
	s_or_b64 s[10:11], vcc, s[10:11]
	v_fmac_f32_e32 v117, v122, v127
	s_andn2_b64 exec, exec, s[10:11]
	s_cbranch_execnz .LBB88_121
; %bb.122:
	s_or_b64 exec, exec, s[10:11]
.LBB88_123:
	s_or_b64 exec, exec, s[0:1]
	v_and_b32_e32 v59, 7, v0
	v_cmp_ne_u32_e32 vcc, 0, v59
	s_and_saveexec_b64 s[8:9], vcc
	s_cbranch_execz .LBB88_127
; %bb.124:
	v_mov_b32_e32 v60, 0x70
	v_lshl_add_u32 v60, v118, 2, v60
	v_mov_b32_e32 v61, 0
	s_mov_b64 s[10:11], 0
.LBB88_125:                             ; =>This Inner Loop Header: Depth=1
	v_cmp_eq_u32_e32 vcc, 1, v118
	v_cndmask_b32_e32 v62, v34, v35, vcc
	v_add_u32_e32 v59, -1, v59
	v_cmp_eq_u32_e32 vcc, 2, v118
	v_cndmask_b32_e32 v62, v62, v36, vcc
	v_cmp_eq_u32_e32 vcc, 0, v59
	v_cmp_eq_u32_e64 s[0:1], 3, v118
	v_cndmask_b32_e64 v62, v62, v37, s[0:1]
	s_or_b64 s[10:11], vcc, s[10:11]
	v_cmp_eq_u32_e32 vcc, 4, v118
	v_cndmask_b32_e32 v62, v62, v38, vcc
	v_cmp_eq_u32_e32 vcc, 5, v118
	v_cndmask_b32_e32 v62, v62, v39, vcc
	;; [unrolled: 2-line block ×16, first 2 shown]
	v_cmp_eq_u32_e32 vcc, 20, v118
	ds_read_b32 v63, v60
	v_cndmask_b32_e32 v62, v62, v54, vcc
	v_cmp_eq_u32_e32 vcc, 21, v118
	v_cndmask_b32_e32 v62, v62, v55, vcc
	v_cmp_eq_u32_e32 vcc, 22, v118
	;; [unrolled: 2-line block ×4, first 2 shown]
	v_add_co_u32_e64 v118, s[0:1], 1, v118
	v_cndmask_b32_e32 v62, v62, v58, vcc
	v_add_u32_e32 v60, 4, v60
	v_addc_co_u32_e64 v61, s[0:1], 0, v61, s[0:1]
	s_waitcnt lgkmcnt(0)
	v_fmac_f32_e32 v117, v62, v63
	s_andn2_b64 exec, exec, s[10:11]
	s_cbranch_execnz .LBB88_125
; %bb.126:
	s_or_b64 exec, exec, s[10:11]
.LBB88_127:
	s_or_b64 exec, exec, s[8:9]
.LBB88_128:
	s_or_b64 exec, exec, s[6:7]
	v_mov_b32_e32 v49, 0
	ds_read_b32 v49, v49 offset:60
	s_waitcnt lgkmcnt(0)
	v_mul_f32_e32 v49, v117, v49
.LBB88_129:
	s_or_b64 exec, exec, s[4:5]
	v_cmp_lt_u32_e64 s[0:1], 14, v0
	ds_write_b32 v116, v48
	s_waitcnt lgkmcnt(0)
	; wave barrier
	s_and_saveexec_b64 s[4:5], s[0:1]
	s_cbranch_execz .LBB88_145
; %bb.130:
	s_andn2_b64 vcc, exec, s[54:55]
	s_cbranch_vccnz .LBB88_132
; %bb.131:
	v_cmp_eq_u32_e32 vcc, 1, v0
	v_cndmask_b32_e32 v117, v34, v35, vcc
	v_cmp_eq_u32_e32 vcc, 2, v0
	v_cndmask_b32_e32 v117, v117, v36, vcc
	;; [unrolled: 2-line block ×20, first 2 shown]
	v_cmp_eq_u32_e32 vcc, 21, v0
	ds_read_b32 v118, v116
	v_cndmask_b32_e32 v117, v117, v55, vcc
	v_cmp_eq_u32_e32 vcc, 22, v0
	v_cndmask_b32_e32 v117, v117, v56, vcc
	v_cmp_eq_u32_e32 vcc, 23, v0
	;; [unrolled: 2-line block ×3, first 2 shown]
	v_cndmask_b32_e32 v117, v117, v58, vcc
	s_waitcnt lgkmcnt(0)
	v_mul_f32_e32 v117, v117, v118
	s_cbranch_execz .LBB88_133
	s_branch .LBB88_134
.LBB88_132:
                                        ; implicit-def: $vgpr117
.LBB88_133:
	ds_read_b32 v117, v116
.LBB88_134:
	s_and_saveexec_b64 s[6:7], s[2:3]
	s_cbranch_execz .LBB88_144
; %bb.135:
	v_add_u32_e32 v118, -16, v0
	v_add_u32_e32 v119, -15, v0
	v_cmp_lt_u32_e32 vcc, 6, v118
	v_mov_b32_e32 v118, 15
	s_and_saveexec_b64 s[2:3], vcc
	s_cbranch_execz .LBB88_139
; %bb.136:
	v_and_b32_e32 v118, -8, v119
	v_sub_u32_e32 v120, 0, v118
	s_mov_b64 s[8:9], 22
	s_movk_i32 s12, 0xac
	s_mov_b64 s[10:11], 0
.LBB88_137:                             ; =>This Inner Loop Header: Depth=1
	s_add_i32 s13, s8, -7
	v_mov_b32_e32 v118, s12
	s_add_i32 s14, s8, -6
	s_set_gpr_idx_on s13, gpr_idx(SRC0)
	v_mov_b32_e32 v127, v34
	s_set_gpr_idx_off
	ds_read2_b32 v[121:122], v118 offset1:1
	s_add_i32 s15, s8, -5
	s_set_gpr_idx_on s14, gpr_idx(SRC0)
	v_mov_b32_e32 v128, v34
	s_set_gpr_idx_off
	s_add_i32 s16, s8, -4
	s_set_gpr_idx_on s15, gpr_idx(SRC0)
	v_mov_b32_e32 v129, v34
	s_set_gpr_idx_off
	ds_read2_b32 v[123:124], v118 offset0:2 offset1:3
	s_add_i32 s17, s8, -3
	s_set_gpr_idx_on s16, gpr_idx(SRC0)
	v_mov_b32_e32 v130, v34
	s_set_gpr_idx_off
	s_add_i32 s18, s8, -2
	s_set_gpr_idx_on s17, gpr_idx(SRC0)
	v_mov_b32_e32 v131, v34
	s_set_gpr_idx_off
	ds_read2_b32 v[125:126], v118 offset0:4 offset1:5
	s_add_i32 s19, s8, -1
	s_waitcnt lgkmcnt(2)
	v_fmac_f32_e32 v117, v127, v121
	s_set_gpr_idx_on s18, gpr_idx(SRC0)
	v_mov_b32_e32 v127, v34
	s_set_gpr_idx_off
	v_fmac_f32_e32 v117, v128, v122
	s_set_gpr_idx_on s19, gpr_idx(SRC0)
	v_mov_b32_e32 v128, v34
	s_set_gpr_idx_off
	ds_read2_b32 v[121:122], v118 offset0:6 offset1:7
	s_waitcnt lgkmcnt(2)
	v_fmac_f32_e32 v117, v129, v123
	s_set_gpr_idx_on s8, gpr_idx(SRC0)
	v_mov_b32_e32 v123, v34
	s_set_gpr_idx_off
	v_fmac_f32_e32 v117, v130, v124
	s_add_u32 s8, s8, 8
	s_waitcnt lgkmcnt(1)
	v_fmac_f32_e32 v117, v131, v125
	v_add_u32_e32 v118, s8, v120
	v_fmac_f32_e32 v117, v127, v126
	s_addc_u32 s9, s9, 0
	s_add_i32 s12, s12, 32
	s_add_i32 s13, s8, -7
	v_cmp_eq_u32_e32 vcc, 22, v118
	s_waitcnt lgkmcnt(0)
	v_fmac_f32_e32 v117, v128, v121
	v_mov_b32_e32 v118, s13
	s_or_b64 s[10:11], vcc, s[10:11]
	v_fmac_f32_e32 v117, v123, v122
	s_andn2_b64 exec, exec, s[10:11]
	s_cbranch_execnz .LBB88_137
; %bb.138:
	s_or_b64 exec, exec, s[10:11]
.LBB88_139:
	s_or_b64 exec, exec, s[2:3]
	v_and_b32_e32 v59, 7, v119
	v_cmp_ne_u32_e32 vcc, 0, v59
	s_and_saveexec_b64 s[8:9], vcc
	s_cbranch_execz .LBB88_143
; %bb.140:
	v_mov_b32_e32 v60, 0x70
	v_lshl_add_u32 v60, v118, 2, v60
	v_mov_b32_e32 v61, 0
	s_mov_b64 s[10:11], 0
.LBB88_141:                             ; =>This Inner Loop Header: Depth=1
	v_cmp_eq_u32_e32 vcc, 1, v118
	v_cndmask_b32_e32 v62, v34, v35, vcc
	v_add_u32_e32 v59, -1, v59
	v_cmp_eq_u32_e32 vcc, 2, v118
	v_cndmask_b32_e32 v62, v62, v36, vcc
	v_cmp_eq_u32_e32 vcc, 0, v59
	v_cmp_eq_u32_e64 s[2:3], 3, v118
	v_cndmask_b32_e64 v62, v62, v37, s[2:3]
	s_or_b64 s[10:11], vcc, s[10:11]
	v_cmp_eq_u32_e32 vcc, 4, v118
	v_cndmask_b32_e32 v62, v62, v38, vcc
	v_cmp_eq_u32_e32 vcc, 5, v118
	v_cndmask_b32_e32 v62, v62, v39, vcc
	;; [unrolled: 2-line block ×16, first 2 shown]
	v_cmp_eq_u32_e32 vcc, 20, v118
	ds_read_b32 v63, v60
	v_cndmask_b32_e32 v62, v62, v54, vcc
	v_cmp_eq_u32_e32 vcc, 21, v118
	v_cndmask_b32_e32 v62, v62, v55, vcc
	v_cmp_eq_u32_e32 vcc, 22, v118
	;; [unrolled: 2-line block ×4, first 2 shown]
	v_add_co_u32_e64 v118, s[2:3], 1, v118
	v_cndmask_b32_e32 v62, v62, v58, vcc
	v_add_u32_e32 v60, 4, v60
	v_addc_co_u32_e64 v61, s[2:3], 0, v61, s[2:3]
	s_waitcnt lgkmcnt(0)
	v_fmac_f32_e32 v117, v62, v63
	s_andn2_b64 exec, exec, s[10:11]
	s_cbranch_execnz .LBB88_141
; %bb.142:
	s_or_b64 exec, exec, s[10:11]
.LBB88_143:
	s_or_b64 exec, exec, s[8:9]
.LBB88_144:
	s_or_b64 exec, exec, s[6:7]
	v_mov_b32_e32 v48, 0
	ds_read_b32 v48, v48 offset:56
	s_waitcnt lgkmcnt(0)
	v_mul_f32_e32 v48, v117, v48
.LBB88_145:
	s_or_b64 exec, exec, s[4:5]
	v_cmp_lt_u32_e64 s[2:3], 13, v0
	ds_write_b32 v116, v47
	s_waitcnt lgkmcnt(0)
	; wave barrier
	s_and_saveexec_b64 s[4:5], s[2:3]
	s_cbranch_execz .LBB88_161
; %bb.146:
	s_andn2_b64 vcc, exec, s[54:55]
	s_cbranch_vccnz .LBB88_148
; %bb.147:
	v_cmp_eq_u32_e32 vcc, 1, v0
	v_cndmask_b32_e32 v117, v34, v35, vcc
	v_cmp_eq_u32_e32 vcc, 2, v0
	v_cndmask_b32_e32 v117, v117, v36, vcc
	;; [unrolled: 2-line block ×20, first 2 shown]
	v_cmp_eq_u32_e32 vcc, 21, v0
	ds_read_b32 v118, v116
	v_cndmask_b32_e32 v117, v117, v55, vcc
	v_cmp_eq_u32_e32 vcc, 22, v0
	v_cndmask_b32_e32 v117, v117, v56, vcc
	v_cmp_eq_u32_e32 vcc, 23, v0
	;; [unrolled: 2-line block ×3, first 2 shown]
	v_cndmask_b32_e32 v117, v117, v58, vcc
	s_waitcnt lgkmcnt(0)
	v_mul_f32_e32 v117, v117, v118
	s_cbranch_execz .LBB88_149
	s_branch .LBB88_150
.LBB88_148:
                                        ; implicit-def: $vgpr117
.LBB88_149:
	ds_read_b32 v117, v116
.LBB88_150:
	s_and_saveexec_b64 s[6:7], s[0:1]
	s_cbranch_execz .LBB88_160
; %bb.151:
	v_add_u32_e32 v118, -15, v0
	v_add_u32_e32 v119, -14, v0
	v_cmp_lt_u32_e32 vcc, 6, v118
	v_mov_b32_e32 v118, 14
	s_and_saveexec_b64 s[0:1], vcc
	s_cbranch_execz .LBB88_155
; %bb.152:
	v_and_b32_e32 v118, -8, v119
	v_sub_u32_e32 v120, 0, v118
	s_mov_b64 s[8:9], 21
	s_movk_i32 s12, 0xa8
	s_mov_b64 s[10:11], 0
.LBB88_153:                             ; =>This Inner Loop Header: Depth=1
	s_add_i32 s13, s8, -7
	v_mov_b32_e32 v118, s12
	s_add_i32 s14, s8, -6
	s_set_gpr_idx_on s13, gpr_idx(SRC0)
	v_mov_b32_e32 v129, v34
	s_set_gpr_idx_off
	ds_read2_b64 v[121:124], v118 offset1:1
	s_add_i32 s15, s8, -5
	s_set_gpr_idx_on s14, gpr_idx(SRC0)
	v_mov_b32_e32 v130, v34
	s_set_gpr_idx_off
	s_add_i32 s16, s8, -4
	s_set_gpr_idx_on s15, gpr_idx(SRC0)
	v_mov_b32_e32 v131, v34
	s_set_gpr_idx_off
	;; [unrolled: 4-line block ×4, first 2 shown]
	ds_read2_b64 v[125:128], v118 offset0:2 offset1:3
	s_add_i32 s19, s8, -1
	s_waitcnt lgkmcnt(1)
	v_fmac_f32_e32 v117, v129, v121
	s_set_gpr_idx_on s18, gpr_idx(SRC0)
	v_mov_b32_e32 v121, v34
	s_set_gpr_idx_off
	v_fmac_f32_e32 v117, v130, v122
	s_set_gpr_idx_on s19, gpr_idx(SRC0)
	v_mov_b32_e32 v122, v34
	s_set_gpr_idx_off
	;; [unrolled: 4-line block ×3, first 2 shown]
	v_fmac_f32_e32 v117, v132, v124
	s_add_u32 s8, s8, 8
	s_waitcnt lgkmcnt(0)
	v_fmac_f32_e32 v117, v133, v125
	v_add_u32_e32 v118, s8, v120
	v_fmac_f32_e32 v117, v121, v126
	s_addc_u32 s9, s9, 0
	s_add_i32 s12, s12, 32
	s_add_i32 s13, s8, -7
	v_cmp_eq_u32_e32 vcc, 21, v118
	v_fmac_f32_e32 v117, v122, v127
	v_mov_b32_e32 v118, s13
	s_or_b64 s[10:11], vcc, s[10:11]
	v_fmac_f32_e32 v117, v123, v128
	s_andn2_b64 exec, exec, s[10:11]
	s_cbranch_execnz .LBB88_153
; %bb.154:
	s_or_b64 exec, exec, s[10:11]
.LBB88_155:
	s_or_b64 exec, exec, s[0:1]
	v_and_b32_e32 v59, 7, v119
	v_cmp_ne_u32_e32 vcc, 0, v59
	s_and_saveexec_b64 s[8:9], vcc
	s_cbranch_execz .LBB88_159
; %bb.156:
	v_mov_b32_e32 v60, 0x70
	v_lshl_add_u32 v60, v118, 2, v60
	v_mov_b32_e32 v61, 0
	s_mov_b64 s[10:11], 0
.LBB88_157:                             ; =>This Inner Loop Header: Depth=1
	v_cmp_eq_u32_e32 vcc, 1, v118
	v_cndmask_b32_e32 v62, v34, v35, vcc
	v_add_u32_e32 v59, -1, v59
	v_cmp_eq_u32_e32 vcc, 2, v118
	v_cndmask_b32_e32 v62, v62, v36, vcc
	v_cmp_eq_u32_e32 vcc, 0, v59
	v_cmp_eq_u32_e64 s[0:1], 3, v118
	v_cndmask_b32_e64 v62, v62, v37, s[0:1]
	s_or_b64 s[10:11], vcc, s[10:11]
	v_cmp_eq_u32_e32 vcc, 4, v118
	v_cndmask_b32_e32 v62, v62, v38, vcc
	v_cmp_eq_u32_e32 vcc, 5, v118
	v_cndmask_b32_e32 v62, v62, v39, vcc
	;; [unrolled: 2-line block ×16, first 2 shown]
	v_cmp_eq_u32_e32 vcc, 20, v118
	ds_read_b32 v63, v60
	v_cndmask_b32_e32 v62, v62, v54, vcc
	v_cmp_eq_u32_e32 vcc, 21, v118
	v_cndmask_b32_e32 v62, v62, v55, vcc
	v_cmp_eq_u32_e32 vcc, 22, v118
	;; [unrolled: 2-line block ×4, first 2 shown]
	v_add_co_u32_e64 v118, s[0:1], 1, v118
	v_cndmask_b32_e32 v62, v62, v58, vcc
	v_add_u32_e32 v60, 4, v60
	v_addc_co_u32_e64 v61, s[0:1], 0, v61, s[0:1]
	s_waitcnt lgkmcnt(0)
	v_fmac_f32_e32 v117, v62, v63
	s_andn2_b64 exec, exec, s[10:11]
	s_cbranch_execnz .LBB88_157
; %bb.158:
	s_or_b64 exec, exec, s[10:11]
.LBB88_159:
	s_or_b64 exec, exec, s[8:9]
.LBB88_160:
	s_or_b64 exec, exec, s[6:7]
	v_mov_b32_e32 v47, 0
	ds_read_b32 v47, v47 offset:52
	s_waitcnt lgkmcnt(0)
	v_mul_f32_e32 v47, v117, v47
.LBB88_161:
	s_or_b64 exec, exec, s[4:5]
	v_cmp_lt_u32_e64 s[0:1], 12, v0
	ds_write_b32 v116, v46
	s_waitcnt lgkmcnt(0)
	; wave barrier
	s_and_saveexec_b64 s[4:5], s[0:1]
	s_cbranch_execz .LBB88_177
; %bb.162:
	s_andn2_b64 vcc, exec, s[54:55]
	s_cbranch_vccnz .LBB88_164
; %bb.163:
	v_cmp_eq_u32_e32 vcc, 1, v0
	v_cndmask_b32_e32 v117, v34, v35, vcc
	v_cmp_eq_u32_e32 vcc, 2, v0
	v_cndmask_b32_e32 v117, v117, v36, vcc
	;; [unrolled: 2-line block ×20, first 2 shown]
	v_cmp_eq_u32_e32 vcc, 21, v0
	ds_read_b32 v118, v116
	v_cndmask_b32_e32 v117, v117, v55, vcc
	v_cmp_eq_u32_e32 vcc, 22, v0
	v_cndmask_b32_e32 v117, v117, v56, vcc
	v_cmp_eq_u32_e32 vcc, 23, v0
	;; [unrolled: 2-line block ×3, first 2 shown]
	v_cndmask_b32_e32 v117, v117, v58, vcc
	s_waitcnt lgkmcnt(0)
	v_mul_f32_e32 v117, v117, v118
	s_cbranch_execz .LBB88_165
	s_branch .LBB88_166
.LBB88_164:
                                        ; implicit-def: $vgpr117
.LBB88_165:
	ds_read_b32 v117, v116
.LBB88_166:
	s_and_saveexec_b64 s[6:7], s[2:3]
	s_cbranch_execz .LBB88_176
; %bb.167:
	v_add_u32_e32 v118, -14, v0
	v_add_u32_e32 v119, -13, v0
	v_cmp_lt_u32_e32 vcc, 6, v118
	v_mov_b32_e32 v118, 13
	s_and_saveexec_b64 s[2:3], vcc
	s_cbranch_execz .LBB88_171
; %bb.168:
	v_and_b32_e32 v118, -8, v119
	v_sub_u32_e32 v120, 0, v118
	s_mov_b64 s[8:9], 20
	s_movk_i32 s12, 0xa4
	s_mov_b64 s[10:11], 0
.LBB88_169:                             ; =>This Inner Loop Header: Depth=1
	s_add_i32 s13, s8, -7
	v_mov_b32_e32 v118, s12
	s_add_i32 s14, s8, -6
	s_set_gpr_idx_on s13, gpr_idx(SRC0)
	v_mov_b32_e32 v127, v34
	s_set_gpr_idx_off
	ds_read2_b32 v[121:122], v118 offset1:1
	s_add_i32 s15, s8, -5
	s_set_gpr_idx_on s14, gpr_idx(SRC0)
	v_mov_b32_e32 v128, v34
	s_set_gpr_idx_off
	s_add_i32 s16, s8, -4
	s_set_gpr_idx_on s15, gpr_idx(SRC0)
	v_mov_b32_e32 v129, v34
	s_set_gpr_idx_off
	ds_read2_b32 v[123:124], v118 offset0:2 offset1:3
	s_add_i32 s17, s8, -3
	s_set_gpr_idx_on s16, gpr_idx(SRC0)
	v_mov_b32_e32 v130, v34
	s_set_gpr_idx_off
	s_add_i32 s18, s8, -2
	s_set_gpr_idx_on s17, gpr_idx(SRC0)
	v_mov_b32_e32 v131, v34
	s_set_gpr_idx_off
	ds_read2_b32 v[125:126], v118 offset0:4 offset1:5
	s_add_i32 s19, s8, -1
	s_waitcnt lgkmcnt(2)
	v_fmac_f32_e32 v117, v127, v121
	s_set_gpr_idx_on s18, gpr_idx(SRC0)
	v_mov_b32_e32 v127, v34
	s_set_gpr_idx_off
	v_fmac_f32_e32 v117, v128, v122
	s_set_gpr_idx_on s19, gpr_idx(SRC0)
	v_mov_b32_e32 v128, v34
	s_set_gpr_idx_off
	ds_read2_b32 v[121:122], v118 offset0:6 offset1:7
	s_waitcnt lgkmcnt(2)
	v_fmac_f32_e32 v117, v129, v123
	s_set_gpr_idx_on s8, gpr_idx(SRC0)
	v_mov_b32_e32 v123, v34
	s_set_gpr_idx_off
	v_fmac_f32_e32 v117, v130, v124
	s_add_u32 s8, s8, 8
	s_waitcnt lgkmcnt(1)
	v_fmac_f32_e32 v117, v131, v125
	v_add_u32_e32 v118, s8, v120
	v_fmac_f32_e32 v117, v127, v126
	s_addc_u32 s9, s9, 0
	s_add_i32 s12, s12, 32
	s_add_i32 s13, s8, -7
	v_cmp_eq_u32_e32 vcc, 20, v118
	s_waitcnt lgkmcnt(0)
	v_fmac_f32_e32 v117, v128, v121
	v_mov_b32_e32 v118, s13
	s_or_b64 s[10:11], vcc, s[10:11]
	v_fmac_f32_e32 v117, v123, v122
	s_andn2_b64 exec, exec, s[10:11]
	s_cbranch_execnz .LBB88_169
; %bb.170:
	s_or_b64 exec, exec, s[10:11]
.LBB88_171:
	s_or_b64 exec, exec, s[2:3]
	v_and_b32_e32 v59, 7, v119
	v_cmp_ne_u32_e32 vcc, 0, v59
	s_and_saveexec_b64 s[8:9], vcc
	s_cbranch_execz .LBB88_175
; %bb.172:
	v_mov_b32_e32 v60, 0x70
	v_lshl_add_u32 v60, v118, 2, v60
	v_mov_b32_e32 v61, 0
	s_mov_b64 s[10:11], 0
.LBB88_173:                             ; =>This Inner Loop Header: Depth=1
	v_cmp_eq_u32_e32 vcc, 1, v118
	v_cndmask_b32_e32 v62, v34, v35, vcc
	v_add_u32_e32 v59, -1, v59
	v_cmp_eq_u32_e32 vcc, 2, v118
	v_cndmask_b32_e32 v62, v62, v36, vcc
	v_cmp_eq_u32_e32 vcc, 0, v59
	v_cmp_eq_u32_e64 s[2:3], 3, v118
	v_cndmask_b32_e64 v62, v62, v37, s[2:3]
	s_or_b64 s[10:11], vcc, s[10:11]
	v_cmp_eq_u32_e32 vcc, 4, v118
	v_cndmask_b32_e32 v62, v62, v38, vcc
	v_cmp_eq_u32_e32 vcc, 5, v118
	v_cndmask_b32_e32 v62, v62, v39, vcc
	;; [unrolled: 2-line block ×16, first 2 shown]
	v_cmp_eq_u32_e32 vcc, 20, v118
	ds_read_b32 v63, v60
	v_cndmask_b32_e32 v62, v62, v54, vcc
	v_cmp_eq_u32_e32 vcc, 21, v118
	v_cndmask_b32_e32 v62, v62, v55, vcc
	v_cmp_eq_u32_e32 vcc, 22, v118
	;; [unrolled: 2-line block ×4, first 2 shown]
	v_add_co_u32_e64 v118, s[2:3], 1, v118
	v_cndmask_b32_e32 v62, v62, v58, vcc
	v_add_u32_e32 v60, 4, v60
	v_addc_co_u32_e64 v61, s[2:3], 0, v61, s[2:3]
	s_waitcnt lgkmcnt(0)
	v_fmac_f32_e32 v117, v62, v63
	s_andn2_b64 exec, exec, s[10:11]
	s_cbranch_execnz .LBB88_173
; %bb.174:
	s_or_b64 exec, exec, s[10:11]
.LBB88_175:
	s_or_b64 exec, exec, s[8:9]
.LBB88_176:
	s_or_b64 exec, exec, s[6:7]
	v_mov_b32_e32 v46, 0
	ds_read_b32 v46, v46 offset:48
	s_waitcnt lgkmcnt(0)
	v_mul_f32_e32 v46, v117, v46
.LBB88_177:
	s_or_b64 exec, exec, s[4:5]
	v_cmp_lt_u32_e64 s[2:3], 11, v0
	ds_write_b32 v116, v45
	s_waitcnt lgkmcnt(0)
	; wave barrier
	s_and_saveexec_b64 s[4:5], s[2:3]
	s_cbranch_execz .LBB88_193
; %bb.178:
	s_andn2_b64 vcc, exec, s[54:55]
	s_cbranch_vccnz .LBB88_180
; %bb.179:
	v_cmp_eq_u32_e32 vcc, 1, v0
	v_cndmask_b32_e32 v117, v34, v35, vcc
	v_cmp_eq_u32_e32 vcc, 2, v0
	v_cndmask_b32_e32 v117, v117, v36, vcc
	;; [unrolled: 2-line block ×20, first 2 shown]
	v_cmp_eq_u32_e32 vcc, 21, v0
	ds_read_b32 v118, v116
	v_cndmask_b32_e32 v117, v117, v55, vcc
	v_cmp_eq_u32_e32 vcc, 22, v0
	v_cndmask_b32_e32 v117, v117, v56, vcc
	v_cmp_eq_u32_e32 vcc, 23, v0
	;; [unrolled: 2-line block ×3, first 2 shown]
	v_cndmask_b32_e32 v117, v117, v58, vcc
	s_waitcnt lgkmcnt(0)
	v_mul_f32_e32 v117, v117, v118
	s_cbranch_execz .LBB88_181
	s_branch .LBB88_182
.LBB88_180:
                                        ; implicit-def: $vgpr117
.LBB88_181:
	ds_read_b32 v117, v116
.LBB88_182:
	s_and_saveexec_b64 s[6:7], s[0:1]
	s_cbranch_execz .LBB88_192
; %bb.183:
	v_add_u32_e32 v118, -13, v0
	v_add_u32_e32 v119, -12, v0
	v_cmp_lt_u32_e32 vcc, 6, v118
	v_mov_b32_e32 v118, 12
	s_and_saveexec_b64 s[0:1], vcc
	s_cbranch_execz .LBB88_187
; %bb.184:
	v_and_b32_e32 v118, -8, v119
	v_sub_u32_e32 v120, 0, v118
	s_mov_b64 s[8:9], 19
	s_movk_i32 s12, 0xa0
	s_mov_b64 s[10:11], 0
.LBB88_185:                             ; =>This Inner Loop Header: Depth=1
	s_add_i32 s13, s8, -7
	v_mov_b32_e32 v118, s12
	s_add_i32 s14, s8, -6
	s_set_gpr_idx_on s13, gpr_idx(SRC0)
	v_mov_b32_e32 v129, v34
	s_set_gpr_idx_off
	s_add_i32 s15, s8, -5
	ds_read_b128 v[121:124], v118
	ds_read_b128 v[125:128], v118 offset:16
	s_set_gpr_idx_on s14, gpr_idx(SRC0)
	v_mov_b32_e32 v118, v34
	s_set_gpr_idx_off
	s_add_i32 s16, s8, -4
	s_set_gpr_idx_on s15, gpr_idx(SRC0)
	v_mov_b32_e32 v130, v34
	s_set_gpr_idx_off
	s_add_i32 s17, s8, -3
	;; [unrolled: 4-line block ×4, first 2 shown]
	s_waitcnt lgkmcnt(1)
	v_fmac_f32_e32 v117, v129, v121
	s_set_gpr_idx_on s18, gpr_idx(SRC0)
	v_mov_b32_e32 v121, v34
	s_set_gpr_idx_off
	v_fmac_f32_e32 v117, v118, v122
	s_set_gpr_idx_on s19, gpr_idx(SRC0)
	v_mov_b32_e32 v122, v34
	s_set_gpr_idx_off
	;; [unrolled: 4-line block ×3, first 2 shown]
	v_fmac_f32_e32 v117, v131, v124
	s_add_u32 s8, s8, 8
	s_waitcnt lgkmcnt(0)
	v_fmac_f32_e32 v117, v132, v125
	v_add_u32_e32 v118, s8, v120
	v_fmac_f32_e32 v117, v121, v126
	s_addc_u32 s9, s9, 0
	s_add_i32 s12, s12, 32
	s_add_i32 s13, s8, -7
	v_cmp_eq_u32_e32 vcc, 19, v118
	v_fmac_f32_e32 v117, v122, v127
	v_mov_b32_e32 v118, s13
	s_or_b64 s[10:11], vcc, s[10:11]
	v_fmac_f32_e32 v117, v123, v128
	s_andn2_b64 exec, exec, s[10:11]
	s_cbranch_execnz .LBB88_185
; %bb.186:
	s_or_b64 exec, exec, s[10:11]
.LBB88_187:
	s_or_b64 exec, exec, s[0:1]
	v_and_b32_e32 v59, 7, v119
	v_cmp_ne_u32_e32 vcc, 0, v59
	s_and_saveexec_b64 s[8:9], vcc
	s_cbranch_execz .LBB88_191
; %bb.188:
	v_mov_b32_e32 v60, 0x70
	v_lshl_add_u32 v60, v118, 2, v60
	v_mov_b32_e32 v61, 0
	s_mov_b64 s[10:11], 0
.LBB88_189:                             ; =>This Inner Loop Header: Depth=1
	v_cmp_eq_u32_e32 vcc, 1, v118
	v_cndmask_b32_e32 v62, v34, v35, vcc
	v_add_u32_e32 v59, -1, v59
	v_cmp_eq_u32_e32 vcc, 2, v118
	v_cndmask_b32_e32 v62, v62, v36, vcc
	v_cmp_eq_u32_e32 vcc, 0, v59
	v_cmp_eq_u32_e64 s[0:1], 3, v118
	v_cndmask_b32_e64 v62, v62, v37, s[0:1]
	s_or_b64 s[10:11], vcc, s[10:11]
	v_cmp_eq_u32_e32 vcc, 4, v118
	v_cndmask_b32_e32 v62, v62, v38, vcc
	v_cmp_eq_u32_e32 vcc, 5, v118
	v_cndmask_b32_e32 v62, v62, v39, vcc
	;; [unrolled: 2-line block ×16, first 2 shown]
	v_cmp_eq_u32_e32 vcc, 20, v118
	ds_read_b32 v63, v60
	v_cndmask_b32_e32 v62, v62, v54, vcc
	v_cmp_eq_u32_e32 vcc, 21, v118
	v_cndmask_b32_e32 v62, v62, v55, vcc
	v_cmp_eq_u32_e32 vcc, 22, v118
	;; [unrolled: 2-line block ×4, first 2 shown]
	v_add_co_u32_e64 v118, s[0:1], 1, v118
	v_cndmask_b32_e32 v62, v62, v58, vcc
	v_add_u32_e32 v60, 4, v60
	v_addc_co_u32_e64 v61, s[0:1], 0, v61, s[0:1]
	s_waitcnt lgkmcnt(0)
	v_fmac_f32_e32 v117, v62, v63
	s_andn2_b64 exec, exec, s[10:11]
	s_cbranch_execnz .LBB88_189
; %bb.190:
	s_or_b64 exec, exec, s[10:11]
.LBB88_191:
	s_or_b64 exec, exec, s[8:9]
.LBB88_192:
	s_or_b64 exec, exec, s[6:7]
	v_mov_b32_e32 v45, 0
	ds_read_b32 v45, v45 offset:44
	s_waitcnt lgkmcnt(0)
	v_mul_f32_e32 v45, v117, v45
.LBB88_193:
	s_or_b64 exec, exec, s[4:5]
	v_cmp_lt_u32_e64 s[0:1], 10, v0
	ds_write_b32 v116, v44
	s_waitcnt lgkmcnt(0)
	; wave barrier
	s_and_saveexec_b64 s[4:5], s[0:1]
	s_cbranch_execz .LBB88_209
; %bb.194:
	s_andn2_b64 vcc, exec, s[54:55]
	s_cbranch_vccnz .LBB88_196
; %bb.195:
	v_cmp_eq_u32_e32 vcc, 1, v0
	v_cndmask_b32_e32 v117, v34, v35, vcc
	v_cmp_eq_u32_e32 vcc, 2, v0
	v_cndmask_b32_e32 v117, v117, v36, vcc
	v_cmp_eq_u32_e32 vcc, 3, v0
	v_cndmask_b32_e32 v117, v117, v37, vcc
	v_cmp_eq_u32_e32 vcc, 4, v0
	v_cndmask_b32_e32 v117, v117, v38, vcc
	v_cmp_eq_u32_e32 vcc, 5, v0
	v_cndmask_b32_e32 v117, v117, v39, vcc
	v_cmp_eq_u32_e32 vcc, 6, v0
	v_cndmask_b32_e32 v117, v117, v40, vcc
	v_cmp_eq_u32_e32 vcc, 7, v0
	v_cndmask_b32_e32 v117, v117, v41, vcc
	v_cmp_eq_u32_e32 vcc, 8, v0
	v_cndmask_b32_e32 v117, v117, v42, vcc
	v_cmp_eq_u32_e32 vcc, 9, v0
	v_cndmask_b32_e32 v117, v117, v43, vcc
	v_cmp_eq_u32_e32 vcc, 10, v0
	v_cndmask_b32_e32 v117, v117, v44, vcc
	v_cmp_eq_u32_e32 vcc, 11, v0
	v_cndmask_b32_e32 v117, v117, v45, vcc
	v_cmp_eq_u32_e32 vcc, 12, v0
	v_cndmask_b32_e32 v117, v117, v46, vcc
	v_cmp_eq_u32_e32 vcc, 13, v0
	v_cndmask_b32_e32 v117, v117, v47, vcc
	v_cmp_eq_u32_e32 vcc, 14, v0
	v_cndmask_b32_e32 v117, v117, v48, vcc
	v_cmp_eq_u32_e32 vcc, 15, v0
	v_cndmask_b32_e32 v117, v117, v49, vcc
	v_cmp_eq_u32_e32 vcc, 16, v0
	v_cndmask_b32_e32 v117, v117, v50, vcc
	v_cmp_eq_u32_e32 vcc, 17, v0
	v_cndmask_b32_e32 v117, v117, v51, vcc
	v_cmp_eq_u32_e32 vcc, 18, v0
	v_cndmask_b32_e32 v117, v117, v52, vcc
	v_cmp_eq_u32_e32 vcc, 19, v0
	v_cndmask_b32_e32 v117, v117, v53, vcc
	v_cmp_eq_u32_e32 vcc, 20, v0
	v_cndmask_b32_e32 v117, v117, v54, vcc
	v_cmp_eq_u32_e32 vcc, 21, v0
	ds_read_b32 v118, v116
	v_cndmask_b32_e32 v117, v117, v55, vcc
	v_cmp_eq_u32_e32 vcc, 22, v0
	v_cndmask_b32_e32 v117, v117, v56, vcc
	v_cmp_eq_u32_e32 vcc, 23, v0
	;; [unrolled: 2-line block ×3, first 2 shown]
	v_cndmask_b32_e32 v117, v117, v58, vcc
	s_waitcnt lgkmcnt(0)
	v_mul_f32_e32 v117, v117, v118
	s_cbranch_execz .LBB88_197
	s_branch .LBB88_198
.LBB88_196:
                                        ; implicit-def: $vgpr117
.LBB88_197:
	ds_read_b32 v117, v116
.LBB88_198:
	s_and_saveexec_b64 s[6:7], s[2:3]
	s_cbranch_execz .LBB88_208
; %bb.199:
	v_add_u32_e32 v118, -12, v0
	v_add_u32_e32 v119, -11, v0
	v_cmp_lt_u32_e32 vcc, 6, v118
	v_mov_b32_e32 v118, 11
	s_and_saveexec_b64 s[2:3], vcc
	s_cbranch_execz .LBB88_203
; %bb.200:
	v_and_b32_e32 v118, -8, v119
	v_sub_u32_e32 v120, 0, v118
	s_mov_b64 s[8:9], 18
	s_movk_i32 s12, 0x9c
	s_mov_b64 s[10:11], 0
.LBB88_201:                             ; =>This Inner Loop Header: Depth=1
	s_add_i32 s13, s8, -7
	v_mov_b32_e32 v118, s12
	s_add_i32 s14, s8, -6
	s_set_gpr_idx_on s13, gpr_idx(SRC0)
	v_mov_b32_e32 v127, v34
	s_set_gpr_idx_off
	ds_read2_b32 v[121:122], v118 offset1:1
	s_add_i32 s15, s8, -5
	s_set_gpr_idx_on s14, gpr_idx(SRC0)
	v_mov_b32_e32 v128, v34
	s_set_gpr_idx_off
	s_add_i32 s16, s8, -4
	s_set_gpr_idx_on s15, gpr_idx(SRC0)
	v_mov_b32_e32 v129, v34
	s_set_gpr_idx_off
	ds_read2_b32 v[123:124], v118 offset0:2 offset1:3
	s_add_i32 s17, s8, -3
	s_set_gpr_idx_on s16, gpr_idx(SRC0)
	v_mov_b32_e32 v130, v34
	s_set_gpr_idx_off
	s_add_i32 s18, s8, -2
	s_set_gpr_idx_on s17, gpr_idx(SRC0)
	v_mov_b32_e32 v131, v34
	s_set_gpr_idx_off
	ds_read2_b32 v[125:126], v118 offset0:4 offset1:5
	s_add_i32 s19, s8, -1
	s_waitcnt lgkmcnt(2)
	v_fmac_f32_e32 v117, v127, v121
	s_set_gpr_idx_on s18, gpr_idx(SRC0)
	v_mov_b32_e32 v127, v34
	s_set_gpr_idx_off
	v_fmac_f32_e32 v117, v128, v122
	s_set_gpr_idx_on s19, gpr_idx(SRC0)
	v_mov_b32_e32 v128, v34
	s_set_gpr_idx_off
	ds_read2_b32 v[121:122], v118 offset0:6 offset1:7
	s_waitcnt lgkmcnt(2)
	v_fmac_f32_e32 v117, v129, v123
	s_set_gpr_idx_on s8, gpr_idx(SRC0)
	v_mov_b32_e32 v123, v34
	s_set_gpr_idx_off
	v_fmac_f32_e32 v117, v130, v124
	s_add_u32 s8, s8, 8
	s_waitcnt lgkmcnt(1)
	v_fmac_f32_e32 v117, v131, v125
	v_add_u32_e32 v118, s8, v120
	v_fmac_f32_e32 v117, v127, v126
	s_addc_u32 s9, s9, 0
	s_add_i32 s12, s12, 32
	s_add_i32 s13, s8, -7
	v_cmp_eq_u32_e32 vcc, 18, v118
	s_waitcnt lgkmcnt(0)
	v_fmac_f32_e32 v117, v128, v121
	v_mov_b32_e32 v118, s13
	s_or_b64 s[10:11], vcc, s[10:11]
	v_fmac_f32_e32 v117, v123, v122
	s_andn2_b64 exec, exec, s[10:11]
	s_cbranch_execnz .LBB88_201
; %bb.202:
	s_or_b64 exec, exec, s[10:11]
.LBB88_203:
	s_or_b64 exec, exec, s[2:3]
	v_and_b32_e32 v59, 7, v119
	v_cmp_ne_u32_e32 vcc, 0, v59
	s_and_saveexec_b64 s[8:9], vcc
	s_cbranch_execz .LBB88_207
; %bb.204:
	v_mov_b32_e32 v60, 0x70
	v_lshl_add_u32 v60, v118, 2, v60
	v_mov_b32_e32 v61, 0
	s_mov_b64 s[10:11], 0
.LBB88_205:                             ; =>This Inner Loop Header: Depth=1
	v_cmp_eq_u32_e32 vcc, 1, v118
	v_cndmask_b32_e32 v62, v34, v35, vcc
	v_add_u32_e32 v59, -1, v59
	v_cmp_eq_u32_e32 vcc, 2, v118
	v_cndmask_b32_e32 v62, v62, v36, vcc
	v_cmp_eq_u32_e32 vcc, 0, v59
	v_cmp_eq_u32_e64 s[2:3], 3, v118
	v_cndmask_b32_e64 v62, v62, v37, s[2:3]
	s_or_b64 s[10:11], vcc, s[10:11]
	v_cmp_eq_u32_e32 vcc, 4, v118
	v_cndmask_b32_e32 v62, v62, v38, vcc
	v_cmp_eq_u32_e32 vcc, 5, v118
	v_cndmask_b32_e32 v62, v62, v39, vcc
	;; [unrolled: 2-line block ×16, first 2 shown]
	v_cmp_eq_u32_e32 vcc, 20, v118
	ds_read_b32 v63, v60
	v_cndmask_b32_e32 v62, v62, v54, vcc
	v_cmp_eq_u32_e32 vcc, 21, v118
	v_cndmask_b32_e32 v62, v62, v55, vcc
	v_cmp_eq_u32_e32 vcc, 22, v118
	;; [unrolled: 2-line block ×4, first 2 shown]
	v_add_co_u32_e64 v118, s[2:3], 1, v118
	v_cndmask_b32_e32 v62, v62, v58, vcc
	v_add_u32_e32 v60, 4, v60
	v_addc_co_u32_e64 v61, s[2:3], 0, v61, s[2:3]
	s_waitcnt lgkmcnt(0)
	v_fmac_f32_e32 v117, v62, v63
	s_andn2_b64 exec, exec, s[10:11]
	s_cbranch_execnz .LBB88_205
; %bb.206:
	s_or_b64 exec, exec, s[10:11]
.LBB88_207:
	s_or_b64 exec, exec, s[8:9]
.LBB88_208:
	s_or_b64 exec, exec, s[6:7]
	v_mov_b32_e32 v44, 0
	ds_read_b32 v44, v44 offset:40
	s_waitcnt lgkmcnt(0)
	v_mul_f32_e32 v44, v117, v44
.LBB88_209:
	s_or_b64 exec, exec, s[4:5]
	v_cmp_lt_u32_e64 s[2:3], 9, v0
	ds_write_b32 v116, v43
	s_waitcnt lgkmcnt(0)
	; wave barrier
	s_and_saveexec_b64 s[4:5], s[2:3]
	s_cbranch_execz .LBB88_225
; %bb.210:
	s_andn2_b64 vcc, exec, s[54:55]
	s_cbranch_vccnz .LBB88_212
; %bb.211:
	v_cmp_eq_u32_e32 vcc, 1, v0
	v_cndmask_b32_e32 v117, v34, v35, vcc
	v_cmp_eq_u32_e32 vcc, 2, v0
	v_cndmask_b32_e32 v117, v117, v36, vcc
	;; [unrolled: 2-line block ×20, first 2 shown]
	v_cmp_eq_u32_e32 vcc, 21, v0
	ds_read_b32 v118, v116
	v_cndmask_b32_e32 v117, v117, v55, vcc
	v_cmp_eq_u32_e32 vcc, 22, v0
	v_cndmask_b32_e32 v117, v117, v56, vcc
	v_cmp_eq_u32_e32 vcc, 23, v0
	;; [unrolled: 2-line block ×3, first 2 shown]
	v_cndmask_b32_e32 v117, v117, v58, vcc
	s_waitcnt lgkmcnt(0)
	v_mul_f32_e32 v117, v117, v118
	s_cbranch_execz .LBB88_213
	s_branch .LBB88_214
.LBB88_212:
                                        ; implicit-def: $vgpr117
.LBB88_213:
	ds_read_b32 v117, v116
.LBB88_214:
	s_and_saveexec_b64 s[6:7], s[0:1]
	s_cbranch_execz .LBB88_224
; %bb.215:
	v_add_u32_e32 v118, -11, v0
	v_add_u32_e32 v119, -10, v0
	v_cmp_lt_u32_e32 vcc, 6, v118
	v_mov_b32_e32 v118, 10
	s_and_saveexec_b64 s[0:1], vcc
	s_cbranch_execz .LBB88_219
; %bb.216:
	v_and_b32_e32 v118, -8, v119
	v_sub_u32_e32 v120, 0, v118
	s_mov_b64 s[8:9], 17
	s_movk_i32 s12, 0x98
	s_mov_b64 s[10:11], 0
.LBB88_217:                             ; =>This Inner Loop Header: Depth=1
	s_add_i32 s13, s8, -7
	v_mov_b32_e32 v118, s12
	s_add_i32 s14, s8, -6
	s_set_gpr_idx_on s13, gpr_idx(SRC0)
	v_mov_b32_e32 v129, v34
	s_set_gpr_idx_off
	ds_read2_b64 v[121:124], v118 offset1:1
	s_add_i32 s15, s8, -5
	s_set_gpr_idx_on s14, gpr_idx(SRC0)
	v_mov_b32_e32 v130, v34
	s_set_gpr_idx_off
	s_add_i32 s16, s8, -4
	s_set_gpr_idx_on s15, gpr_idx(SRC0)
	v_mov_b32_e32 v131, v34
	s_set_gpr_idx_off
	;; [unrolled: 4-line block ×4, first 2 shown]
	ds_read2_b64 v[125:128], v118 offset0:2 offset1:3
	s_add_i32 s19, s8, -1
	s_waitcnt lgkmcnt(1)
	v_fmac_f32_e32 v117, v129, v121
	s_set_gpr_idx_on s18, gpr_idx(SRC0)
	v_mov_b32_e32 v121, v34
	s_set_gpr_idx_off
	v_fmac_f32_e32 v117, v130, v122
	s_set_gpr_idx_on s19, gpr_idx(SRC0)
	v_mov_b32_e32 v122, v34
	s_set_gpr_idx_off
	;; [unrolled: 4-line block ×3, first 2 shown]
	v_fmac_f32_e32 v117, v132, v124
	s_add_u32 s8, s8, 8
	s_waitcnt lgkmcnt(0)
	v_fmac_f32_e32 v117, v133, v125
	v_add_u32_e32 v118, s8, v120
	v_fmac_f32_e32 v117, v121, v126
	s_addc_u32 s9, s9, 0
	s_add_i32 s12, s12, 32
	s_add_i32 s13, s8, -7
	v_cmp_eq_u32_e32 vcc, 17, v118
	v_fmac_f32_e32 v117, v122, v127
	v_mov_b32_e32 v118, s13
	s_or_b64 s[10:11], vcc, s[10:11]
	v_fmac_f32_e32 v117, v123, v128
	s_andn2_b64 exec, exec, s[10:11]
	s_cbranch_execnz .LBB88_217
; %bb.218:
	s_or_b64 exec, exec, s[10:11]
.LBB88_219:
	s_or_b64 exec, exec, s[0:1]
	v_and_b32_e32 v59, 7, v119
	v_cmp_ne_u32_e32 vcc, 0, v59
	s_and_saveexec_b64 s[8:9], vcc
	s_cbranch_execz .LBB88_223
; %bb.220:
	v_mov_b32_e32 v60, 0x70
	v_lshl_add_u32 v60, v118, 2, v60
	v_mov_b32_e32 v61, 0
	s_mov_b64 s[10:11], 0
.LBB88_221:                             ; =>This Inner Loop Header: Depth=1
	v_cmp_eq_u32_e32 vcc, 1, v118
	v_cndmask_b32_e32 v62, v34, v35, vcc
	v_add_u32_e32 v59, -1, v59
	v_cmp_eq_u32_e32 vcc, 2, v118
	v_cndmask_b32_e32 v62, v62, v36, vcc
	v_cmp_eq_u32_e32 vcc, 0, v59
	v_cmp_eq_u32_e64 s[0:1], 3, v118
	v_cndmask_b32_e64 v62, v62, v37, s[0:1]
	s_or_b64 s[10:11], vcc, s[10:11]
	v_cmp_eq_u32_e32 vcc, 4, v118
	v_cndmask_b32_e32 v62, v62, v38, vcc
	v_cmp_eq_u32_e32 vcc, 5, v118
	v_cndmask_b32_e32 v62, v62, v39, vcc
	;; [unrolled: 2-line block ×16, first 2 shown]
	v_cmp_eq_u32_e32 vcc, 20, v118
	ds_read_b32 v63, v60
	v_cndmask_b32_e32 v62, v62, v54, vcc
	v_cmp_eq_u32_e32 vcc, 21, v118
	v_cndmask_b32_e32 v62, v62, v55, vcc
	v_cmp_eq_u32_e32 vcc, 22, v118
	;; [unrolled: 2-line block ×4, first 2 shown]
	v_add_co_u32_e64 v118, s[0:1], 1, v118
	v_cndmask_b32_e32 v62, v62, v58, vcc
	v_add_u32_e32 v60, 4, v60
	v_addc_co_u32_e64 v61, s[0:1], 0, v61, s[0:1]
	s_waitcnt lgkmcnt(0)
	v_fmac_f32_e32 v117, v62, v63
	s_andn2_b64 exec, exec, s[10:11]
	s_cbranch_execnz .LBB88_221
; %bb.222:
	s_or_b64 exec, exec, s[10:11]
.LBB88_223:
	s_or_b64 exec, exec, s[8:9]
.LBB88_224:
	s_or_b64 exec, exec, s[6:7]
	v_mov_b32_e32 v43, 0
	ds_read_b32 v43, v43 offset:36
	s_waitcnt lgkmcnt(0)
	v_mul_f32_e32 v43, v117, v43
.LBB88_225:
	s_or_b64 exec, exec, s[4:5]
	v_cmp_lt_u32_e64 s[0:1], 8, v0
	ds_write_b32 v116, v42
	s_waitcnt lgkmcnt(0)
	; wave barrier
	s_and_saveexec_b64 s[4:5], s[0:1]
	s_cbranch_execz .LBB88_241
; %bb.226:
	s_andn2_b64 vcc, exec, s[54:55]
	s_cbranch_vccnz .LBB88_228
; %bb.227:
	v_cmp_eq_u32_e32 vcc, 1, v0
	v_cndmask_b32_e32 v117, v34, v35, vcc
	v_cmp_eq_u32_e32 vcc, 2, v0
	v_cndmask_b32_e32 v117, v117, v36, vcc
	;; [unrolled: 2-line block ×20, first 2 shown]
	v_cmp_eq_u32_e32 vcc, 21, v0
	ds_read_b32 v118, v116
	v_cndmask_b32_e32 v117, v117, v55, vcc
	v_cmp_eq_u32_e32 vcc, 22, v0
	v_cndmask_b32_e32 v117, v117, v56, vcc
	v_cmp_eq_u32_e32 vcc, 23, v0
	v_cndmask_b32_e32 v117, v117, v57, vcc
	v_cmp_eq_u32_e32 vcc, 24, v0
	v_cndmask_b32_e32 v117, v117, v58, vcc
	s_waitcnt lgkmcnt(0)
	v_mul_f32_e32 v117, v117, v118
	s_cbranch_execz .LBB88_229
	s_branch .LBB88_230
.LBB88_228:
                                        ; implicit-def: $vgpr117
.LBB88_229:
	ds_read_b32 v117, v116
.LBB88_230:
	s_and_saveexec_b64 s[6:7], s[2:3]
	s_cbranch_execz .LBB88_240
; %bb.231:
	v_add_u32_e32 v118, -10, v0
	v_add_u32_e32 v119, -9, v0
	v_cmp_lt_u32_e32 vcc, 6, v118
	v_mov_b32_e32 v118, 9
	s_and_saveexec_b64 s[2:3], vcc
	s_cbranch_execz .LBB88_235
; %bb.232:
	v_and_b32_e32 v118, -8, v119
	v_sub_u32_e32 v120, 0, v118
	s_mov_b64 s[8:9], 16
	s_movk_i32 s12, 0x94
	s_mov_b64 s[10:11], 0
.LBB88_233:                             ; =>This Inner Loop Header: Depth=1
	s_add_i32 s13, s8, -7
	v_mov_b32_e32 v118, s12
	s_add_i32 s14, s8, -6
	s_set_gpr_idx_on s13, gpr_idx(SRC0)
	v_mov_b32_e32 v127, v34
	s_set_gpr_idx_off
	ds_read2_b32 v[121:122], v118 offset1:1
	s_add_i32 s15, s8, -5
	s_set_gpr_idx_on s14, gpr_idx(SRC0)
	v_mov_b32_e32 v128, v34
	s_set_gpr_idx_off
	s_add_i32 s16, s8, -4
	s_set_gpr_idx_on s15, gpr_idx(SRC0)
	v_mov_b32_e32 v129, v34
	s_set_gpr_idx_off
	ds_read2_b32 v[123:124], v118 offset0:2 offset1:3
	s_add_i32 s17, s8, -3
	s_set_gpr_idx_on s16, gpr_idx(SRC0)
	v_mov_b32_e32 v130, v34
	s_set_gpr_idx_off
	s_add_i32 s18, s8, -2
	s_set_gpr_idx_on s17, gpr_idx(SRC0)
	v_mov_b32_e32 v131, v34
	s_set_gpr_idx_off
	ds_read2_b32 v[125:126], v118 offset0:4 offset1:5
	s_add_i32 s19, s8, -1
	s_waitcnt lgkmcnt(2)
	v_fmac_f32_e32 v117, v127, v121
	s_set_gpr_idx_on s18, gpr_idx(SRC0)
	v_mov_b32_e32 v127, v34
	s_set_gpr_idx_off
	v_fmac_f32_e32 v117, v128, v122
	s_set_gpr_idx_on s19, gpr_idx(SRC0)
	v_mov_b32_e32 v128, v34
	s_set_gpr_idx_off
	ds_read2_b32 v[121:122], v118 offset0:6 offset1:7
	s_waitcnt lgkmcnt(2)
	v_fmac_f32_e32 v117, v129, v123
	s_set_gpr_idx_on s8, gpr_idx(SRC0)
	v_mov_b32_e32 v123, v34
	s_set_gpr_idx_off
	v_fmac_f32_e32 v117, v130, v124
	s_add_u32 s8, s8, 8
	s_waitcnt lgkmcnt(1)
	v_fmac_f32_e32 v117, v131, v125
	v_add_u32_e32 v118, s8, v120
	v_fmac_f32_e32 v117, v127, v126
	s_addc_u32 s9, s9, 0
	s_add_i32 s12, s12, 32
	s_add_i32 s13, s8, -7
	v_cmp_eq_u32_e32 vcc, 16, v118
	s_waitcnt lgkmcnt(0)
	v_fmac_f32_e32 v117, v128, v121
	v_mov_b32_e32 v118, s13
	s_or_b64 s[10:11], vcc, s[10:11]
	v_fmac_f32_e32 v117, v123, v122
	s_andn2_b64 exec, exec, s[10:11]
	s_cbranch_execnz .LBB88_233
; %bb.234:
	s_or_b64 exec, exec, s[10:11]
.LBB88_235:
	s_or_b64 exec, exec, s[2:3]
	v_and_b32_e32 v59, 7, v119
	v_cmp_ne_u32_e32 vcc, 0, v59
	s_and_saveexec_b64 s[8:9], vcc
	s_cbranch_execz .LBB88_239
; %bb.236:
	v_mov_b32_e32 v60, 0x70
	v_lshl_add_u32 v60, v118, 2, v60
	v_mov_b32_e32 v61, 0
	s_mov_b64 s[10:11], 0
.LBB88_237:                             ; =>This Inner Loop Header: Depth=1
	v_cmp_eq_u32_e32 vcc, 1, v118
	v_cndmask_b32_e32 v62, v34, v35, vcc
	v_add_u32_e32 v59, -1, v59
	v_cmp_eq_u32_e32 vcc, 2, v118
	v_cndmask_b32_e32 v62, v62, v36, vcc
	v_cmp_eq_u32_e32 vcc, 0, v59
	v_cmp_eq_u32_e64 s[2:3], 3, v118
	v_cndmask_b32_e64 v62, v62, v37, s[2:3]
	s_or_b64 s[10:11], vcc, s[10:11]
	v_cmp_eq_u32_e32 vcc, 4, v118
	v_cndmask_b32_e32 v62, v62, v38, vcc
	v_cmp_eq_u32_e32 vcc, 5, v118
	v_cndmask_b32_e32 v62, v62, v39, vcc
	;; [unrolled: 2-line block ×16, first 2 shown]
	v_cmp_eq_u32_e32 vcc, 20, v118
	ds_read_b32 v63, v60
	v_cndmask_b32_e32 v62, v62, v54, vcc
	v_cmp_eq_u32_e32 vcc, 21, v118
	v_cndmask_b32_e32 v62, v62, v55, vcc
	v_cmp_eq_u32_e32 vcc, 22, v118
	;; [unrolled: 2-line block ×4, first 2 shown]
	v_add_co_u32_e64 v118, s[2:3], 1, v118
	v_cndmask_b32_e32 v62, v62, v58, vcc
	v_add_u32_e32 v60, 4, v60
	v_addc_co_u32_e64 v61, s[2:3], 0, v61, s[2:3]
	s_waitcnt lgkmcnt(0)
	v_fmac_f32_e32 v117, v62, v63
	s_andn2_b64 exec, exec, s[10:11]
	s_cbranch_execnz .LBB88_237
; %bb.238:
	s_or_b64 exec, exec, s[10:11]
.LBB88_239:
	s_or_b64 exec, exec, s[8:9]
.LBB88_240:
	s_or_b64 exec, exec, s[6:7]
	v_mov_b32_e32 v42, 0
	ds_read_b32 v42, v42 offset:32
	s_waitcnt lgkmcnt(0)
	v_mul_f32_e32 v42, v117, v42
.LBB88_241:
	s_or_b64 exec, exec, s[4:5]
	v_cmp_lt_u32_e64 s[2:3], 7, v0
	ds_write_b32 v116, v41
	s_waitcnt lgkmcnt(0)
	; wave barrier
	s_and_saveexec_b64 s[4:5], s[2:3]
	s_cbranch_execz .LBB88_257
; %bb.242:
	s_andn2_b64 vcc, exec, s[54:55]
	s_cbranch_vccnz .LBB88_244
; %bb.243:
	v_cmp_eq_u32_e32 vcc, 1, v0
	v_cndmask_b32_e32 v117, v34, v35, vcc
	v_cmp_eq_u32_e32 vcc, 2, v0
	v_cndmask_b32_e32 v117, v117, v36, vcc
	;; [unrolled: 2-line block ×20, first 2 shown]
	v_cmp_eq_u32_e32 vcc, 21, v0
	ds_read_b32 v118, v116
	v_cndmask_b32_e32 v117, v117, v55, vcc
	v_cmp_eq_u32_e32 vcc, 22, v0
	v_cndmask_b32_e32 v117, v117, v56, vcc
	v_cmp_eq_u32_e32 vcc, 23, v0
	;; [unrolled: 2-line block ×3, first 2 shown]
	v_cndmask_b32_e32 v117, v117, v58, vcc
	s_waitcnt lgkmcnt(0)
	v_mul_f32_e32 v117, v117, v118
	s_cbranch_execz .LBB88_245
	s_branch .LBB88_246
.LBB88_244:
                                        ; implicit-def: $vgpr117
.LBB88_245:
	ds_read_b32 v117, v116
.LBB88_246:
	s_and_saveexec_b64 s[6:7], s[0:1]
	s_cbranch_execz .LBB88_256
; %bb.247:
	v_add_u32_e32 v118, -9, v0
	v_cmp_lt_u32_e32 vcc, 6, v118
	v_mov_b32_e32 v118, 8
	s_and_saveexec_b64 s[0:1], vcc
	s_cbranch_execz .LBB88_251
; %bb.248:
	v_and_b32_e32 v118, 24, v0
	v_sub_u32_e32 v119, 0, v118
	s_mov_b64 s[8:9], 15
	s_movk_i32 s12, 0x90
	s_mov_b64 s[10:11], 0
.LBB88_249:                             ; =>This Inner Loop Header: Depth=1
	s_add_i32 s13, s8, -7
	v_mov_b32_e32 v118, s12
	s_add_i32 s14, s8, -6
	s_set_gpr_idx_on s13, gpr_idx(SRC0)
	v_mov_b32_e32 v128, v34
	s_set_gpr_idx_off
	s_add_i32 s15, s8, -5
	ds_read_b128 v[120:123], v118
	ds_read_b128 v[124:127], v118 offset:16
	s_set_gpr_idx_on s14, gpr_idx(SRC0)
	v_mov_b32_e32 v118, v34
	s_set_gpr_idx_off
	s_add_i32 s16, s8, -4
	s_set_gpr_idx_on s15, gpr_idx(SRC0)
	v_mov_b32_e32 v129, v34
	s_set_gpr_idx_off
	s_add_i32 s17, s8, -3
	;; [unrolled: 4-line block ×4, first 2 shown]
	s_waitcnt lgkmcnt(1)
	v_fmac_f32_e32 v117, v128, v120
	s_set_gpr_idx_on s18, gpr_idx(SRC0)
	v_mov_b32_e32 v120, v34
	s_set_gpr_idx_off
	v_fmac_f32_e32 v117, v118, v121
	s_set_gpr_idx_on s19, gpr_idx(SRC0)
	v_mov_b32_e32 v121, v34
	s_set_gpr_idx_off
	;; [unrolled: 4-line block ×3, first 2 shown]
	v_fmac_f32_e32 v117, v130, v123
	s_add_u32 s8, s8, 8
	s_waitcnt lgkmcnt(0)
	v_fmac_f32_e32 v117, v131, v124
	v_add_u32_e32 v118, s8, v119
	v_fmac_f32_e32 v117, v120, v125
	s_addc_u32 s9, s9, 0
	s_add_i32 s12, s12, 32
	s_add_i32 s13, s8, -7
	v_cmp_eq_u32_e32 vcc, 7, v118
	v_fmac_f32_e32 v117, v121, v126
	v_mov_b32_e32 v118, s13
	s_or_b64 s[10:11], vcc, s[10:11]
	v_fmac_f32_e32 v117, v122, v127
	s_andn2_b64 exec, exec, s[10:11]
	s_cbranch_execnz .LBB88_249
; %bb.250:
	s_or_b64 exec, exec, s[10:11]
.LBB88_251:
	s_or_b64 exec, exec, s[0:1]
	v_and_b32_e32 v59, 7, v0
	v_cmp_ne_u32_e32 vcc, 0, v59
	s_and_saveexec_b64 s[8:9], vcc
	s_cbranch_execz .LBB88_255
; %bb.252:
	v_mov_b32_e32 v60, 0x70
	v_lshl_add_u32 v60, v118, 2, v60
	v_mov_b32_e32 v61, 0
	s_mov_b64 s[10:11], 0
.LBB88_253:                             ; =>This Inner Loop Header: Depth=1
	v_cmp_eq_u32_e32 vcc, 1, v118
	v_cndmask_b32_e32 v62, v34, v35, vcc
	v_add_u32_e32 v59, -1, v59
	v_cmp_eq_u32_e32 vcc, 2, v118
	v_cndmask_b32_e32 v62, v62, v36, vcc
	v_cmp_eq_u32_e32 vcc, 0, v59
	v_cmp_eq_u32_e64 s[0:1], 3, v118
	v_cndmask_b32_e64 v62, v62, v37, s[0:1]
	s_or_b64 s[10:11], vcc, s[10:11]
	v_cmp_eq_u32_e32 vcc, 4, v118
	v_cndmask_b32_e32 v62, v62, v38, vcc
	v_cmp_eq_u32_e32 vcc, 5, v118
	v_cndmask_b32_e32 v62, v62, v39, vcc
	;; [unrolled: 2-line block ×16, first 2 shown]
	v_cmp_eq_u32_e32 vcc, 20, v118
	ds_read_b32 v63, v60
	v_cndmask_b32_e32 v62, v62, v54, vcc
	v_cmp_eq_u32_e32 vcc, 21, v118
	v_cndmask_b32_e32 v62, v62, v55, vcc
	v_cmp_eq_u32_e32 vcc, 22, v118
	;; [unrolled: 2-line block ×4, first 2 shown]
	v_add_co_u32_e64 v118, s[0:1], 1, v118
	v_cndmask_b32_e32 v62, v62, v58, vcc
	v_add_u32_e32 v60, 4, v60
	v_addc_co_u32_e64 v61, s[0:1], 0, v61, s[0:1]
	s_waitcnt lgkmcnt(0)
	v_fmac_f32_e32 v117, v62, v63
	s_andn2_b64 exec, exec, s[10:11]
	s_cbranch_execnz .LBB88_253
; %bb.254:
	s_or_b64 exec, exec, s[10:11]
.LBB88_255:
	s_or_b64 exec, exec, s[8:9]
.LBB88_256:
	s_or_b64 exec, exec, s[6:7]
	v_mov_b32_e32 v41, 0
	ds_read_b32 v41, v41 offset:28
	s_waitcnt lgkmcnt(0)
	v_mul_f32_e32 v41, v117, v41
.LBB88_257:
	s_or_b64 exec, exec, s[4:5]
	v_cmp_lt_u32_e64 s[0:1], 6, v0
	ds_write_b32 v116, v40
	s_waitcnt lgkmcnt(0)
	; wave barrier
	s_and_saveexec_b64 s[4:5], s[0:1]
	s_cbranch_execz .LBB88_273
; %bb.258:
	s_andn2_b64 vcc, exec, s[54:55]
	s_cbranch_vccnz .LBB88_260
; %bb.259:
	v_cmp_eq_u32_e32 vcc, 1, v0
	v_cndmask_b32_e32 v117, v34, v35, vcc
	v_cmp_eq_u32_e32 vcc, 2, v0
	v_cndmask_b32_e32 v117, v117, v36, vcc
	;; [unrolled: 2-line block ×20, first 2 shown]
	v_cmp_eq_u32_e32 vcc, 21, v0
	ds_read_b32 v118, v116
	v_cndmask_b32_e32 v117, v117, v55, vcc
	v_cmp_eq_u32_e32 vcc, 22, v0
	v_cndmask_b32_e32 v117, v117, v56, vcc
	v_cmp_eq_u32_e32 vcc, 23, v0
	;; [unrolled: 2-line block ×3, first 2 shown]
	v_cndmask_b32_e32 v117, v117, v58, vcc
	s_waitcnt lgkmcnt(0)
	v_mul_f32_e32 v117, v117, v118
	s_cbranch_execz .LBB88_261
	s_branch .LBB88_262
.LBB88_260:
                                        ; implicit-def: $vgpr117
.LBB88_261:
	ds_read_b32 v117, v116
.LBB88_262:
	s_and_saveexec_b64 s[6:7], s[2:3]
	s_cbranch_execz .LBB88_272
; %bb.263:
	v_add_u32_e32 v118, -8, v0
	v_add_u32_e32 v119, -7, v0
	v_cmp_lt_u32_e32 vcc, 6, v118
	v_mov_b32_e32 v118, 7
	s_and_saveexec_b64 s[2:3], vcc
	s_cbranch_execz .LBB88_267
; %bb.264:
	v_and_b32_e32 v118, -8, v119
	v_sub_u32_e32 v120, 0, v118
	s_mov_b64 s[8:9], 14
	s_movk_i32 s12, 0x8c
	s_mov_b64 s[10:11], 0
.LBB88_265:                             ; =>This Inner Loop Header: Depth=1
	s_add_i32 s13, s8, -7
	v_mov_b32_e32 v118, s12
	s_add_i32 s14, s8, -6
	s_set_gpr_idx_on s13, gpr_idx(SRC0)
	v_mov_b32_e32 v127, v34
	s_set_gpr_idx_off
	ds_read2_b32 v[121:122], v118 offset1:1
	s_add_i32 s15, s8, -5
	s_set_gpr_idx_on s14, gpr_idx(SRC0)
	v_mov_b32_e32 v128, v34
	s_set_gpr_idx_off
	s_add_i32 s16, s8, -4
	s_set_gpr_idx_on s15, gpr_idx(SRC0)
	v_mov_b32_e32 v129, v34
	s_set_gpr_idx_off
	ds_read2_b32 v[123:124], v118 offset0:2 offset1:3
	s_add_i32 s17, s8, -3
	s_set_gpr_idx_on s16, gpr_idx(SRC0)
	v_mov_b32_e32 v130, v34
	s_set_gpr_idx_off
	s_add_i32 s18, s8, -2
	s_set_gpr_idx_on s17, gpr_idx(SRC0)
	v_mov_b32_e32 v131, v34
	s_set_gpr_idx_off
	ds_read2_b32 v[125:126], v118 offset0:4 offset1:5
	s_add_i32 s19, s8, -1
	s_waitcnt lgkmcnt(2)
	v_fmac_f32_e32 v117, v127, v121
	s_set_gpr_idx_on s18, gpr_idx(SRC0)
	v_mov_b32_e32 v127, v34
	s_set_gpr_idx_off
	v_fmac_f32_e32 v117, v128, v122
	s_set_gpr_idx_on s19, gpr_idx(SRC0)
	v_mov_b32_e32 v128, v34
	s_set_gpr_idx_off
	ds_read2_b32 v[121:122], v118 offset0:6 offset1:7
	s_waitcnt lgkmcnt(2)
	v_fmac_f32_e32 v117, v129, v123
	s_set_gpr_idx_on s8, gpr_idx(SRC0)
	v_mov_b32_e32 v123, v34
	s_set_gpr_idx_off
	v_fmac_f32_e32 v117, v130, v124
	s_add_u32 s8, s8, 8
	s_waitcnt lgkmcnt(1)
	v_fmac_f32_e32 v117, v131, v125
	v_add_u32_e32 v118, s8, v120
	v_fmac_f32_e32 v117, v127, v126
	s_addc_u32 s9, s9, 0
	s_add_i32 s12, s12, 32
	s_add_i32 s13, s8, -7
	v_cmp_eq_u32_e32 vcc, 14, v118
	s_waitcnt lgkmcnt(0)
	v_fmac_f32_e32 v117, v128, v121
	v_mov_b32_e32 v118, s13
	s_or_b64 s[10:11], vcc, s[10:11]
	v_fmac_f32_e32 v117, v123, v122
	s_andn2_b64 exec, exec, s[10:11]
	s_cbranch_execnz .LBB88_265
; %bb.266:
	s_or_b64 exec, exec, s[10:11]
.LBB88_267:
	s_or_b64 exec, exec, s[2:3]
	v_and_b32_e32 v59, 7, v119
	v_cmp_ne_u32_e32 vcc, 0, v59
	s_and_saveexec_b64 s[8:9], vcc
	s_cbranch_execz .LBB88_271
; %bb.268:
	v_mov_b32_e32 v60, 0x70
	v_lshl_add_u32 v60, v118, 2, v60
	v_mov_b32_e32 v61, 0
	s_mov_b64 s[10:11], 0
.LBB88_269:                             ; =>This Inner Loop Header: Depth=1
	v_cmp_eq_u32_e32 vcc, 1, v118
	v_cndmask_b32_e32 v62, v34, v35, vcc
	v_add_u32_e32 v59, -1, v59
	v_cmp_eq_u32_e32 vcc, 2, v118
	v_cndmask_b32_e32 v62, v62, v36, vcc
	v_cmp_eq_u32_e32 vcc, 0, v59
	v_cmp_eq_u32_e64 s[2:3], 3, v118
	v_cndmask_b32_e64 v62, v62, v37, s[2:3]
	s_or_b64 s[10:11], vcc, s[10:11]
	v_cmp_eq_u32_e32 vcc, 4, v118
	v_cndmask_b32_e32 v62, v62, v38, vcc
	v_cmp_eq_u32_e32 vcc, 5, v118
	v_cndmask_b32_e32 v62, v62, v39, vcc
	;; [unrolled: 2-line block ×16, first 2 shown]
	v_cmp_eq_u32_e32 vcc, 20, v118
	ds_read_b32 v63, v60
	v_cndmask_b32_e32 v62, v62, v54, vcc
	v_cmp_eq_u32_e32 vcc, 21, v118
	v_cndmask_b32_e32 v62, v62, v55, vcc
	v_cmp_eq_u32_e32 vcc, 22, v118
	;; [unrolled: 2-line block ×4, first 2 shown]
	v_add_co_u32_e64 v118, s[2:3], 1, v118
	v_cndmask_b32_e32 v62, v62, v58, vcc
	v_add_u32_e32 v60, 4, v60
	v_addc_co_u32_e64 v61, s[2:3], 0, v61, s[2:3]
	s_waitcnt lgkmcnt(0)
	v_fmac_f32_e32 v117, v62, v63
	s_andn2_b64 exec, exec, s[10:11]
	s_cbranch_execnz .LBB88_269
; %bb.270:
	s_or_b64 exec, exec, s[10:11]
.LBB88_271:
	s_or_b64 exec, exec, s[8:9]
.LBB88_272:
	s_or_b64 exec, exec, s[6:7]
	v_mov_b32_e32 v40, 0
	ds_read_b32 v40, v40 offset:24
	s_waitcnt lgkmcnt(0)
	v_mul_f32_e32 v40, v117, v40
.LBB88_273:
	s_or_b64 exec, exec, s[4:5]
	v_cmp_lt_u32_e64 s[2:3], 5, v0
	ds_write_b32 v116, v39
	s_waitcnt lgkmcnt(0)
	; wave barrier
	s_and_saveexec_b64 s[4:5], s[2:3]
	s_cbranch_execz .LBB88_289
; %bb.274:
	s_andn2_b64 vcc, exec, s[54:55]
	s_cbranch_vccnz .LBB88_276
; %bb.275:
	v_cmp_eq_u32_e32 vcc, 1, v0
	v_cndmask_b32_e32 v117, v34, v35, vcc
	v_cmp_eq_u32_e32 vcc, 2, v0
	v_cndmask_b32_e32 v117, v117, v36, vcc
	;; [unrolled: 2-line block ×20, first 2 shown]
	v_cmp_eq_u32_e32 vcc, 21, v0
	ds_read_b32 v118, v116
	v_cndmask_b32_e32 v117, v117, v55, vcc
	v_cmp_eq_u32_e32 vcc, 22, v0
	v_cndmask_b32_e32 v117, v117, v56, vcc
	v_cmp_eq_u32_e32 vcc, 23, v0
	;; [unrolled: 2-line block ×3, first 2 shown]
	v_cndmask_b32_e32 v117, v117, v58, vcc
	s_waitcnt lgkmcnt(0)
	v_mul_f32_e32 v117, v117, v118
	s_cbranch_execz .LBB88_277
	s_branch .LBB88_278
.LBB88_276:
                                        ; implicit-def: $vgpr117
.LBB88_277:
	ds_read_b32 v117, v116
.LBB88_278:
	s_and_saveexec_b64 s[6:7], s[0:1]
	s_cbranch_execz .LBB88_288
; %bb.279:
	v_add_u32_e32 v120, -7, v0
	v_add_u32_e32 v119, -6, v0
	v_mov_b32_e32 v118, 6
	v_cmp_lt_u32_e32 vcc, 6, v120
	s_and_saveexec_b64 s[0:1], vcc
	s_cbranch_execz .LBB88_283
; %bb.280:
	v_and_b32_e32 v118, -8, v119
	v_sub_u32_e32 v120, 0, v118
	s_mov_b64 s[8:9], 13
	s_movk_i32 s12, 0x88
	s_mov_b64 s[10:11], 0
.LBB88_281:                             ; =>This Inner Loop Header: Depth=1
	s_add_i32 s13, s8, -7
	v_mov_b32_e32 v118, s12
	s_add_i32 s14, s8, -6
	s_set_gpr_idx_on s13, gpr_idx(SRC0)
	v_mov_b32_e32 v129, v34
	s_set_gpr_idx_off
	ds_read2_b64 v[121:124], v118 offset1:1
	s_add_i32 s15, s8, -5
	s_set_gpr_idx_on s14, gpr_idx(SRC0)
	v_mov_b32_e32 v130, v34
	s_set_gpr_idx_off
	s_add_i32 s16, s8, -4
	s_set_gpr_idx_on s15, gpr_idx(SRC0)
	v_mov_b32_e32 v131, v34
	s_set_gpr_idx_off
	;; [unrolled: 4-line block ×4, first 2 shown]
	ds_read2_b64 v[125:128], v118 offset0:2 offset1:3
	s_add_i32 s19, s8, -1
	s_waitcnt lgkmcnt(1)
	v_fmac_f32_e32 v117, v129, v121
	s_set_gpr_idx_on s18, gpr_idx(SRC0)
	v_mov_b32_e32 v121, v34
	s_set_gpr_idx_off
	v_fmac_f32_e32 v117, v130, v122
	s_set_gpr_idx_on s19, gpr_idx(SRC0)
	v_mov_b32_e32 v122, v34
	s_set_gpr_idx_off
	;; [unrolled: 4-line block ×3, first 2 shown]
	v_fmac_f32_e32 v117, v132, v124
	s_add_u32 s8, s8, 8
	s_waitcnt lgkmcnt(0)
	v_fmac_f32_e32 v117, v133, v125
	v_add_u32_e32 v118, s8, v120
	v_fmac_f32_e32 v117, v121, v126
	s_addc_u32 s9, s9, 0
	s_add_i32 s12, s12, 32
	s_add_i32 s13, s8, -7
	v_cmp_eq_u32_e32 vcc, 13, v118
	v_fmac_f32_e32 v117, v122, v127
	v_mov_b32_e32 v118, s13
	s_or_b64 s[10:11], vcc, s[10:11]
	v_fmac_f32_e32 v117, v123, v128
	s_andn2_b64 exec, exec, s[10:11]
	s_cbranch_execnz .LBB88_281
; %bb.282:
	s_or_b64 exec, exec, s[10:11]
.LBB88_283:
	s_or_b64 exec, exec, s[0:1]
	v_and_b32_e32 v59, 7, v119
	v_cmp_ne_u32_e32 vcc, 0, v59
	s_and_saveexec_b64 s[8:9], vcc
	s_cbranch_execz .LBB88_287
; %bb.284:
	v_mov_b32_e32 v60, 0x70
	v_lshl_add_u32 v60, v118, 2, v60
	v_mov_b32_e32 v61, 0
	s_mov_b64 s[10:11], 0
.LBB88_285:                             ; =>This Inner Loop Header: Depth=1
	v_cmp_eq_u32_e32 vcc, 1, v118
	v_cndmask_b32_e32 v62, v34, v35, vcc
	v_add_u32_e32 v59, -1, v59
	v_cmp_eq_u32_e32 vcc, 2, v118
	v_cndmask_b32_e32 v62, v62, v36, vcc
	v_cmp_eq_u32_e32 vcc, 0, v59
	v_cmp_eq_u32_e64 s[0:1], 3, v118
	v_cndmask_b32_e64 v62, v62, v37, s[0:1]
	s_or_b64 s[10:11], vcc, s[10:11]
	v_cmp_eq_u32_e32 vcc, 4, v118
	v_cndmask_b32_e32 v62, v62, v38, vcc
	v_cmp_eq_u32_e32 vcc, 5, v118
	v_cndmask_b32_e32 v62, v62, v39, vcc
	;; [unrolled: 2-line block ×16, first 2 shown]
	v_cmp_eq_u32_e32 vcc, 20, v118
	ds_read_b32 v63, v60
	v_cndmask_b32_e32 v62, v62, v54, vcc
	v_cmp_eq_u32_e32 vcc, 21, v118
	v_cndmask_b32_e32 v62, v62, v55, vcc
	v_cmp_eq_u32_e32 vcc, 22, v118
	v_cndmask_b32_e32 v62, v62, v56, vcc
	v_cmp_eq_u32_e32 vcc, 23, v118
	v_cndmask_b32_e32 v62, v62, v57, vcc
	v_cmp_eq_u32_e32 vcc, 24, v118
	v_add_co_u32_e64 v118, s[0:1], 1, v118
	v_cndmask_b32_e32 v62, v62, v58, vcc
	v_add_u32_e32 v60, 4, v60
	v_addc_co_u32_e64 v61, s[0:1], 0, v61, s[0:1]
	s_waitcnt lgkmcnt(0)
	v_fmac_f32_e32 v117, v62, v63
	s_andn2_b64 exec, exec, s[10:11]
	s_cbranch_execnz .LBB88_285
; %bb.286:
	s_or_b64 exec, exec, s[10:11]
.LBB88_287:
	s_or_b64 exec, exec, s[8:9]
.LBB88_288:
	s_or_b64 exec, exec, s[6:7]
	v_mov_b32_e32 v39, 0
	ds_read_b32 v39, v39 offset:20
	s_waitcnt lgkmcnt(0)
	v_mul_f32_e32 v39, v117, v39
.LBB88_289:
	s_or_b64 exec, exec, s[4:5]
	v_cmp_lt_u32_e64 s[0:1], 4, v0
	ds_write_b32 v116, v38
	s_waitcnt lgkmcnt(0)
	; wave barrier
	s_and_saveexec_b64 s[4:5], s[0:1]
	s_cbranch_execz .LBB88_305
; %bb.290:
	s_andn2_b64 vcc, exec, s[54:55]
	s_cbranch_vccnz .LBB88_292
; %bb.291:
	v_cmp_eq_u32_e32 vcc, 1, v0
	v_cndmask_b32_e32 v117, v34, v35, vcc
	v_cmp_eq_u32_e32 vcc, 2, v0
	v_cndmask_b32_e32 v117, v117, v36, vcc
	;; [unrolled: 2-line block ×20, first 2 shown]
	v_cmp_eq_u32_e32 vcc, 21, v0
	ds_read_b32 v118, v116
	v_cndmask_b32_e32 v117, v117, v55, vcc
	v_cmp_eq_u32_e32 vcc, 22, v0
	v_cndmask_b32_e32 v117, v117, v56, vcc
	v_cmp_eq_u32_e32 vcc, 23, v0
	;; [unrolled: 2-line block ×3, first 2 shown]
	v_cndmask_b32_e32 v117, v117, v58, vcc
	s_waitcnt lgkmcnt(0)
	v_mul_f32_e32 v117, v117, v118
	s_cbranch_execz .LBB88_293
	s_branch .LBB88_294
.LBB88_292:
                                        ; implicit-def: $vgpr117
.LBB88_293:
	ds_read_b32 v117, v116
.LBB88_294:
	s_and_saveexec_b64 s[6:7], s[2:3]
	s_cbranch_execz .LBB88_304
; %bb.295:
	v_add_u32_e32 v118, -6, v0
	v_add_u32_e32 v119, -5, v0
	v_cmp_lt_u32_e32 vcc, 6, v118
	v_mov_b32_e32 v118, 5
	s_and_saveexec_b64 s[2:3], vcc
	s_cbranch_execz .LBB88_299
; %bb.296:
	v_and_b32_e32 v118, -8, v119
	v_sub_u32_e32 v120, 0, v118
	s_mov_b64 s[8:9], 12
	s_movk_i32 s12, 0x84
	s_mov_b64 s[10:11], 0
.LBB88_297:                             ; =>This Inner Loop Header: Depth=1
	s_add_i32 s13, s8, -7
	v_mov_b32_e32 v118, s12
	s_add_i32 s14, s8, -6
	s_set_gpr_idx_on s13, gpr_idx(SRC0)
	v_mov_b32_e32 v127, v34
	s_set_gpr_idx_off
	ds_read2_b32 v[121:122], v118 offset1:1
	s_add_i32 s15, s8, -5
	s_set_gpr_idx_on s14, gpr_idx(SRC0)
	v_mov_b32_e32 v128, v34
	s_set_gpr_idx_off
	s_add_i32 s16, s8, -4
	s_set_gpr_idx_on s15, gpr_idx(SRC0)
	v_mov_b32_e32 v129, v34
	s_set_gpr_idx_off
	ds_read2_b32 v[123:124], v118 offset0:2 offset1:3
	s_add_i32 s17, s8, -3
	s_set_gpr_idx_on s16, gpr_idx(SRC0)
	v_mov_b32_e32 v130, v34
	s_set_gpr_idx_off
	s_add_i32 s18, s8, -2
	s_set_gpr_idx_on s17, gpr_idx(SRC0)
	v_mov_b32_e32 v131, v34
	s_set_gpr_idx_off
	ds_read2_b32 v[125:126], v118 offset0:4 offset1:5
	s_add_i32 s19, s8, -1
	s_waitcnt lgkmcnt(2)
	v_fmac_f32_e32 v117, v127, v121
	s_set_gpr_idx_on s18, gpr_idx(SRC0)
	v_mov_b32_e32 v127, v34
	s_set_gpr_idx_off
	v_fmac_f32_e32 v117, v128, v122
	s_set_gpr_idx_on s19, gpr_idx(SRC0)
	v_mov_b32_e32 v128, v34
	s_set_gpr_idx_off
	ds_read2_b32 v[121:122], v118 offset0:6 offset1:7
	s_waitcnt lgkmcnt(2)
	v_fmac_f32_e32 v117, v129, v123
	s_set_gpr_idx_on s8, gpr_idx(SRC0)
	v_mov_b32_e32 v123, v34
	s_set_gpr_idx_off
	v_fmac_f32_e32 v117, v130, v124
	s_add_u32 s8, s8, 8
	s_waitcnt lgkmcnt(1)
	v_fmac_f32_e32 v117, v131, v125
	v_add_u32_e32 v118, s8, v120
	v_fmac_f32_e32 v117, v127, v126
	s_addc_u32 s9, s9, 0
	s_add_i32 s12, s12, 32
	s_add_i32 s13, s8, -7
	v_cmp_eq_u32_e32 vcc, 12, v118
	s_waitcnt lgkmcnt(0)
	v_fmac_f32_e32 v117, v128, v121
	v_mov_b32_e32 v118, s13
	s_or_b64 s[10:11], vcc, s[10:11]
	v_fmac_f32_e32 v117, v123, v122
	s_andn2_b64 exec, exec, s[10:11]
	s_cbranch_execnz .LBB88_297
; %bb.298:
	s_or_b64 exec, exec, s[10:11]
.LBB88_299:
	s_or_b64 exec, exec, s[2:3]
	v_and_b32_e32 v59, 7, v119
	v_cmp_ne_u32_e32 vcc, 0, v59
	s_and_saveexec_b64 s[8:9], vcc
	s_cbranch_execz .LBB88_303
; %bb.300:
	v_mov_b32_e32 v60, 0x70
	v_lshl_add_u32 v60, v118, 2, v60
	v_mov_b32_e32 v61, 0
	s_mov_b64 s[10:11], 0
.LBB88_301:                             ; =>This Inner Loop Header: Depth=1
	v_cmp_eq_u32_e32 vcc, 1, v118
	v_cndmask_b32_e32 v62, v34, v35, vcc
	v_add_u32_e32 v59, -1, v59
	v_cmp_eq_u32_e32 vcc, 2, v118
	v_cndmask_b32_e32 v62, v62, v36, vcc
	v_cmp_eq_u32_e32 vcc, 0, v59
	v_cmp_eq_u32_e64 s[2:3], 3, v118
	v_cndmask_b32_e64 v62, v62, v37, s[2:3]
	s_or_b64 s[10:11], vcc, s[10:11]
	v_cmp_eq_u32_e32 vcc, 4, v118
	v_cndmask_b32_e32 v62, v62, v38, vcc
	v_cmp_eq_u32_e32 vcc, 5, v118
	v_cndmask_b32_e32 v62, v62, v39, vcc
	;; [unrolled: 2-line block ×16, first 2 shown]
	v_cmp_eq_u32_e32 vcc, 20, v118
	ds_read_b32 v63, v60
	v_cndmask_b32_e32 v62, v62, v54, vcc
	v_cmp_eq_u32_e32 vcc, 21, v118
	v_cndmask_b32_e32 v62, v62, v55, vcc
	v_cmp_eq_u32_e32 vcc, 22, v118
	;; [unrolled: 2-line block ×4, first 2 shown]
	v_add_co_u32_e64 v118, s[2:3], 1, v118
	v_cndmask_b32_e32 v62, v62, v58, vcc
	v_add_u32_e32 v60, 4, v60
	v_addc_co_u32_e64 v61, s[2:3], 0, v61, s[2:3]
	s_waitcnt lgkmcnt(0)
	v_fmac_f32_e32 v117, v62, v63
	s_andn2_b64 exec, exec, s[10:11]
	s_cbranch_execnz .LBB88_301
; %bb.302:
	s_or_b64 exec, exec, s[10:11]
.LBB88_303:
	s_or_b64 exec, exec, s[8:9]
.LBB88_304:
	s_or_b64 exec, exec, s[6:7]
	v_mov_b32_e32 v38, 0
	ds_read_b32 v38, v38 offset:16
	s_waitcnt lgkmcnt(0)
	v_mul_f32_e32 v38, v117, v38
.LBB88_305:
	s_or_b64 exec, exec, s[4:5]
	v_cmp_lt_u32_e64 s[2:3], 3, v0
	ds_write_b32 v116, v37
	s_waitcnt lgkmcnt(0)
	; wave barrier
	s_and_saveexec_b64 s[4:5], s[2:3]
	s_cbranch_execz .LBB88_321
; %bb.306:
	s_andn2_b64 vcc, exec, s[54:55]
	s_cbranch_vccnz .LBB88_308
; %bb.307:
	v_cmp_eq_u32_e32 vcc, 1, v0
	v_cndmask_b32_e32 v117, v34, v35, vcc
	v_cmp_eq_u32_e32 vcc, 2, v0
	v_cndmask_b32_e32 v117, v117, v36, vcc
	;; [unrolled: 2-line block ×20, first 2 shown]
	v_cmp_eq_u32_e32 vcc, 21, v0
	ds_read_b32 v118, v116
	v_cndmask_b32_e32 v117, v117, v55, vcc
	v_cmp_eq_u32_e32 vcc, 22, v0
	v_cndmask_b32_e32 v117, v117, v56, vcc
	v_cmp_eq_u32_e32 vcc, 23, v0
	;; [unrolled: 2-line block ×3, first 2 shown]
	v_cndmask_b32_e32 v117, v117, v58, vcc
	s_waitcnt lgkmcnt(0)
	v_mul_f32_e32 v117, v117, v118
	s_cbranch_execz .LBB88_309
	s_branch .LBB88_310
.LBB88_308:
                                        ; implicit-def: $vgpr117
.LBB88_309:
	ds_read_b32 v117, v116
.LBB88_310:
	s_and_saveexec_b64 s[6:7], s[0:1]
	s_cbranch_execz .LBB88_320
; %bb.311:
	v_add_u32_e32 v118, -5, v0
	v_add_u32_e32 v119, -4, v0
	v_cmp_lt_u32_e32 vcc, 6, v118
	v_mov_b32_e32 v118, 4
	s_and_saveexec_b64 s[0:1], vcc
	s_cbranch_execz .LBB88_315
; %bb.312:
	v_and_b32_e32 v118, -8, v119
	v_sub_u32_e32 v120, 0, v118
	s_mov_b64 s[8:9], 5
	s_movk_i32 s12, 0x80
	s_mov_b64 s[10:11], 0
.LBB88_313:                             ; =>This Inner Loop Header: Depth=1
	s_add_i32 s13, s8, -1
	v_mov_b32_e32 v118, s12
	s_set_gpr_idx_on s13, gpr_idx(SRC0)
	v_mov_b32_e32 v129, v34
	s_set_gpr_idx_off
	s_add_i32 s14, s8, 1
	ds_read_b128 v[121:124], v118
	ds_read_b128 v[125:128], v118 offset:16
	s_set_gpr_idx_on s8, gpr_idx(SRC0)
	v_mov_b32_e32 v130, v34
	s_set_gpr_idx_off
	s_add_i32 s15, s8, 2
	s_set_gpr_idx_on s14, gpr_idx(SRC0)
	v_mov_b32_e32 v131, v34
	s_set_gpr_idx_off
	s_add_i32 s16, s8, 3
	;; [unrolled: 4-line block ×4, first 2 shown]
	s_waitcnt lgkmcnt(1)
	v_fmac_f32_e32 v117, v129, v121
	s_set_gpr_idx_on s17, gpr_idx(SRC0)
	v_mov_b32_e32 v121, v34
	s_set_gpr_idx_off
	s_add_i32 s19, s8, 6
	v_fmac_f32_e32 v117, v130, v122
	s_set_gpr_idx_on s18, gpr_idx(SRC0)
	v_mov_b32_e32 v122, v34
	s_set_gpr_idx_off
	v_fmac_f32_e32 v117, v131, v123
	s_set_gpr_idx_on s19, gpr_idx(SRC0)
	v_mov_b32_e32 v123, v34
	s_set_gpr_idx_off
	v_fmac_f32_e32 v117, v132, v124
	s_add_u32 s8, s8, 8
	s_waitcnt lgkmcnt(0)
	v_fmac_f32_e32 v117, v133, v125
	v_add_u32_e32 v118, s8, v120
	v_fmac_f32_e32 v117, v121, v126
	s_addc_u32 s9, s9, 0
	s_add_i32 s12, s12, 32
	s_add_i32 s13, s8, -1
	v_cmp_eq_u32_e32 vcc, 5, v118
	v_fmac_f32_e32 v117, v122, v127
	v_mov_b32_e32 v118, s13
	s_or_b64 s[10:11], vcc, s[10:11]
	v_fmac_f32_e32 v117, v123, v128
	s_andn2_b64 exec, exec, s[10:11]
	s_cbranch_execnz .LBB88_313
; %bb.314:
	s_or_b64 exec, exec, s[10:11]
.LBB88_315:
	s_or_b64 exec, exec, s[0:1]
	v_and_b32_e32 v59, 7, v119
	v_cmp_ne_u32_e32 vcc, 0, v59
	s_and_saveexec_b64 s[8:9], vcc
	s_cbranch_execz .LBB88_319
; %bb.316:
	v_mov_b32_e32 v60, 0x70
	v_lshl_add_u32 v60, v118, 2, v60
	v_mov_b32_e32 v61, 0
	s_mov_b64 s[10:11], 0
.LBB88_317:                             ; =>This Inner Loop Header: Depth=1
	v_cmp_eq_u32_e32 vcc, 1, v118
	v_cndmask_b32_e32 v62, v34, v35, vcc
	v_add_u32_e32 v59, -1, v59
	v_cmp_eq_u32_e32 vcc, 2, v118
	v_cndmask_b32_e32 v62, v62, v36, vcc
	v_cmp_eq_u32_e32 vcc, 0, v59
	v_cmp_eq_u32_e64 s[0:1], 3, v118
	v_cndmask_b32_e64 v62, v62, v37, s[0:1]
	s_or_b64 s[10:11], vcc, s[10:11]
	v_cmp_eq_u32_e32 vcc, 4, v118
	v_cndmask_b32_e32 v62, v62, v38, vcc
	v_cmp_eq_u32_e32 vcc, 5, v118
	v_cndmask_b32_e32 v62, v62, v39, vcc
	;; [unrolled: 2-line block ×16, first 2 shown]
	v_cmp_eq_u32_e32 vcc, 20, v118
	ds_read_b32 v63, v60
	v_cndmask_b32_e32 v62, v62, v54, vcc
	v_cmp_eq_u32_e32 vcc, 21, v118
	v_cndmask_b32_e32 v62, v62, v55, vcc
	v_cmp_eq_u32_e32 vcc, 22, v118
	;; [unrolled: 2-line block ×4, first 2 shown]
	v_add_co_u32_e64 v118, s[0:1], 1, v118
	v_cndmask_b32_e32 v62, v62, v58, vcc
	v_add_u32_e32 v60, 4, v60
	v_addc_co_u32_e64 v61, s[0:1], 0, v61, s[0:1]
	s_waitcnt lgkmcnt(0)
	v_fmac_f32_e32 v117, v62, v63
	s_andn2_b64 exec, exec, s[10:11]
	s_cbranch_execnz .LBB88_317
; %bb.318:
	s_or_b64 exec, exec, s[10:11]
.LBB88_319:
	s_or_b64 exec, exec, s[8:9]
.LBB88_320:
	s_or_b64 exec, exec, s[6:7]
	v_mov_b32_e32 v37, 0
	ds_read_b32 v37, v37 offset:12
	s_waitcnt lgkmcnt(0)
	v_mul_f32_e32 v37, v117, v37
.LBB88_321:
	s_or_b64 exec, exec, s[4:5]
	v_cmp_lt_u32_e64 s[0:1], 2, v0
	ds_write_b32 v116, v36
	s_waitcnt lgkmcnt(0)
	; wave barrier
	s_and_saveexec_b64 s[4:5], s[0:1]
	s_cbranch_execz .LBB88_337
; %bb.322:
	s_andn2_b64 vcc, exec, s[54:55]
	s_cbranch_vccnz .LBB88_324
; %bb.323:
	v_cmp_eq_u32_e32 vcc, 1, v0
	v_cndmask_b32_e32 v117, v34, v35, vcc
	v_cmp_eq_u32_e32 vcc, 2, v0
	v_cndmask_b32_e32 v117, v117, v36, vcc
	;; [unrolled: 2-line block ×20, first 2 shown]
	v_cmp_eq_u32_e32 vcc, 21, v0
	ds_read_b32 v118, v116
	v_cndmask_b32_e32 v117, v117, v55, vcc
	v_cmp_eq_u32_e32 vcc, 22, v0
	v_cndmask_b32_e32 v117, v117, v56, vcc
	v_cmp_eq_u32_e32 vcc, 23, v0
	v_cndmask_b32_e32 v117, v117, v57, vcc
	v_cmp_eq_u32_e32 vcc, 24, v0
	v_cndmask_b32_e32 v117, v117, v58, vcc
	s_waitcnt lgkmcnt(0)
	v_mul_f32_e32 v117, v117, v118
	s_cbranch_execz .LBB88_325
	s_branch .LBB88_326
.LBB88_324:
                                        ; implicit-def: $vgpr117
.LBB88_325:
	ds_read_b32 v117, v116
.LBB88_326:
	s_and_saveexec_b64 s[6:7], s[2:3]
	s_cbranch_execz .LBB88_336
; %bb.327:
	v_add_u32_e32 v118, -4, v0
	v_add_u32_e32 v119, -3, v0
	v_cmp_lt_u32_e32 vcc, 6, v118
	v_mov_b32_e32 v118, 3
	s_and_saveexec_b64 s[2:3], vcc
	s_cbranch_execz .LBB88_331
; %bb.328:
	v_and_b32_e32 v118, -8, v119
	v_sub_u32_e32 v120, 0, v118
	s_mov_b64 s[8:9], 10
	s_movk_i32 s12, 0x7c
	s_mov_b64 s[10:11], 0
.LBB88_329:                             ; =>This Inner Loop Header: Depth=1
	s_add_i32 s13, s8, -7
	v_mov_b32_e32 v118, s12
	s_add_i32 s14, s8, -6
	s_set_gpr_idx_on s13, gpr_idx(SRC0)
	v_mov_b32_e32 v127, v34
	s_set_gpr_idx_off
	ds_read2_b32 v[121:122], v118 offset1:1
	s_add_i32 s15, s8, -5
	s_set_gpr_idx_on s14, gpr_idx(SRC0)
	v_mov_b32_e32 v128, v34
	s_set_gpr_idx_off
	s_add_i32 s16, s8, -4
	s_set_gpr_idx_on s15, gpr_idx(SRC0)
	v_mov_b32_e32 v129, v34
	s_set_gpr_idx_off
	ds_read2_b32 v[123:124], v118 offset0:2 offset1:3
	s_add_i32 s17, s8, -3
	s_set_gpr_idx_on s16, gpr_idx(SRC0)
	v_mov_b32_e32 v130, v34
	s_set_gpr_idx_off
	s_add_i32 s18, s8, -2
	s_set_gpr_idx_on s17, gpr_idx(SRC0)
	v_mov_b32_e32 v131, v34
	s_set_gpr_idx_off
	ds_read2_b32 v[125:126], v118 offset0:4 offset1:5
	s_add_i32 s19, s8, -1
	s_waitcnt lgkmcnt(2)
	v_fmac_f32_e32 v117, v127, v121
	s_set_gpr_idx_on s18, gpr_idx(SRC0)
	v_mov_b32_e32 v127, v34
	s_set_gpr_idx_off
	v_fmac_f32_e32 v117, v128, v122
	s_set_gpr_idx_on s19, gpr_idx(SRC0)
	v_mov_b32_e32 v128, v34
	s_set_gpr_idx_off
	ds_read2_b32 v[121:122], v118 offset0:6 offset1:7
	s_waitcnt lgkmcnt(2)
	v_fmac_f32_e32 v117, v129, v123
	s_set_gpr_idx_on s8, gpr_idx(SRC0)
	v_mov_b32_e32 v123, v34
	s_set_gpr_idx_off
	v_fmac_f32_e32 v117, v130, v124
	s_add_u32 s8, s8, 8
	s_waitcnt lgkmcnt(1)
	v_fmac_f32_e32 v117, v131, v125
	v_add_u32_e32 v118, s8, v120
	v_fmac_f32_e32 v117, v127, v126
	s_addc_u32 s9, s9, 0
	s_add_i32 s12, s12, 32
	s_add_i32 s13, s8, -7
	v_cmp_eq_u32_e32 vcc, 10, v118
	s_waitcnt lgkmcnt(0)
	v_fmac_f32_e32 v117, v128, v121
	v_mov_b32_e32 v118, s13
	s_or_b64 s[10:11], vcc, s[10:11]
	v_fmac_f32_e32 v117, v123, v122
	s_andn2_b64 exec, exec, s[10:11]
	s_cbranch_execnz .LBB88_329
; %bb.330:
	s_or_b64 exec, exec, s[10:11]
.LBB88_331:
	s_or_b64 exec, exec, s[2:3]
	v_and_b32_e32 v59, 7, v119
	v_cmp_ne_u32_e32 vcc, 0, v59
	s_and_saveexec_b64 s[8:9], vcc
	s_cbranch_execz .LBB88_335
; %bb.332:
	v_mov_b32_e32 v60, 0x70
	v_lshl_add_u32 v60, v118, 2, v60
	v_mov_b32_e32 v61, 0
	s_mov_b64 s[10:11], 0
.LBB88_333:                             ; =>This Inner Loop Header: Depth=1
	v_cmp_eq_u32_e32 vcc, 1, v118
	v_cndmask_b32_e32 v62, v34, v35, vcc
	v_add_u32_e32 v59, -1, v59
	v_cmp_eq_u32_e32 vcc, 2, v118
	v_cndmask_b32_e32 v62, v62, v36, vcc
	v_cmp_eq_u32_e32 vcc, 0, v59
	v_cmp_eq_u32_e64 s[2:3], 3, v118
	v_cndmask_b32_e64 v62, v62, v37, s[2:3]
	s_or_b64 s[10:11], vcc, s[10:11]
	v_cmp_eq_u32_e32 vcc, 4, v118
	v_cndmask_b32_e32 v62, v62, v38, vcc
	v_cmp_eq_u32_e32 vcc, 5, v118
	v_cndmask_b32_e32 v62, v62, v39, vcc
	;; [unrolled: 2-line block ×16, first 2 shown]
	v_cmp_eq_u32_e32 vcc, 20, v118
	ds_read_b32 v63, v60
	v_cndmask_b32_e32 v62, v62, v54, vcc
	v_cmp_eq_u32_e32 vcc, 21, v118
	v_cndmask_b32_e32 v62, v62, v55, vcc
	v_cmp_eq_u32_e32 vcc, 22, v118
	;; [unrolled: 2-line block ×4, first 2 shown]
	v_add_co_u32_e64 v118, s[2:3], 1, v118
	v_cndmask_b32_e32 v62, v62, v58, vcc
	v_add_u32_e32 v60, 4, v60
	v_addc_co_u32_e64 v61, s[2:3], 0, v61, s[2:3]
	s_waitcnt lgkmcnt(0)
	v_fmac_f32_e32 v117, v62, v63
	s_andn2_b64 exec, exec, s[10:11]
	s_cbranch_execnz .LBB88_333
; %bb.334:
	s_or_b64 exec, exec, s[10:11]
.LBB88_335:
	s_or_b64 exec, exec, s[8:9]
.LBB88_336:
	s_or_b64 exec, exec, s[6:7]
	v_mov_b32_e32 v36, 0
	ds_read_b32 v36, v36 offset:8
	s_waitcnt lgkmcnt(0)
	v_mul_f32_e32 v36, v117, v36
.LBB88_337:
	s_or_b64 exec, exec, s[4:5]
	v_cmp_lt_u32_e64 s[2:3], 1, v0
	ds_write_b32 v116, v35
	s_waitcnt lgkmcnt(0)
	; wave barrier
	s_and_saveexec_b64 s[4:5], s[2:3]
	s_cbranch_execz .LBB88_353
; %bb.338:
	s_andn2_b64 vcc, exec, s[54:55]
	s_cbranch_vccnz .LBB88_340
; %bb.339:
	v_cmp_eq_u32_e32 vcc, 1, v0
	v_cndmask_b32_e32 v117, v34, v35, vcc
	v_cmp_eq_u32_e32 vcc, 2, v0
	v_cndmask_b32_e32 v117, v117, v36, vcc
	;; [unrolled: 2-line block ×20, first 2 shown]
	v_cmp_eq_u32_e32 vcc, 21, v0
	ds_read_b32 v118, v116
	v_cndmask_b32_e32 v117, v117, v55, vcc
	v_cmp_eq_u32_e32 vcc, 22, v0
	v_cndmask_b32_e32 v117, v117, v56, vcc
	v_cmp_eq_u32_e32 vcc, 23, v0
	;; [unrolled: 2-line block ×3, first 2 shown]
	v_cndmask_b32_e32 v117, v117, v58, vcc
	s_waitcnt lgkmcnt(0)
	v_mul_f32_e32 v117, v117, v118
	s_cbranch_execz .LBB88_341
	s_branch .LBB88_342
.LBB88_340:
                                        ; implicit-def: $vgpr117
.LBB88_341:
	ds_read_b32 v117, v116
.LBB88_342:
	s_and_saveexec_b64 s[6:7], s[0:1]
	s_cbranch_execz .LBB88_352
; %bb.343:
	v_add_u32_e32 v118, -3, v0
	v_add_u32_e32 v119, -2, v0
	v_cmp_lt_u32_e32 vcc, 6, v118
	v_mov_b32_e32 v118, 2
	s_and_saveexec_b64 s[0:1], vcc
	s_cbranch_execz .LBB88_347
; %bb.344:
	v_and_b32_e32 v118, -8, v119
	v_sub_u32_e32 v120, 0, v118
	s_mov_b64 s[8:9], 9
	s_movk_i32 s12, 0x78
	s_mov_b64 s[10:11], 0
.LBB88_345:                             ; =>This Inner Loop Header: Depth=1
	s_add_i32 s13, s8, -7
	v_mov_b32_e32 v118, s12
	s_add_i32 s14, s8, -6
	s_set_gpr_idx_on s13, gpr_idx(SRC0)
	v_mov_b32_e32 v129, v34
	s_set_gpr_idx_off
	ds_read2_b64 v[121:124], v118 offset1:1
	s_add_i32 s15, s8, -5
	s_set_gpr_idx_on s14, gpr_idx(SRC0)
	v_mov_b32_e32 v130, v34
	s_set_gpr_idx_off
	s_add_i32 s16, s8, -4
	s_set_gpr_idx_on s15, gpr_idx(SRC0)
	v_mov_b32_e32 v131, v34
	s_set_gpr_idx_off
	;; [unrolled: 4-line block ×4, first 2 shown]
	ds_read2_b64 v[125:128], v118 offset0:2 offset1:3
	s_add_i32 s19, s8, -1
	s_waitcnt lgkmcnt(1)
	v_fmac_f32_e32 v117, v129, v121
	s_set_gpr_idx_on s18, gpr_idx(SRC0)
	v_mov_b32_e32 v121, v34
	s_set_gpr_idx_off
	v_fmac_f32_e32 v117, v130, v122
	s_set_gpr_idx_on s19, gpr_idx(SRC0)
	v_mov_b32_e32 v122, v34
	s_set_gpr_idx_off
	;; [unrolled: 4-line block ×3, first 2 shown]
	v_fmac_f32_e32 v117, v132, v124
	s_add_u32 s8, s8, 8
	s_waitcnt lgkmcnt(0)
	v_fmac_f32_e32 v117, v133, v125
	v_add_u32_e32 v118, s8, v120
	v_fmac_f32_e32 v117, v121, v126
	s_addc_u32 s9, s9, 0
	s_add_i32 s12, s12, 32
	s_add_i32 s13, s8, -7
	v_cmp_eq_u32_e32 vcc, 9, v118
	v_fmac_f32_e32 v117, v122, v127
	v_mov_b32_e32 v118, s13
	s_or_b64 s[10:11], vcc, s[10:11]
	v_fmac_f32_e32 v117, v123, v128
	s_andn2_b64 exec, exec, s[10:11]
	s_cbranch_execnz .LBB88_345
; %bb.346:
	s_or_b64 exec, exec, s[10:11]
.LBB88_347:
	s_or_b64 exec, exec, s[0:1]
	v_and_b32_e32 v59, 7, v119
	v_cmp_ne_u32_e32 vcc, 0, v59
	s_and_saveexec_b64 s[8:9], vcc
	s_cbranch_execz .LBB88_351
; %bb.348:
	v_mov_b32_e32 v60, 0x70
	v_lshl_add_u32 v60, v118, 2, v60
	v_mov_b32_e32 v61, 0
	s_mov_b64 s[10:11], 0
.LBB88_349:                             ; =>This Inner Loop Header: Depth=1
	v_cmp_eq_u32_e32 vcc, 1, v118
	v_cndmask_b32_e32 v62, v34, v35, vcc
	v_add_u32_e32 v59, -1, v59
	v_cmp_eq_u32_e32 vcc, 2, v118
	v_cndmask_b32_e32 v62, v62, v36, vcc
	v_cmp_eq_u32_e32 vcc, 0, v59
	v_cmp_eq_u32_e64 s[0:1], 3, v118
	v_cndmask_b32_e64 v62, v62, v37, s[0:1]
	s_or_b64 s[10:11], vcc, s[10:11]
	v_cmp_eq_u32_e32 vcc, 4, v118
	v_cndmask_b32_e32 v62, v62, v38, vcc
	v_cmp_eq_u32_e32 vcc, 5, v118
	v_cndmask_b32_e32 v62, v62, v39, vcc
	;; [unrolled: 2-line block ×16, first 2 shown]
	v_cmp_eq_u32_e32 vcc, 20, v118
	ds_read_b32 v63, v60
	v_cndmask_b32_e32 v62, v62, v54, vcc
	v_cmp_eq_u32_e32 vcc, 21, v118
	v_cndmask_b32_e32 v62, v62, v55, vcc
	v_cmp_eq_u32_e32 vcc, 22, v118
	;; [unrolled: 2-line block ×4, first 2 shown]
	v_add_co_u32_e64 v118, s[0:1], 1, v118
	v_cndmask_b32_e32 v62, v62, v58, vcc
	v_add_u32_e32 v60, 4, v60
	v_addc_co_u32_e64 v61, s[0:1], 0, v61, s[0:1]
	s_waitcnt lgkmcnt(0)
	v_fmac_f32_e32 v117, v62, v63
	s_andn2_b64 exec, exec, s[10:11]
	s_cbranch_execnz .LBB88_349
; %bb.350:
	s_or_b64 exec, exec, s[10:11]
.LBB88_351:
	s_or_b64 exec, exec, s[8:9]
.LBB88_352:
	s_or_b64 exec, exec, s[6:7]
	v_mov_b32_e32 v35, 0
	ds_read_b32 v35, v35 offset:4
	s_waitcnt lgkmcnt(0)
	v_mul_f32_e32 v35, v117, v35
.LBB88_353:
	s_or_b64 exec, exec, s[4:5]
	v_cmp_ne_u32_e32 vcc, 0, v0
	ds_write_b32 v116, v34
	s_waitcnt lgkmcnt(0)
	; wave barrier
	s_and_saveexec_b64 s[4:5], vcc
	s_cbranch_execz .LBB88_369
; %bb.354:
	s_andn2_b64 vcc, exec, s[54:55]
	s_cbranch_vccnz .LBB88_356
; %bb.355:
	v_cmp_eq_u32_e32 vcc, 1, v0
	v_cndmask_b32_e32 v117, v34, v35, vcc
	v_cmp_eq_u32_e32 vcc, 2, v0
	v_cndmask_b32_e32 v117, v117, v36, vcc
	v_cmp_eq_u32_e32 vcc, 3, v0
	v_cndmask_b32_e32 v117, v117, v37, vcc
	v_cmp_eq_u32_e32 vcc, 4, v0
	v_cndmask_b32_e32 v117, v117, v38, vcc
	v_cmp_eq_u32_e32 vcc, 5, v0
	v_cndmask_b32_e32 v117, v117, v39, vcc
	v_cmp_eq_u32_e32 vcc, 6, v0
	v_cndmask_b32_e32 v117, v117, v40, vcc
	v_cmp_eq_u32_e32 vcc, 7, v0
	v_cndmask_b32_e32 v117, v117, v41, vcc
	v_cmp_eq_u32_e32 vcc, 8, v0
	v_cndmask_b32_e32 v117, v117, v42, vcc
	v_cmp_eq_u32_e32 vcc, 9, v0
	v_cndmask_b32_e32 v117, v117, v43, vcc
	v_cmp_eq_u32_e32 vcc, 10, v0
	v_cndmask_b32_e32 v117, v117, v44, vcc
	v_cmp_eq_u32_e32 vcc, 11, v0
	v_cndmask_b32_e32 v117, v117, v45, vcc
	v_cmp_eq_u32_e32 vcc, 12, v0
	v_cndmask_b32_e32 v117, v117, v46, vcc
	v_cmp_eq_u32_e32 vcc, 13, v0
	v_cndmask_b32_e32 v117, v117, v47, vcc
	v_cmp_eq_u32_e32 vcc, 14, v0
	v_cndmask_b32_e32 v117, v117, v48, vcc
	v_cmp_eq_u32_e32 vcc, 15, v0
	v_cndmask_b32_e32 v117, v117, v49, vcc
	v_cmp_eq_u32_e32 vcc, 16, v0
	v_cndmask_b32_e32 v117, v117, v50, vcc
	v_cmp_eq_u32_e32 vcc, 17, v0
	v_cndmask_b32_e32 v117, v117, v51, vcc
	v_cmp_eq_u32_e32 vcc, 18, v0
	v_cndmask_b32_e32 v117, v117, v52, vcc
	v_cmp_eq_u32_e32 vcc, 19, v0
	v_cndmask_b32_e32 v117, v117, v53, vcc
	v_cmp_eq_u32_e32 vcc, 20, v0
	v_cndmask_b32_e32 v117, v117, v54, vcc
	v_cmp_eq_u32_e32 vcc, 21, v0
	ds_read_b32 v118, v116
	v_cndmask_b32_e32 v117, v117, v55, vcc
	v_cmp_eq_u32_e32 vcc, 22, v0
	v_cndmask_b32_e32 v117, v117, v56, vcc
	v_cmp_eq_u32_e32 vcc, 23, v0
	;; [unrolled: 2-line block ×3, first 2 shown]
	v_cndmask_b32_e32 v117, v117, v58, vcc
	s_waitcnt lgkmcnt(0)
	v_mul_f32_e32 v117, v117, v118
	s_cbranch_execz .LBB88_357
	s_branch .LBB88_358
.LBB88_356:
                                        ; implicit-def: $vgpr117
.LBB88_357:
	ds_read_b32 v117, v116
.LBB88_358:
	s_and_saveexec_b64 s[6:7], s[2:3]
	s_cbranch_execz .LBB88_368
; %bb.359:
	v_add_u32_e32 v118, -2, v0
	v_add_u32_e32 v119, -1, v0
	v_cmp_lt_u32_e32 vcc, 6, v118
	v_mov_b32_e32 v118, 1
	s_and_saveexec_b64 s[0:1], vcc
	s_cbranch_execz .LBB88_363
; %bb.360:
	v_and_b32_e32 v118, -8, v119
	v_sub_u32_e32 v120, 0, v118
	s_mov_b64 s[2:3], 8
	s_movk_i32 s10, 0x74
	s_mov_b64 s[8:9], 0
.LBB88_361:                             ; =>This Inner Loop Header: Depth=1
	s_add_i32 s11, s2, -7
	v_mov_b32_e32 v118, s10
	s_add_i32 s12, s2, -6
	s_set_gpr_idx_on s11, gpr_idx(SRC0)
	v_mov_b32_e32 v127, v34
	s_set_gpr_idx_off
	ds_read2_b32 v[121:122], v118 offset1:1
	s_add_i32 s13, s2, -5
	s_set_gpr_idx_on s12, gpr_idx(SRC0)
	v_mov_b32_e32 v128, v34
	s_set_gpr_idx_off
	s_add_i32 s14, s2, -4
	s_set_gpr_idx_on s13, gpr_idx(SRC0)
	v_mov_b32_e32 v129, v34
	s_set_gpr_idx_off
	ds_read2_b32 v[123:124], v118 offset0:2 offset1:3
	s_add_i32 s15, s2, -3
	s_set_gpr_idx_on s14, gpr_idx(SRC0)
	v_mov_b32_e32 v130, v34
	s_set_gpr_idx_off
	s_add_i32 s16, s2, -2
	s_set_gpr_idx_on s15, gpr_idx(SRC0)
	v_mov_b32_e32 v131, v34
	s_set_gpr_idx_off
	ds_read2_b32 v[125:126], v118 offset0:4 offset1:5
	s_add_i32 s17, s2, -1
	s_waitcnt lgkmcnt(2)
	v_fmac_f32_e32 v117, v127, v121
	s_set_gpr_idx_on s16, gpr_idx(SRC0)
	v_mov_b32_e32 v127, v34
	s_set_gpr_idx_off
	v_fmac_f32_e32 v117, v128, v122
	s_set_gpr_idx_on s17, gpr_idx(SRC0)
	v_mov_b32_e32 v128, v34
	s_set_gpr_idx_off
	ds_read2_b32 v[121:122], v118 offset0:6 offset1:7
	s_waitcnt lgkmcnt(2)
	v_fmac_f32_e32 v117, v129, v123
	s_set_gpr_idx_on s2, gpr_idx(SRC0)
	v_mov_b32_e32 v123, v34
	s_set_gpr_idx_off
	v_fmac_f32_e32 v117, v130, v124
	s_add_u32 s2, s2, 8
	s_waitcnt lgkmcnt(1)
	v_fmac_f32_e32 v117, v131, v125
	v_add_u32_e32 v118, s2, v120
	v_fmac_f32_e32 v117, v127, v126
	s_addc_u32 s3, s3, 0
	s_add_i32 s10, s10, 32
	s_add_i32 s11, s2, -7
	v_cmp_eq_u32_e32 vcc, 8, v118
	s_waitcnt lgkmcnt(0)
	v_fmac_f32_e32 v117, v128, v121
	v_mov_b32_e32 v118, s11
	s_or_b64 s[8:9], vcc, s[8:9]
	v_fmac_f32_e32 v117, v123, v122
	s_andn2_b64 exec, exec, s[8:9]
	s_cbranch_execnz .LBB88_361
; %bb.362:
	s_or_b64 exec, exec, s[8:9]
.LBB88_363:
	s_or_b64 exec, exec, s[0:1]
	v_and_b32_e32 v59, 7, v119
	v_cmp_ne_u32_e32 vcc, 0, v59
	s_and_saveexec_b64 s[2:3], vcc
	s_cbranch_execz .LBB88_367
; %bb.364:
	v_mov_b32_e32 v60, 0x70
	v_lshl_add_u32 v60, v118, 2, v60
	v_mov_b32_e32 v61, 0
	s_mov_b64 s[8:9], 0
.LBB88_365:                             ; =>This Inner Loop Header: Depth=1
	v_cmp_eq_u32_e32 vcc, 1, v118
	v_cndmask_b32_e32 v62, v34, v35, vcc
	v_add_u32_e32 v59, -1, v59
	v_cmp_eq_u32_e32 vcc, 2, v118
	v_cndmask_b32_e32 v62, v62, v36, vcc
	v_cmp_eq_u32_e32 vcc, 0, v59
	v_cmp_eq_u32_e64 s[0:1], 3, v118
	v_cndmask_b32_e64 v62, v62, v37, s[0:1]
	s_or_b64 s[8:9], vcc, s[8:9]
	v_cmp_eq_u32_e32 vcc, 4, v118
	v_cndmask_b32_e32 v62, v62, v38, vcc
	v_cmp_eq_u32_e32 vcc, 5, v118
	v_cndmask_b32_e32 v62, v62, v39, vcc
	;; [unrolled: 2-line block ×16, first 2 shown]
	v_cmp_eq_u32_e32 vcc, 20, v118
	ds_read_b32 v63, v60
	v_cndmask_b32_e32 v62, v62, v54, vcc
	v_cmp_eq_u32_e32 vcc, 21, v118
	v_cndmask_b32_e32 v62, v62, v55, vcc
	v_cmp_eq_u32_e32 vcc, 22, v118
	;; [unrolled: 2-line block ×4, first 2 shown]
	v_add_co_u32_e64 v118, s[0:1], 1, v118
	v_cndmask_b32_e32 v62, v62, v58, vcc
	v_add_u32_e32 v60, 4, v60
	v_addc_co_u32_e64 v61, s[0:1], 0, v61, s[0:1]
	s_waitcnt lgkmcnt(0)
	v_fmac_f32_e32 v117, v62, v63
	s_andn2_b64 exec, exec, s[8:9]
	s_cbranch_execnz .LBB88_365
; %bb.366:
	s_or_b64 exec, exec, s[8:9]
.LBB88_367:
	s_or_b64 exec, exec, s[2:3]
.LBB88_368:
	s_or_b64 exec, exec, s[6:7]
	v_mov_b32_e32 v34, 0
	ds_read_b32 v34, v34
	s_waitcnt lgkmcnt(0)
	v_mul_f32_e32 v34, v117, v34
.LBB88_369:
	s_or_b64 exec, exec, s[4:5]
	s_branch .LBB88_613
.LBB88_370:
	v_cmp_eq_u32_e64 s[2:3], 0, v0
	s_waitcnt vmcnt(0) lgkmcnt(0)
	ds_write_b32 v116, v3
	s_waitcnt lgkmcnt(0)
	; wave barrier
	s_and_saveexec_b64 s[0:1], s[2:3]
	s_cbranch_execz .LBB88_376
; %bb.371:
	s_and_b64 vcc, exec, s[54:55]
	s_cbranch_vccz .LBB88_373
; %bb.372:
	v_cmp_eq_u32_e32 vcc, 1, v0
	v_cndmask_b32_e32 v3, v2, v3, vcc
	v_cmp_eq_u32_e32 vcc, 2, v0
	v_cndmask_b32_e32 v3, v3, v4, vcc
	;; [unrolled: 2-line block ×20, first 2 shown]
	v_cmp_eq_u32_e32 vcc, 21, v0
	ds_read_b32 v27, v116
	v_cndmask_b32_e32 v3, v3, v23, vcc
	v_cmp_eq_u32_e32 vcc, 22, v0
	v_cndmask_b32_e32 v3, v3, v24, vcc
	v_cmp_eq_u32_e32 vcc, 23, v0
	;; [unrolled: 2-line block ×3, first 2 shown]
	v_cndmask_b32_e32 v3, v3, v26, vcc
	s_waitcnt lgkmcnt(0)
	v_mul_f32_e32 v3, v3, v27
	s_cbranch_execz .LBB88_374
	s_branch .LBB88_375
.LBB88_373:
                                        ; implicit-def: $vgpr3
.LBB88_374:
	ds_read_b32 v3, v116
.LBB88_375:
	v_mov_b32_e32 v27, 0
	ds_read_b32 v27, v27 offset:4
	s_waitcnt lgkmcnt(0)
	v_mul_f32_e32 v3, v3, v27
.LBB88_376:
	s_or_b64 exec, exec, s[0:1]
	v_cndmask_b32_e64 v34, 0, 1, s[54:55]
	v_cmp_gt_u32_e32 vcc, 2, v0
	v_cmp_ne_u32_e64 s[0:1], 1, v34
	ds_write_b32 v116, v4
	s_waitcnt lgkmcnt(0)
	; wave barrier
	s_and_saveexec_b64 s[4:5], vcc
	s_cbranch_execz .LBB88_382
; %bb.377:
	s_and_b64 vcc, exec, s[0:1]
	s_cbranch_vccnz .LBB88_379
; %bb.378:
	v_cmp_eq_u32_e32 vcc, 1, v0
	v_cndmask_b32_e32 v27, v2, v3, vcc
	v_cmp_eq_u32_e32 vcc, 2, v0
	v_cndmask_b32_e32 v4, v27, v4, vcc
	;; [unrolled: 2-line block ×20, first 2 shown]
	v_cmp_eq_u32_e32 vcc, 21, v0
	ds_read_b32 v27, v116
	v_cndmask_b32_e32 v4, v4, v23, vcc
	v_cmp_eq_u32_e32 vcc, 22, v0
	v_cndmask_b32_e32 v4, v4, v24, vcc
	v_cmp_eq_u32_e32 vcc, 23, v0
	;; [unrolled: 2-line block ×3, first 2 shown]
	v_cndmask_b32_e32 v4, v4, v26, vcc
	s_waitcnt lgkmcnt(0)
	v_mul_f32_e32 v4, v4, v27
	s_cbranch_execz .LBB88_380
	s_branch .LBB88_381
.LBB88_379:
                                        ; implicit-def: $vgpr4
.LBB88_380:
	ds_read_b32 v4, v116
.LBB88_381:
	v_mov_b32_e32 v27, 0
	ds_read2_b32 v[27:28], v27 offset0:2 offset1:29
	s_waitcnt lgkmcnt(0)
	v_fma_f32 v28, v3, v28, v4
	v_cndmask_b32_e64 v4, v4, v28, s[2:3]
	v_mul_f32_e32 v4, v4, v27
.LBB88_382:
	s_or_b64 exec, exec, s[4:5]
	v_add_u32_e32 v34, 1, v0
	v_cmp_gt_u32_e64 s[4:5], 3, v0
	ds_write_b32 v116, v5
	s_waitcnt lgkmcnt(0)
	; wave barrier
	s_and_saveexec_b64 s[6:7], s[4:5]
	s_cbranch_execz .LBB88_390
; %bb.383:
	s_and_b64 vcc, exec, s[0:1]
	s_cbranch_vccnz .LBB88_385
; %bb.384:
	v_cmp_eq_u32_e32 vcc, 1, v0
	v_cndmask_b32_e32 v27, v2, v3, vcc
	v_cmp_eq_u32_e32 vcc, 2, v0
	v_cndmask_b32_e32 v27, v27, v4, vcc
	;; [unrolled: 2-line block ×20, first 2 shown]
	v_cmp_eq_u32_e32 vcc, 21, v0
	ds_read_b32 v28, v116
	v_cndmask_b32_e32 v27, v27, v23, vcc
	v_cmp_eq_u32_e32 vcc, 22, v0
	v_cndmask_b32_e32 v27, v27, v24, vcc
	v_cmp_eq_u32_e32 vcc, 23, v0
	;; [unrolled: 2-line block ×3, first 2 shown]
	v_cndmask_b32_e32 v27, v27, v26, vcc
	s_waitcnt lgkmcnt(0)
	v_mul_f32_e32 v27, v27, v28
	s_cbranch_execz .LBB88_386
	s_branch .LBB88_387
.LBB88_385:
                                        ; implicit-def: $vgpr27
.LBB88_386:
	ds_read_b32 v27, v116
.LBB88_387:
	v_cmp_ne_u32_e32 vcc, 2, v0
	s_and_saveexec_b64 s[8:9], vcc
	s_cbranch_execz .LBB88_389
; %bb.388:
	v_cmp_eq_u32_e32 vcc, 1, v34
	v_cndmask_b32_e32 v28, v2, v3, vcc
	v_cmp_eq_u32_e32 vcc, 2, v34
	v_cndmask_b32_e32 v28, v28, v4, vcc
	;; [unrolled: 2-line block ×20, first 2 shown]
	v_cmp_eq_u32_e32 vcc, 21, v34
	v_mov_b32_e32 v28, 0
	v_cndmask_b32_e32 v5, v5, v23, vcc
	v_cmp_eq_u32_e32 vcc, 22, v34
	ds_read_b32 v29, v116 offset:4
	ds_read_b32 v28, v28 offset:120
	v_cndmask_b32_e32 v5, v5, v24, vcc
	v_cmp_eq_u32_e32 vcc, 23, v34
	v_cndmask_b32_e32 v5, v5, v25, vcc
	v_cmp_eq_u32_e32 vcc, 24, v34
	v_cndmask_b32_e32 v5, v5, v26, vcc
	s_waitcnt lgkmcnt(1)
	v_fmac_f32_e32 v27, v5, v29
	s_waitcnt lgkmcnt(0)
	v_fma_f32 v5, v4, v28, v27
	v_cndmask_b32_e64 v27, v27, v5, s[2:3]
.LBB88_389:
	s_or_b64 exec, exec, s[8:9]
	v_mov_b32_e32 v5, 0
	ds_read_b32 v5, v5 offset:12
	s_waitcnt lgkmcnt(0)
	v_mul_f32_e32 v5, v27, v5
.LBB88_390:
	s_or_b64 exec, exec, s[6:7]
	v_cmp_gt_u32_e32 vcc, 4, v0
	ds_write_b32 v116, v6
	s_waitcnt lgkmcnt(0)
	; wave barrier
	s_and_saveexec_b64 s[8:9], vcc
	s_cbranch_execz .LBB88_400
; %bb.391:
	s_and_b64 vcc, exec, s[0:1]
	s_cbranch_vccnz .LBB88_393
; %bb.392:
	v_cmp_eq_u32_e32 vcc, 1, v0
	v_cndmask_b32_e32 v27, v2, v3, vcc
	v_cmp_eq_u32_e32 vcc, 2, v0
	v_cndmask_b32_e32 v27, v27, v4, vcc
	;; [unrolled: 2-line block ×20, first 2 shown]
	v_cmp_eq_u32_e32 vcc, 21, v0
	ds_read_b32 v28, v116
	v_cndmask_b32_e32 v27, v27, v23, vcc
	v_cmp_eq_u32_e32 vcc, 22, v0
	v_cndmask_b32_e32 v27, v27, v24, vcc
	v_cmp_eq_u32_e32 vcc, 23, v0
	;; [unrolled: 2-line block ×3, first 2 shown]
	v_cndmask_b32_e32 v27, v27, v26, vcc
	s_waitcnt lgkmcnt(0)
	v_mul_f32_e32 v29, v27, v28
	s_cbranch_execz .LBB88_394
	s_branch .LBB88_395
.LBB88_393:
                                        ; implicit-def: $vgpr29
.LBB88_394:
	ds_read_b32 v29, v116
.LBB88_395:
	v_cmp_ne_u32_e32 vcc, 3, v0
	s_and_saveexec_b64 s[10:11], vcc
	s_cbranch_execz .LBB88_399
; %bb.396:
	v_mov_b32_e32 v27, 0x74
	v_lshl_add_u32 v30, v0, 2, v27
	v_mov_b32_e32 v28, v1
	s_mov_b64 s[12:13], 0
	v_mov_b32_e32 v27, v0
.LBB88_397:                             ; =>This Inner Loop Header: Depth=1
	v_add_co_u32_e32 v27, vcc, 1, v27
	v_addc_co_u32_e32 v28, vcc, 0, v28, vcc
	v_cmp_eq_u32_e32 vcc, 1, v27
	v_cndmask_b32_e32 v32, v2, v3, vcc
	v_cmp_lt_u32_e32 vcc, 2, v27
	v_cmp_eq_u32_e64 s[6:7], 2, v27
	v_cndmask_b32_e64 v32, v32, v4, s[6:7]
	s_or_b64 s[12:13], vcc, s[12:13]
	v_cmp_eq_u32_e32 vcc, 3, v27
	v_cndmask_b32_e32 v32, v32, v5, vcc
	v_cmp_eq_u32_e32 vcc, 4, v27
	v_cndmask_b32_e32 v32, v32, v6, vcc
	;; [unrolled: 2-line block ×17, first 2 shown]
	v_cmp_eq_u32_e32 vcc, 20, v27
	ds_read_b32 v31, v30
	v_cndmask_b32_e32 v32, v32, v22, vcc
	v_cmp_eq_u32_e32 vcc, 21, v27
	v_cndmask_b32_e32 v32, v32, v23, vcc
	v_cmp_eq_u32_e32 vcc, 22, v27
	v_cndmask_b32_e32 v32, v32, v24, vcc
	v_cmp_eq_u32_e32 vcc, 23, v27
	v_cndmask_b32_e32 v32, v32, v25, vcc
	v_cmp_eq_u32_e32 vcc, 24, v27
	v_cndmask_b32_e32 v32, v32, v26, vcc
	v_add_u32_e32 v30, 4, v30
	s_waitcnt lgkmcnt(0)
	v_fmac_f32_e32 v29, v32, v31
	s_andn2_b64 exec, exec, s[12:13]
	s_cbranch_execnz .LBB88_397
; %bb.398:
	s_or_b64 exec, exec, s[12:13]
.LBB88_399:
	s_or_b64 exec, exec, s[10:11]
	v_mov_b32_e32 v6, 0
	ds_read_b32 v6, v6 offset:16
	s_waitcnt lgkmcnt(0)
	v_mul_f32_e32 v6, v29, v6
.LBB88_400:
	s_or_b64 exec, exec, s[8:9]
	v_cmp_gt_u32_e64 s[6:7], 5, v0
	ds_write_b32 v116, v7
	s_waitcnt lgkmcnt(0)
	; wave barrier
	s_and_saveexec_b64 s[10:11], s[6:7]
	s_cbranch_execz .LBB88_410
; %bb.401:
	s_and_b64 vcc, exec, s[0:1]
	s_cbranch_vccnz .LBB88_403
; %bb.402:
	v_cmp_eq_u32_e32 vcc, 1, v0
	v_cndmask_b32_e32 v27, v2, v3, vcc
	v_cmp_eq_u32_e32 vcc, 2, v0
	v_cndmask_b32_e32 v27, v27, v4, vcc
	;; [unrolled: 2-line block ×20, first 2 shown]
	v_cmp_eq_u32_e32 vcc, 21, v0
	ds_read_b32 v28, v116
	v_cndmask_b32_e32 v27, v27, v23, vcc
	v_cmp_eq_u32_e32 vcc, 22, v0
	v_cndmask_b32_e32 v27, v27, v24, vcc
	v_cmp_eq_u32_e32 vcc, 23, v0
	v_cndmask_b32_e32 v27, v27, v25, vcc
	v_cmp_eq_u32_e32 vcc, 24, v0
	v_cndmask_b32_e32 v27, v27, v26, vcc
	s_waitcnt lgkmcnt(0)
	v_mul_f32_e32 v29, v27, v28
	s_cbranch_execz .LBB88_404
	s_branch .LBB88_405
.LBB88_403:
                                        ; implicit-def: $vgpr29
.LBB88_404:
	ds_read_b32 v29, v116
.LBB88_405:
	v_cmp_ne_u32_e32 vcc, 4, v0
	s_and_saveexec_b64 s[12:13], vcc
	s_cbranch_execz .LBB88_409
; %bb.406:
	v_mov_b32_e32 v27, 0x74
	v_lshl_add_u32 v30, v0, 2, v27
	v_mov_b32_e32 v28, v1
	s_mov_b64 s[14:15], 0
	v_mov_b32_e32 v27, v0
.LBB88_407:                             ; =>This Inner Loop Header: Depth=1
	v_add_co_u32_e32 v27, vcc, 1, v27
	v_addc_co_u32_e32 v28, vcc, 0, v28, vcc
	v_cmp_eq_u32_e32 vcc, 1, v27
	v_cndmask_b32_e32 v32, v2, v3, vcc
	v_cmp_lt_u32_e32 vcc, 3, v27
	v_cmp_eq_u32_e64 s[8:9], 2, v27
	v_cndmask_b32_e64 v32, v32, v4, s[8:9]
	s_or_b64 s[14:15], vcc, s[14:15]
	v_cmp_eq_u32_e32 vcc, 3, v27
	v_cndmask_b32_e32 v32, v32, v5, vcc
	v_cmp_eq_u32_e32 vcc, 4, v27
	v_cndmask_b32_e32 v32, v32, v6, vcc
	;; [unrolled: 2-line block ×17, first 2 shown]
	v_cmp_eq_u32_e32 vcc, 20, v27
	ds_read_b32 v31, v30
	v_cndmask_b32_e32 v32, v32, v22, vcc
	v_cmp_eq_u32_e32 vcc, 21, v27
	v_cndmask_b32_e32 v32, v32, v23, vcc
	v_cmp_eq_u32_e32 vcc, 22, v27
	;; [unrolled: 2-line block ×4, first 2 shown]
	v_cndmask_b32_e32 v32, v32, v26, vcc
	v_add_u32_e32 v30, 4, v30
	s_waitcnt lgkmcnt(0)
	v_fmac_f32_e32 v29, v32, v31
	s_andn2_b64 exec, exec, s[14:15]
	s_cbranch_execnz .LBB88_407
; %bb.408:
	s_or_b64 exec, exec, s[14:15]
.LBB88_409:
	s_or_b64 exec, exec, s[12:13]
	v_mov_b32_e32 v7, 0
	ds_read_b32 v7, v7 offset:20
	s_waitcnt lgkmcnt(0)
	v_mul_f32_e32 v7, v29, v7
.LBB88_410:
	s_or_b64 exec, exec, s[10:11]
	v_cmp_gt_u32_e32 vcc, 6, v0
	ds_write_b32 v116, v8
	s_waitcnt lgkmcnt(0)
	; wave barrier
	s_and_saveexec_b64 s[10:11], vcc
	s_cbranch_execz .LBB88_420
; %bb.411:
	s_and_b64 vcc, exec, s[0:1]
	s_cbranch_vccnz .LBB88_413
; %bb.412:
	v_cmp_eq_u32_e32 vcc, 1, v0
	v_cndmask_b32_e32 v27, v2, v3, vcc
	v_cmp_eq_u32_e32 vcc, 2, v0
	v_cndmask_b32_e32 v27, v27, v4, vcc
	;; [unrolled: 2-line block ×20, first 2 shown]
	v_cmp_eq_u32_e32 vcc, 21, v0
	ds_read_b32 v28, v116
	v_cndmask_b32_e32 v27, v27, v23, vcc
	v_cmp_eq_u32_e32 vcc, 22, v0
	v_cndmask_b32_e32 v27, v27, v24, vcc
	v_cmp_eq_u32_e32 vcc, 23, v0
	;; [unrolled: 2-line block ×3, first 2 shown]
	v_cndmask_b32_e32 v27, v27, v26, vcc
	s_waitcnt lgkmcnt(0)
	v_mul_f32_e32 v29, v27, v28
	s_cbranch_execz .LBB88_414
	s_branch .LBB88_415
.LBB88_413:
                                        ; implicit-def: $vgpr29
.LBB88_414:
	ds_read_b32 v29, v116
.LBB88_415:
	v_cmp_ne_u32_e32 vcc, 5, v0
	s_and_saveexec_b64 s[12:13], vcc
	s_cbranch_execz .LBB88_419
; %bb.416:
	v_mov_b32_e32 v27, 0x74
	v_lshl_add_u32 v30, v0, 2, v27
	v_mov_b32_e32 v28, v1
	s_mov_b64 s[14:15], 0
	v_mov_b32_e32 v27, v0
.LBB88_417:                             ; =>This Inner Loop Header: Depth=1
	v_add_co_u32_e32 v27, vcc, 1, v27
	v_addc_co_u32_e32 v28, vcc, 0, v28, vcc
	v_cmp_eq_u32_e32 vcc, 1, v27
	v_cndmask_b32_e32 v32, v2, v3, vcc
	v_cmp_lt_u32_e32 vcc, 4, v27
	v_cmp_eq_u32_e64 s[8:9], 2, v27
	v_cndmask_b32_e64 v32, v32, v4, s[8:9]
	s_or_b64 s[14:15], vcc, s[14:15]
	v_cmp_eq_u32_e32 vcc, 3, v27
	v_cndmask_b32_e32 v32, v32, v5, vcc
	v_cmp_eq_u32_e32 vcc, 4, v27
	v_cndmask_b32_e32 v32, v32, v6, vcc
	;; [unrolled: 2-line block ×17, first 2 shown]
	v_cmp_eq_u32_e32 vcc, 20, v27
	ds_read_b32 v31, v30
	v_cndmask_b32_e32 v32, v32, v22, vcc
	v_cmp_eq_u32_e32 vcc, 21, v27
	v_cndmask_b32_e32 v32, v32, v23, vcc
	v_cmp_eq_u32_e32 vcc, 22, v27
	;; [unrolled: 2-line block ×4, first 2 shown]
	v_cndmask_b32_e32 v32, v32, v26, vcc
	v_add_u32_e32 v30, 4, v30
	s_waitcnt lgkmcnt(0)
	v_fmac_f32_e32 v29, v32, v31
	s_andn2_b64 exec, exec, s[14:15]
	s_cbranch_execnz .LBB88_417
; %bb.418:
	s_or_b64 exec, exec, s[14:15]
.LBB88_419:
	s_or_b64 exec, exec, s[12:13]
	v_mov_b32_e32 v8, 0
	ds_read_b32 v8, v8 offset:24
	s_waitcnt lgkmcnt(0)
	v_mul_f32_e32 v8, v29, v8
.LBB88_420:
	s_or_b64 exec, exec, s[10:11]
	v_cmp_gt_u32_e64 s[8:9], 7, v0
	ds_write_b32 v116, v9
	s_waitcnt lgkmcnt(0)
	; wave barrier
	s_and_saveexec_b64 s[12:13], s[8:9]
	s_cbranch_execz .LBB88_430
; %bb.421:
	s_and_b64 vcc, exec, s[0:1]
	s_cbranch_vccnz .LBB88_423
; %bb.422:
	v_cmp_eq_u32_e32 vcc, 1, v0
	v_cndmask_b32_e32 v27, v2, v3, vcc
	v_cmp_eq_u32_e32 vcc, 2, v0
	v_cndmask_b32_e32 v27, v27, v4, vcc
	v_cmp_eq_u32_e32 vcc, 3, v0
	v_cndmask_b32_e32 v27, v27, v5, vcc
	v_cmp_eq_u32_e32 vcc, 4, v0
	v_cndmask_b32_e32 v27, v27, v6, vcc
	v_cmp_eq_u32_e32 vcc, 5, v0
	v_cndmask_b32_e32 v27, v27, v7, vcc
	v_cmp_eq_u32_e32 vcc, 6, v0
	v_cndmask_b32_e32 v27, v27, v8, vcc
	v_cmp_eq_u32_e32 vcc, 7, v0
	v_cndmask_b32_e32 v27, v27, v9, vcc
	v_cmp_eq_u32_e32 vcc, 8, v0
	v_cndmask_b32_e32 v27, v27, v10, vcc
	v_cmp_eq_u32_e32 vcc, 9, v0
	v_cndmask_b32_e32 v27, v27, v11, vcc
	v_cmp_eq_u32_e32 vcc, 10, v0
	v_cndmask_b32_e32 v27, v27, v12, vcc
	v_cmp_eq_u32_e32 vcc, 11, v0
	v_cndmask_b32_e32 v27, v27, v13, vcc
	v_cmp_eq_u32_e32 vcc, 12, v0
	v_cndmask_b32_e32 v27, v27, v14, vcc
	v_cmp_eq_u32_e32 vcc, 13, v0
	v_cndmask_b32_e32 v27, v27, v15, vcc
	v_cmp_eq_u32_e32 vcc, 14, v0
	v_cndmask_b32_e32 v27, v27, v16, vcc
	v_cmp_eq_u32_e32 vcc, 15, v0
	v_cndmask_b32_e32 v27, v27, v17, vcc
	v_cmp_eq_u32_e32 vcc, 16, v0
	v_cndmask_b32_e32 v27, v27, v18, vcc
	v_cmp_eq_u32_e32 vcc, 17, v0
	v_cndmask_b32_e32 v27, v27, v19, vcc
	v_cmp_eq_u32_e32 vcc, 18, v0
	v_cndmask_b32_e32 v27, v27, v20, vcc
	v_cmp_eq_u32_e32 vcc, 19, v0
	v_cndmask_b32_e32 v27, v27, v21, vcc
	v_cmp_eq_u32_e32 vcc, 20, v0
	v_cndmask_b32_e32 v27, v27, v22, vcc
	v_cmp_eq_u32_e32 vcc, 21, v0
	ds_read_b32 v28, v116
	v_cndmask_b32_e32 v27, v27, v23, vcc
	v_cmp_eq_u32_e32 vcc, 22, v0
	v_cndmask_b32_e32 v27, v27, v24, vcc
	v_cmp_eq_u32_e32 vcc, 23, v0
	;; [unrolled: 2-line block ×3, first 2 shown]
	v_cndmask_b32_e32 v27, v27, v26, vcc
	s_waitcnt lgkmcnt(0)
	v_mul_f32_e32 v29, v27, v28
	s_cbranch_execz .LBB88_424
	s_branch .LBB88_425
.LBB88_423:
                                        ; implicit-def: $vgpr29
.LBB88_424:
	ds_read_b32 v29, v116
.LBB88_425:
	v_cmp_ne_u32_e32 vcc, 6, v0
	s_and_saveexec_b64 s[14:15], vcc
	s_cbranch_execz .LBB88_429
; %bb.426:
	v_mov_b32_e32 v27, 0x74
	v_lshl_add_u32 v30, v0, 2, v27
	v_mov_b32_e32 v28, v1
	s_mov_b64 s[16:17], 0
	v_mov_b32_e32 v27, v0
.LBB88_427:                             ; =>This Inner Loop Header: Depth=1
	v_add_co_u32_e32 v27, vcc, 1, v27
	v_addc_co_u32_e32 v28, vcc, 0, v28, vcc
	v_cmp_eq_u32_e32 vcc, 1, v27
	v_cndmask_b32_e32 v32, v2, v3, vcc
	v_cmp_lt_u32_e32 vcc, 5, v27
	v_cmp_eq_u32_e64 s[10:11], 2, v27
	v_cndmask_b32_e64 v32, v32, v4, s[10:11]
	s_or_b64 s[16:17], vcc, s[16:17]
	v_cmp_eq_u32_e32 vcc, 3, v27
	v_cndmask_b32_e32 v32, v32, v5, vcc
	v_cmp_eq_u32_e32 vcc, 4, v27
	v_cndmask_b32_e32 v32, v32, v6, vcc
	;; [unrolled: 2-line block ×17, first 2 shown]
	v_cmp_eq_u32_e32 vcc, 20, v27
	ds_read_b32 v31, v30
	v_cndmask_b32_e32 v32, v32, v22, vcc
	v_cmp_eq_u32_e32 vcc, 21, v27
	v_cndmask_b32_e32 v32, v32, v23, vcc
	v_cmp_eq_u32_e32 vcc, 22, v27
	;; [unrolled: 2-line block ×4, first 2 shown]
	v_cndmask_b32_e32 v32, v32, v26, vcc
	v_add_u32_e32 v30, 4, v30
	s_waitcnt lgkmcnt(0)
	v_fmac_f32_e32 v29, v32, v31
	s_andn2_b64 exec, exec, s[16:17]
	s_cbranch_execnz .LBB88_427
; %bb.428:
	s_or_b64 exec, exec, s[16:17]
.LBB88_429:
	s_or_b64 exec, exec, s[14:15]
	v_mov_b32_e32 v9, 0
	ds_read_b32 v9, v9 offset:28
	s_waitcnt lgkmcnt(0)
	v_mul_f32_e32 v9, v29, v9
.LBB88_430:
	s_or_b64 exec, exec, s[12:13]
	v_cmp_gt_u32_e32 vcc, 8, v0
	ds_write_b32 v116, v10
	s_waitcnt lgkmcnt(0)
	; wave barrier
	s_and_saveexec_b64 s[12:13], vcc
	s_cbranch_execz .LBB88_440
; %bb.431:
	s_and_b64 vcc, exec, s[0:1]
	s_cbranch_vccnz .LBB88_433
; %bb.432:
	v_cmp_eq_u32_e32 vcc, 1, v0
	v_cndmask_b32_e32 v27, v2, v3, vcc
	v_cmp_eq_u32_e32 vcc, 2, v0
	v_cndmask_b32_e32 v27, v27, v4, vcc
	;; [unrolled: 2-line block ×20, first 2 shown]
	v_cmp_eq_u32_e32 vcc, 21, v0
	ds_read_b32 v28, v116
	v_cndmask_b32_e32 v27, v27, v23, vcc
	v_cmp_eq_u32_e32 vcc, 22, v0
	v_cndmask_b32_e32 v27, v27, v24, vcc
	v_cmp_eq_u32_e32 vcc, 23, v0
	;; [unrolled: 2-line block ×3, first 2 shown]
	v_cndmask_b32_e32 v27, v27, v26, vcc
	s_waitcnt lgkmcnt(0)
	v_mul_f32_e32 v29, v27, v28
	s_cbranch_execz .LBB88_434
	s_branch .LBB88_435
.LBB88_433:
                                        ; implicit-def: $vgpr29
.LBB88_434:
	ds_read_b32 v29, v116
.LBB88_435:
	v_cmp_ne_u32_e32 vcc, 7, v0
	s_and_saveexec_b64 s[14:15], vcc
	s_cbranch_execz .LBB88_439
; %bb.436:
	v_mov_b32_e32 v27, 0x74
	v_lshl_add_u32 v30, v0, 2, v27
	v_mov_b32_e32 v28, v1
	s_mov_b64 s[16:17], 0
	v_mov_b32_e32 v27, v0
.LBB88_437:                             ; =>This Inner Loop Header: Depth=1
	v_add_co_u32_e32 v27, vcc, 1, v27
	v_addc_co_u32_e32 v28, vcc, 0, v28, vcc
	v_cmp_eq_u32_e32 vcc, 1, v27
	v_cndmask_b32_e32 v32, v2, v3, vcc
	v_cmp_lt_u32_e32 vcc, 6, v27
	v_cmp_eq_u32_e64 s[10:11], 2, v27
	v_cndmask_b32_e64 v32, v32, v4, s[10:11]
	s_or_b64 s[16:17], vcc, s[16:17]
	v_cmp_eq_u32_e32 vcc, 3, v27
	v_cndmask_b32_e32 v32, v32, v5, vcc
	v_cmp_eq_u32_e32 vcc, 4, v27
	v_cndmask_b32_e32 v32, v32, v6, vcc
	;; [unrolled: 2-line block ×17, first 2 shown]
	v_cmp_eq_u32_e32 vcc, 20, v27
	ds_read_b32 v31, v30
	v_cndmask_b32_e32 v32, v32, v22, vcc
	v_cmp_eq_u32_e32 vcc, 21, v27
	v_cndmask_b32_e32 v32, v32, v23, vcc
	v_cmp_eq_u32_e32 vcc, 22, v27
	;; [unrolled: 2-line block ×4, first 2 shown]
	v_cndmask_b32_e32 v32, v32, v26, vcc
	v_add_u32_e32 v30, 4, v30
	s_waitcnt lgkmcnt(0)
	v_fmac_f32_e32 v29, v32, v31
	s_andn2_b64 exec, exec, s[16:17]
	s_cbranch_execnz .LBB88_437
; %bb.438:
	s_or_b64 exec, exec, s[16:17]
.LBB88_439:
	s_or_b64 exec, exec, s[14:15]
	v_mov_b32_e32 v10, 0
	ds_read_b32 v10, v10 offset:32
	s_waitcnt lgkmcnt(0)
	v_mul_f32_e32 v10, v29, v10
.LBB88_440:
	s_or_b64 exec, exec, s[12:13]
	v_cmp_gt_u32_e32 vcc, 9, v0
	ds_write_b32 v116, v11
	s_waitcnt lgkmcnt(0)
	; wave barrier
	s_and_saveexec_b64 s[10:11], vcc
	s_cbranch_execz .LBB88_462
; %bb.441:
	s_and_b64 vcc, exec, s[0:1]
	s_cbranch_vccnz .LBB88_443
; %bb.442:
	v_cmp_eq_u32_e32 vcc, 1, v0
	v_cndmask_b32_e32 v27, v2, v3, vcc
	v_cmp_eq_u32_e32 vcc, 2, v0
	v_cndmask_b32_e32 v27, v27, v4, vcc
	;; [unrolled: 2-line block ×20, first 2 shown]
	v_cmp_eq_u32_e32 vcc, 21, v0
	ds_read_b32 v28, v116
	v_cndmask_b32_e32 v27, v27, v23, vcc
	v_cmp_eq_u32_e32 vcc, 22, v0
	v_cndmask_b32_e32 v27, v27, v24, vcc
	v_cmp_eq_u32_e32 vcc, 23, v0
	;; [unrolled: 2-line block ×3, first 2 shown]
	v_cndmask_b32_e32 v27, v27, v26, vcc
	s_waitcnt lgkmcnt(0)
	v_mul_f32_e32 v27, v27, v28
	s_cbranch_execz .LBB88_444
	s_branch .LBB88_445
.LBB88_443:
                                        ; implicit-def: $vgpr27
.LBB88_444:
	ds_read_b32 v27, v116
.LBB88_445:
	v_cmp_ne_u32_e32 vcc, 8, v0
	s_and_saveexec_b64 s[12:13], vcc
	s_cbranch_execz .LBB88_461
; %bb.446:
	v_cmp_eq_u32_e32 vcc, 1, v34
	v_cndmask_b32_e32 v28, v2, v3, vcc
	v_cmp_eq_u32_e32 vcc, 2, v34
	v_cndmask_b32_e32 v28, v28, v4, vcc
	;; [unrolled: 2-line block ×20, first 2 shown]
	v_cmp_eq_u32_e32 vcc, 21, v34
	ds_read_b32 v29, v116 offset:4
	v_cndmask_b32_e32 v28, v28, v23, vcc
	v_cmp_eq_u32_e32 vcc, 22, v34
	v_cndmask_b32_e32 v28, v28, v24, vcc
	v_cmp_eq_u32_e32 vcc, 23, v34
	v_cndmask_b32_e32 v28, v28, v25, vcc
	v_cmp_eq_u32_e32 vcc, 24, v34
	v_cndmask_b32_e32 v28, v28, v26, vcc
	s_waitcnt lgkmcnt(0)
	v_fmac_f32_e32 v27, v28, v29
	s_and_saveexec_b64 s[14:15], s[8:9]
	s_cbranch_execz .LBB88_460
; %bb.447:
	v_add_u32_e32 v28, 2, v0
	v_cmp_eq_u32_e32 vcc, 1, v28
	v_cndmask_b32_e32 v29, v2, v3, vcc
	v_cmp_eq_u32_e32 vcc, 2, v28
	v_cndmask_b32_e32 v29, v29, v4, vcc
	;; [unrolled: 2-line block ×20, first 2 shown]
	v_cmp_eq_u32_e32 vcc, 21, v28
	ds_read_b32 v30, v116 offset:8
	v_cndmask_b32_e32 v29, v29, v23, vcc
	v_cmp_eq_u32_e32 vcc, 22, v28
	v_cndmask_b32_e32 v29, v29, v24, vcc
	v_cmp_eq_u32_e32 vcc, 23, v28
	;; [unrolled: 2-line block ×3, first 2 shown]
	v_cndmask_b32_e32 v28, v29, v26, vcc
	s_waitcnt lgkmcnt(0)
	v_fmac_f32_e32 v27, v28, v30
	v_cmp_ne_u32_e32 vcc, 6, v0
	s_and_saveexec_b64 s[8:9], vcc
	s_cbranch_execz .LBB88_459
; %bb.448:
	v_add_u32_e32 v28, 3, v0
	v_cmp_eq_u32_e32 vcc, 1, v28
	v_cndmask_b32_e32 v29, v2, v3, vcc
	v_cmp_eq_u32_e32 vcc, 2, v28
	v_cndmask_b32_e32 v29, v29, v4, vcc
	;; [unrolled: 2-line block ×20, first 2 shown]
	v_cmp_eq_u32_e32 vcc, 21, v28
	ds_read_b32 v30, v116 offset:12
	v_cndmask_b32_e32 v29, v29, v23, vcc
	v_cmp_eq_u32_e32 vcc, 22, v28
	v_cndmask_b32_e32 v29, v29, v24, vcc
	v_cmp_eq_u32_e32 vcc, 23, v28
	;; [unrolled: 2-line block ×3, first 2 shown]
	v_cndmask_b32_e32 v28, v29, v26, vcc
	s_waitcnt lgkmcnt(0)
	v_fmac_f32_e32 v27, v28, v30
	s_and_saveexec_b64 s[16:17], s[6:7]
	s_cbranch_execz .LBB88_458
; %bb.449:
	v_add_u32_e32 v28, 4, v0
	v_cmp_eq_u32_e32 vcc, 1, v28
	v_cndmask_b32_e32 v29, v2, v3, vcc
	v_cmp_eq_u32_e32 vcc, 2, v28
	v_cndmask_b32_e32 v29, v29, v4, vcc
	;; [unrolled: 2-line block ×20, first 2 shown]
	v_cmp_eq_u32_e32 vcc, 21, v28
	ds_read_b32 v30, v116 offset:16
	v_cndmask_b32_e32 v29, v29, v23, vcc
	v_cmp_eq_u32_e32 vcc, 22, v28
	v_cndmask_b32_e32 v29, v29, v24, vcc
	v_cmp_eq_u32_e32 vcc, 23, v28
	;; [unrolled: 2-line block ×3, first 2 shown]
	v_cndmask_b32_e32 v28, v29, v26, vcc
	s_waitcnt lgkmcnt(0)
	v_fmac_f32_e32 v27, v28, v30
	v_cmp_ne_u32_e32 vcc, 4, v0
	s_and_saveexec_b64 s[6:7], vcc
	s_cbranch_execz .LBB88_457
; %bb.450:
	v_add_u32_e32 v28, 5, v0
	v_cmp_eq_u32_e32 vcc, 1, v28
	v_cndmask_b32_e32 v29, v2, v3, vcc
	v_cmp_eq_u32_e32 vcc, 2, v28
	v_cndmask_b32_e32 v29, v29, v4, vcc
	;; [unrolled: 2-line block ×20, first 2 shown]
	v_cmp_eq_u32_e32 vcc, 21, v28
	ds_read_b32 v30, v116 offset:20
	v_cndmask_b32_e32 v29, v29, v23, vcc
	v_cmp_eq_u32_e32 vcc, 22, v28
	v_cndmask_b32_e32 v29, v29, v24, vcc
	v_cmp_eq_u32_e32 vcc, 23, v28
	v_cndmask_b32_e32 v29, v29, v25, vcc
	v_cmp_eq_u32_e32 vcc, 24, v28
	v_cndmask_b32_e32 v28, v29, v26, vcc
	s_waitcnt lgkmcnt(0)
	v_fmac_f32_e32 v27, v28, v30
	s_and_saveexec_b64 s[18:19], s[4:5]
	s_cbranch_execz .LBB88_456
; %bb.451:
	v_add_u32_e32 v28, 6, v0
	v_cmp_eq_u32_e32 vcc, 1, v28
	v_cndmask_b32_e32 v29, v2, v3, vcc
	v_cmp_eq_u32_e32 vcc, 2, v28
	v_cndmask_b32_e32 v29, v29, v4, vcc
	;; [unrolled: 2-line block ×20, first 2 shown]
	v_cmp_eq_u32_e32 vcc, 21, v28
	ds_read_b32 v30, v116 offset:24
	v_cndmask_b32_e32 v29, v29, v23, vcc
	v_cmp_eq_u32_e32 vcc, 22, v28
	v_cndmask_b32_e32 v29, v29, v24, vcc
	v_cmp_eq_u32_e32 vcc, 23, v28
	;; [unrolled: 2-line block ×3, first 2 shown]
	v_cndmask_b32_e32 v28, v29, v26, vcc
	s_waitcnt lgkmcnt(0)
	v_fmac_f32_e32 v27, v28, v30
	v_cmp_ne_u32_e32 vcc, 2, v0
	s_and_saveexec_b64 s[4:5], vcc
	s_cbranch_execz .LBB88_455
; %bb.452:
	v_add_u32_e32 v28, 7, v0
	v_cmp_eq_u32_e32 vcc, 1, v28
	v_cndmask_b32_e32 v29, v2, v3, vcc
	v_cmp_eq_u32_e32 vcc, 2, v28
	v_cndmask_b32_e32 v29, v29, v4, vcc
	;; [unrolled: 2-line block ×20, first 2 shown]
	v_cmp_eq_u32_e32 vcc, 21, v28
	ds_read_b32 v29, v116 offset:28
	v_cndmask_b32_e32 v11, v11, v23, vcc
	v_cmp_eq_u32_e32 vcc, 22, v28
	v_cndmask_b32_e32 v11, v11, v24, vcc
	v_cmp_eq_u32_e32 vcc, 23, v28
	;; [unrolled: 2-line block ×3, first 2 shown]
	v_cndmask_b32_e32 v11, v11, v26, vcc
	s_waitcnt lgkmcnt(0)
	v_fmac_f32_e32 v27, v11, v29
	s_and_saveexec_b64 s[20:21], s[2:3]
	s_cbranch_execz .LBB88_454
; %bb.453:
	ds_read_b32 v11, v116 offset:32
	s_waitcnt lgkmcnt(0)
	v_fmac_f32_e32 v27, v10, v11
.LBB88_454:
	s_or_b64 exec, exec, s[20:21]
.LBB88_455:
	s_or_b64 exec, exec, s[4:5]
.LBB88_456:
	s_or_b64 exec, exec, s[18:19]
.LBB88_457:
	s_or_b64 exec, exec, s[6:7]
.LBB88_458:
	s_or_b64 exec, exec, s[16:17]
.LBB88_459:
	s_or_b64 exec, exec, s[8:9]
.LBB88_460:
	s_or_b64 exec, exec, s[14:15]
.LBB88_461:
	s_or_b64 exec, exec, s[12:13]
	v_mov_b32_e32 v11, 0
	ds_read_b32 v11, v11 offset:36
	s_waitcnt lgkmcnt(0)
	v_mul_f32_e32 v11, v27, v11
.LBB88_462:
	s_or_b64 exec, exec, s[10:11]
	v_cmp_gt_u32_e32 vcc, 10, v0
	ds_write_b32 v116, v12
	s_waitcnt lgkmcnt(0)
	; wave barrier
	s_and_saveexec_b64 s[4:5], vcc
	s_cbranch_execz .LBB88_472
; %bb.463:
	s_and_b64 vcc, exec, s[0:1]
	s_cbranch_vccnz .LBB88_465
; %bb.464:
	v_cmp_eq_u32_e32 vcc, 1, v0
	v_cndmask_b32_e32 v27, v2, v3, vcc
	v_cmp_eq_u32_e32 vcc, 2, v0
	v_cndmask_b32_e32 v27, v27, v4, vcc
	;; [unrolled: 2-line block ×20, first 2 shown]
	v_cmp_eq_u32_e32 vcc, 21, v0
	ds_read_b32 v28, v116
	v_cndmask_b32_e32 v27, v27, v23, vcc
	v_cmp_eq_u32_e32 vcc, 22, v0
	v_cndmask_b32_e32 v27, v27, v24, vcc
	v_cmp_eq_u32_e32 vcc, 23, v0
	;; [unrolled: 2-line block ×3, first 2 shown]
	v_cndmask_b32_e32 v27, v27, v26, vcc
	s_waitcnt lgkmcnt(0)
	v_mul_f32_e32 v29, v27, v28
	s_cbranch_execz .LBB88_466
	s_branch .LBB88_467
.LBB88_465:
                                        ; implicit-def: $vgpr29
.LBB88_466:
	ds_read_b32 v29, v116
.LBB88_467:
	v_cmp_ne_u32_e32 vcc, 9, v0
	s_and_saveexec_b64 s[6:7], vcc
	s_cbranch_execz .LBB88_471
; %bb.468:
	v_mov_b32_e32 v27, 0x74
	v_lshl_add_u32 v30, v0, 2, v27
	v_mov_b32_e32 v28, v1
	s_mov_b64 s[8:9], 0
	v_mov_b32_e32 v27, v0
.LBB88_469:                             ; =>This Inner Loop Header: Depth=1
	v_add_co_u32_e32 v27, vcc, 1, v27
	v_addc_co_u32_e32 v28, vcc, 0, v28, vcc
	v_cmp_eq_u32_e32 vcc, 1, v27
	v_cndmask_b32_e32 v32, v2, v3, vcc
	v_cmp_lt_u32_e32 vcc, 8, v27
	v_cmp_eq_u32_e64 s[2:3], 2, v27
	v_cndmask_b32_e64 v32, v32, v4, s[2:3]
	s_or_b64 s[8:9], vcc, s[8:9]
	v_cmp_eq_u32_e32 vcc, 3, v27
	v_cndmask_b32_e32 v32, v32, v5, vcc
	v_cmp_eq_u32_e32 vcc, 4, v27
	v_cndmask_b32_e32 v32, v32, v6, vcc
	;; [unrolled: 2-line block ×17, first 2 shown]
	v_cmp_eq_u32_e32 vcc, 20, v27
	ds_read_b32 v31, v30
	v_cndmask_b32_e32 v32, v32, v22, vcc
	v_cmp_eq_u32_e32 vcc, 21, v27
	v_cndmask_b32_e32 v32, v32, v23, vcc
	v_cmp_eq_u32_e32 vcc, 22, v27
	;; [unrolled: 2-line block ×4, first 2 shown]
	v_cndmask_b32_e32 v32, v32, v26, vcc
	v_add_u32_e32 v30, 4, v30
	s_waitcnt lgkmcnt(0)
	v_fmac_f32_e32 v29, v32, v31
	s_andn2_b64 exec, exec, s[8:9]
	s_cbranch_execnz .LBB88_469
; %bb.470:
	s_or_b64 exec, exec, s[8:9]
.LBB88_471:
	s_or_b64 exec, exec, s[6:7]
	v_mov_b32_e32 v12, 0
	ds_read_b32 v12, v12 offset:40
	s_waitcnt lgkmcnt(0)
	v_mul_f32_e32 v12, v29, v12
.LBB88_472:
	s_or_b64 exec, exec, s[4:5]
	v_cmp_gt_u32_e32 vcc, 11, v0
	ds_write_b32 v116, v13
	s_waitcnt lgkmcnt(0)
	; wave barrier
	s_and_saveexec_b64 s[4:5], vcc
	s_cbranch_execz .LBB88_482
; %bb.473:
	s_and_b64 vcc, exec, s[0:1]
	s_cbranch_vccnz .LBB88_475
; %bb.474:
	v_cmp_eq_u32_e32 vcc, 1, v0
	v_cndmask_b32_e32 v27, v2, v3, vcc
	v_cmp_eq_u32_e32 vcc, 2, v0
	v_cndmask_b32_e32 v27, v27, v4, vcc
	;; [unrolled: 2-line block ×20, first 2 shown]
	v_cmp_eq_u32_e32 vcc, 21, v0
	ds_read_b32 v28, v116
	v_cndmask_b32_e32 v27, v27, v23, vcc
	v_cmp_eq_u32_e32 vcc, 22, v0
	v_cndmask_b32_e32 v27, v27, v24, vcc
	v_cmp_eq_u32_e32 vcc, 23, v0
	;; [unrolled: 2-line block ×3, first 2 shown]
	v_cndmask_b32_e32 v27, v27, v26, vcc
	s_waitcnt lgkmcnt(0)
	v_mul_f32_e32 v29, v27, v28
	s_cbranch_execz .LBB88_476
	s_branch .LBB88_477
.LBB88_475:
                                        ; implicit-def: $vgpr29
.LBB88_476:
	ds_read_b32 v29, v116
.LBB88_477:
	v_cmp_ne_u32_e32 vcc, 10, v0
	s_and_saveexec_b64 s[6:7], vcc
	s_cbranch_execz .LBB88_481
; %bb.478:
	v_mov_b32_e32 v27, 0x74
	v_lshl_add_u32 v30, v0, 2, v27
	v_mov_b32_e32 v28, v1
	s_mov_b64 s[8:9], 0
	v_mov_b32_e32 v27, v0
.LBB88_479:                             ; =>This Inner Loop Header: Depth=1
	v_add_co_u32_e32 v27, vcc, 1, v27
	v_addc_co_u32_e32 v28, vcc, 0, v28, vcc
	v_cmp_eq_u32_e32 vcc, 1, v27
	v_cndmask_b32_e32 v32, v2, v3, vcc
	v_cmp_lt_u32_e32 vcc, 9, v27
	v_cmp_eq_u32_e64 s[2:3], 2, v27
	v_cndmask_b32_e64 v32, v32, v4, s[2:3]
	s_or_b64 s[8:9], vcc, s[8:9]
	v_cmp_eq_u32_e32 vcc, 3, v27
	v_cndmask_b32_e32 v32, v32, v5, vcc
	v_cmp_eq_u32_e32 vcc, 4, v27
	v_cndmask_b32_e32 v32, v32, v6, vcc
	;; [unrolled: 2-line block ×17, first 2 shown]
	v_cmp_eq_u32_e32 vcc, 20, v27
	ds_read_b32 v31, v30
	v_cndmask_b32_e32 v32, v32, v22, vcc
	v_cmp_eq_u32_e32 vcc, 21, v27
	v_cndmask_b32_e32 v32, v32, v23, vcc
	v_cmp_eq_u32_e32 vcc, 22, v27
	;; [unrolled: 2-line block ×4, first 2 shown]
	v_cndmask_b32_e32 v32, v32, v26, vcc
	v_add_u32_e32 v30, 4, v30
	s_waitcnt lgkmcnt(0)
	v_fmac_f32_e32 v29, v32, v31
	s_andn2_b64 exec, exec, s[8:9]
	s_cbranch_execnz .LBB88_479
; %bb.480:
	s_or_b64 exec, exec, s[8:9]
.LBB88_481:
	s_or_b64 exec, exec, s[6:7]
	v_mov_b32_e32 v13, 0
	ds_read_b32 v13, v13 offset:44
	s_waitcnt lgkmcnt(0)
	v_mul_f32_e32 v13, v29, v13
.LBB88_482:
	s_or_b64 exec, exec, s[4:5]
	v_cmp_gt_u32_e32 vcc, 12, v0
	ds_write_b32 v116, v14
	s_waitcnt lgkmcnt(0)
	; wave barrier
	s_and_saveexec_b64 s[4:5], vcc
	s_cbranch_execz .LBB88_492
; %bb.483:
	s_and_b64 vcc, exec, s[0:1]
	s_cbranch_vccnz .LBB88_485
; %bb.484:
	v_cmp_eq_u32_e32 vcc, 1, v0
	v_cndmask_b32_e32 v27, v2, v3, vcc
	v_cmp_eq_u32_e32 vcc, 2, v0
	v_cndmask_b32_e32 v27, v27, v4, vcc
	v_cmp_eq_u32_e32 vcc, 3, v0
	v_cndmask_b32_e32 v27, v27, v5, vcc
	v_cmp_eq_u32_e32 vcc, 4, v0
	v_cndmask_b32_e32 v27, v27, v6, vcc
	v_cmp_eq_u32_e32 vcc, 5, v0
	v_cndmask_b32_e32 v27, v27, v7, vcc
	v_cmp_eq_u32_e32 vcc, 6, v0
	v_cndmask_b32_e32 v27, v27, v8, vcc
	v_cmp_eq_u32_e32 vcc, 7, v0
	v_cndmask_b32_e32 v27, v27, v9, vcc
	v_cmp_eq_u32_e32 vcc, 8, v0
	v_cndmask_b32_e32 v27, v27, v10, vcc
	v_cmp_eq_u32_e32 vcc, 9, v0
	v_cndmask_b32_e32 v27, v27, v11, vcc
	v_cmp_eq_u32_e32 vcc, 10, v0
	v_cndmask_b32_e32 v27, v27, v12, vcc
	v_cmp_eq_u32_e32 vcc, 11, v0
	v_cndmask_b32_e32 v27, v27, v13, vcc
	v_cmp_eq_u32_e32 vcc, 12, v0
	v_cndmask_b32_e32 v27, v27, v14, vcc
	v_cmp_eq_u32_e32 vcc, 13, v0
	v_cndmask_b32_e32 v27, v27, v15, vcc
	v_cmp_eq_u32_e32 vcc, 14, v0
	v_cndmask_b32_e32 v27, v27, v16, vcc
	v_cmp_eq_u32_e32 vcc, 15, v0
	v_cndmask_b32_e32 v27, v27, v17, vcc
	v_cmp_eq_u32_e32 vcc, 16, v0
	v_cndmask_b32_e32 v27, v27, v18, vcc
	v_cmp_eq_u32_e32 vcc, 17, v0
	v_cndmask_b32_e32 v27, v27, v19, vcc
	v_cmp_eq_u32_e32 vcc, 18, v0
	v_cndmask_b32_e32 v27, v27, v20, vcc
	v_cmp_eq_u32_e32 vcc, 19, v0
	v_cndmask_b32_e32 v27, v27, v21, vcc
	v_cmp_eq_u32_e32 vcc, 20, v0
	v_cndmask_b32_e32 v27, v27, v22, vcc
	v_cmp_eq_u32_e32 vcc, 21, v0
	ds_read_b32 v28, v116
	v_cndmask_b32_e32 v27, v27, v23, vcc
	v_cmp_eq_u32_e32 vcc, 22, v0
	v_cndmask_b32_e32 v27, v27, v24, vcc
	v_cmp_eq_u32_e32 vcc, 23, v0
	;; [unrolled: 2-line block ×3, first 2 shown]
	v_cndmask_b32_e32 v27, v27, v26, vcc
	s_waitcnt lgkmcnt(0)
	v_mul_f32_e32 v29, v27, v28
	s_cbranch_execz .LBB88_486
	s_branch .LBB88_487
.LBB88_485:
                                        ; implicit-def: $vgpr29
.LBB88_486:
	ds_read_b32 v29, v116
.LBB88_487:
	v_cmp_ne_u32_e32 vcc, 11, v0
	s_and_saveexec_b64 s[6:7], vcc
	s_cbranch_execz .LBB88_491
; %bb.488:
	v_mov_b32_e32 v27, 0x74
	v_lshl_add_u32 v30, v0, 2, v27
	v_mov_b32_e32 v28, v1
	s_mov_b64 s[8:9], 0
	v_mov_b32_e32 v27, v0
.LBB88_489:                             ; =>This Inner Loop Header: Depth=1
	v_add_co_u32_e32 v27, vcc, 1, v27
	v_addc_co_u32_e32 v28, vcc, 0, v28, vcc
	v_cmp_eq_u32_e32 vcc, 1, v27
	v_cndmask_b32_e32 v32, v2, v3, vcc
	v_cmp_lt_u32_e32 vcc, 10, v27
	v_cmp_eq_u32_e64 s[2:3], 2, v27
	v_cndmask_b32_e64 v32, v32, v4, s[2:3]
	s_or_b64 s[8:9], vcc, s[8:9]
	v_cmp_eq_u32_e32 vcc, 3, v27
	v_cndmask_b32_e32 v32, v32, v5, vcc
	v_cmp_eq_u32_e32 vcc, 4, v27
	v_cndmask_b32_e32 v32, v32, v6, vcc
	;; [unrolled: 2-line block ×17, first 2 shown]
	v_cmp_eq_u32_e32 vcc, 20, v27
	ds_read_b32 v31, v30
	v_cndmask_b32_e32 v32, v32, v22, vcc
	v_cmp_eq_u32_e32 vcc, 21, v27
	v_cndmask_b32_e32 v32, v32, v23, vcc
	v_cmp_eq_u32_e32 vcc, 22, v27
	;; [unrolled: 2-line block ×4, first 2 shown]
	v_cndmask_b32_e32 v32, v32, v26, vcc
	v_add_u32_e32 v30, 4, v30
	s_waitcnt lgkmcnt(0)
	v_fmac_f32_e32 v29, v32, v31
	s_andn2_b64 exec, exec, s[8:9]
	s_cbranch_execnz .LBB88_489
; %bb.490:
	s_or_b64 exec, exec, s[8:9]
.LBB88_491:
	s_or_b64 exec, exec, s[6:7]
	v_mov_b32_e32 v14, 0
	ds_read_b32 v14, v14 offset:48
	s_waitcnt lgkmcnt(0)
	v_mul_f32_e32 v14, v29, v14
.LBB88_492:
	s_or_b64 exec, exec, s[4:5]
	v_cmp_gt_u32_e32 vcc, 13, v0
	ds_write_b32 v116, v15
	s_waitcnt lgkmcnt(0)
	; wave barrier
	s_and_saveexec_b64 s[4:5], vcc
	s_cbranch_execz .LBB88_502
; %bb.493:
	s_and_b64 vcc, exec, s[0:1]
	s_cbranch_vccnz .LBB88_495
; %bb.494:
	v_cmp_eq_u32_e32 vcc, 1, v0
	v_cndmask_b32_e32 v27, v2, v3, vcc
	v_cmp_eq_u32_e32 vcc, 2, v0
	v_cndmask_b32_e32 v27, v27, v4, vcc
	;; [unrolled: 2-line block ×20, first 2 shown]
	v_cmp_eq_u32_e32 vcc, 21, v0
	ds_read_b32 v28, v116
	v_cndmask_b32_e32 v27, v27, v23, vcc
	v_cmp_eq_u32_e32 vcc, 22, v0
	v_cndmask_b32_e32 v27, v27, v24, vcc
	v_cmp_eq_u32_e32 vcc, 23, v0
	;; [unrolled: 2-line block ×3, first 2 shown]
	v_cndmask_b32_e32 v27, v27, v26, vcc
	s_waitcnt lgkmcnt(0)
	v_mul_f32_e32 v29, v27, v28
	s_cbranch_execz .LBB88_496
	s_branch .LBB88_497
.LBB88_495:
                                        ; implicit-def: $vgpr29
.LBB88_496:
	ds_read_b32 v29, v116
.LBB88_497:
	v_cmp_ne_u32_e32 vcc, 12, v0
	s_and_saveexec_b64 s[6:7], vcc
	s_cbranch_execz .LBB88_501
; %bb.498:
	v_mov_b32_e32 v27, 0x74
	v_lshl_add_u32 v30, v0, 2, v27
	v_mov_b32_e32 v28, v1
	s_mov_b64 s[8:9], 0
	v_mov_b32_e32 v27, v0
.LBB88_499:                             ; =>This Inner Loop Header: Depth=1
	v_add_co_u32_e32 v27, vcc, 1, v27
	v_addc_co_u32_e32 v28, vcc, 0, v28, vcc
	v_cmp_eq_u32_e32 vcc, 1, v27
	v_cndmask_b32_e32 v32, v2, v3, vcc
	v_cmp_lt_u32_e32 vcc, 11, v27
	v_cmp_eq_u32_e64 s[2:3], 2, v27
	v_cndmask_b32_e64 v32, v32, v4, s[2:3]
	s_or_b64 s[8:9], vcc, s[8:9]
	v_cmp_eq_u32_e32 vcc, 3, v27
	v_cndmask_b32_e32 v32, v32, v5, vcc
	v_cmp_eq_u32_e32 vcc, 4, v27
	v_cndmask_b32_e32 v32, v32, v6, vcc
	v_cmp_eq_u32_e32 vcc, 5, v27
	v_cndmask_b32_e32 v32, v32, v7, vcc
	v_cmp_eq_u32_e32 vcc, 6, v27
	v_cndmask_b32_e32 v32, v32, v8, vcc
	v_cmp_eq_u32_e32 vcc, 7, v27
	v_cndmask_b32_e32 v32, v32, v9, vcc
	v_cmp_eq_u32_e32 vcc, 8, v27
	v_cndmask_b32_e32 v32, v32, v10, vcc
	v_cmp_eq_u32_e32 vcc, 9, v27
	v_cndmask_b32_e32 v32, v32, v11, vcc
	v_cmp_eq_u32_e32 vcc, 10, v27
	v_cndmask_b32_e32 v32, v32, v12, vcc
	v_cmp_eq_u32_e32 vcc, 11, v27
	v_cndmask_b32_e32 v32, v32, v13, vcc
	v_cmp_eq_u32_e32 vcc, 12, v27
	v_cndmask_b32_e32 v32, v32, v14, vcc
	v_cmp_eq_u32_e32 vcc, 13, v27
	v_cndmask_b32_e32 v32, v32, v15, vcc
	v_cmp_eq_u32_e32 vcc, 14, v27
	v_cndmask_b32_e32 v32, v32, v16, vcc
	v_cmp_eq_u32_e32 vcc, 15, v27
	v_cndmask_b32_e32 v32, v32, v17, vcc
	v_cmp_eq_u32_e32 vcc, 16, v27
	v_cndmask_b32_e32 v32, v32, v18, vcc
	v_cmp_eq_u32_e32 vcc, 17, v27
	v_cndmask_b32_e32 v32, v32, v19, vcc
	v_cmp_eq_u32_e32 vcc, 18, v27
	v_cndmask_b32_e32 v32, v32, v20, vcc
	v_cmp_eq_u32_e32 vcc, 19, v27
	v_cndmask_b32_e32 v32, v32, v21, vcc
	v_cmp_eq_u32_e32 vcc, 20, v27
	ds_read_b32 v31, v30
	v_cndmask_b32_e32 v32, v32, v22, vcc
	v_cmp_eq_u32_e32 vcc, 21, v27
	v_cndmask_b32_e32 v32, v32, v23, vcc
	v_cmp_eq_u32_e32 vcc, 22, v27
	;; [unrolled: 2-line block ×4, first 2 shown]
	v_cndmask_b32_e32 v32, v32, v26, vcc
	v_add_u32_e32 v30, 4, v30
	s_waitcnt lgkmcnt(0)
	v_fmac_f32_e32 v29, v32, v31
	s_andn2_b64 exec, exec, s[8:9]
	s_cbranch_execnz .LBB88_499
; %bb.500:
	s_or_b64 exec, exec, s[8:9]
.LBB88_501:
	s_or_b64 exec, exec, s[6:7]
	v_mov_b32_e32 v15, 0
	ds_read_b32 v15, v15 offset:52
	s_waitcnt lgkmcnt(0)
	v_mul_f32_e32 v15, v29, v15
.LBB88_502:
	s_or_b64 exec, exec, s[4:5]
	v_cmp_gt_u32_e32 vcc, 14, v0
	ds_write_b32 v116, v16
	s_waitcnt lgkmcnt(0)
	; wave barrier
	s_and_saveexec_b64 s[4:5], vcc
	s_cbranch_execz .LBB88_512
; %bb.503:
	s_and_b64 vcc, exec, s[0:1]
	s_cbranch_vccnz .LBB88_505
; %bb.504:
	v_cmp_eq_u32_e32 vcc, 1, v0
	v_cndmask_b32_e32 v27, v2, v3, vcc
	v_cmp_eq_u32_e32 vcc, 2, v0
	v_cndmask_b32_e32 v27, v27, v4, vcc
	;; [unrolled: 2-line block ×20, first 2 shown]
	v_cmp_eq_u32_e32 vcc, 21, v0
	ds_read_b32 v28, v116
	v_cndmask_b32_e32 v27, v27, v23, vcc
	v_cmp_eq_u32_e32 vcc, 22, v0
	v_cndmask_b32_e32 v27, v27, v24, vcc
	v_cmp_eq_u32_e32 vcc, 23, v0
	;; [unrolled: 2-line block ×3, first 2 shown]
	v_cndmask_b32_e32 v27, v27, v26, vcc
	s_waitcnt lgkmcnt(0)
	v_mul_f32_e32 v29, v27, v28
	s_cbranch_execz .LBB88_506
	s_branch .LBB88_507
.LBB88_505:
                                        ; implicit-def: $vgpr29
.LBB88_506:
	ds_read_b32 v29, v116
.LBB88_507:
	v_cmp_ne_u32_e32 vcc, 13, v0
	s_and_saveexec_b64 s[6:7], vcc
	s_cbranch_execz .LBB88_511
; %bb.508:
	v_mov_b32_e32 v27, 0x74
	v_lshl_add_u32 v30, v0, 2, v27
	v_mov_b32_e32 v28, v1
	s_mov_b64 s[8:9], 0
	v_mov_b32_e32 v27, v0
.LBB88_509:                             ; =>This Inner Loop Header: Depth=1
	v_add_co_u32_e32 v27, vcc, 1, v27
	v_addc_co_u32_e32 v28, vcc, 0, v28, vcc
	v_cmp_eq_u32_e32 vcc, 1, v27
	v_cndmask_b32_e32 v32, v2, v3, vcc
	v_cmp_lt_u32_e32 vcc, 12, v27
	v_cmp_eq_u32_e64 s[2:3], 2, v27
	v_cndmask_b32_e64 v32, v32, v4, s[2:3]
	s_or_b64 s[8:9], vcc, s[8:9]
	v_cmp_eq_u32_e32 vcc, 3, v27
	v_cndmask_b32_e32 v32, v32, v5, vcc
	v_cmp_eq_u32_e32 vcc, 4, v27
	v_cndmask_b32_e32 v32, v32, v6, vcc
	;; [unrolled: 2-line block ×17, first 2 shown]
	v_cmp_eq_u32_e32 vcc, 20, v27
	ds_read_b32 v31, v30
	v_cndmask_b32_e32 v32, v32, v22, vcc
	v_cmp_eq_u32_e32 vcc, 21, v27
	v_cndmask_b32_e32 v32, v32, v23, vcc
	v_cmp_eq_u32_e32 vcc, 22, v27
	;; [unrolled: 2-line block ×4, first 2 shown]
	v_cndmask_b32_e32 v32, v32, v26, vcc
	v_add_u32_e32 v30, 4, v30
	s_waitcnt lgkmcnt(0)
	v_fmac_f32_e32 v29, v32, v31
	s_andn2_b64 exec, exec, s[8:9]
	s_cbranch_execnz .LBB88_509
; %bb.510:
	s_or_b64 exec, exec, s[8:9]
.LBB88_511:
	s_or_b64 exec, exec, s[6:7]
	v_mov_b32_e32 v16, 0
	ds_read_b32 v16, v16 offset:56
	s_waitcnt lgkmcnt(0)
	v_mul_f32_e32 v16, v29, v16
.LBB88_512:
	s_or_b64 exec, exec, s[4:5]
	v_cmp_gt_u32_e32 vcc, 15, v0
	ds_write_b32 v116, v17
	s_waitcnt lgkmcnt(0)
	; wave barrier
	s_and_saveexec_b64 s[4:5], vcc
	s_cbranch_execz .LBB88_522
; %bb.513:
	s_and_b64 vcc, exec, s[0:1]
	s_cbranch_vccnz .LBB88_515
; %bb.514:
	v_cmp_eq_u32_e32 vcc, 1, v0
	v_cndmask_b32_e32 v27, v2, v3, vcc
	v_cmp_eq_u32_e32 vcc, 2, v0
	v_cndmask_b32_e32 v27, v27, v4, vcc
	;; [unrolled: 2-line block ×20, first 2 shown]
	v_cmp_eq_u32_e32 vcc, 21, v0
	ds_read_b32 v28, v116
	v_cndmask_b32_e32 v27, v27, v23, vcc
	v_cmp_eq_u32_e32 vcc, 22, v0
	v_cndmask_b32_e32 v27, v27, v24, vcc
	v_cmp_eq_u32_e32 vcc, 23, v0
	;; [unrolled: 2-line block ×3, first 2 shown]
	v_cndmask_b32_e32 v27, v27, v26, vcc
	s_waitcnt lgkmcnt(0)
	v_mul_f32_e32 v29, v27, v28
	s_cbranch_execz .LBB88_516
	s_branch .LBB88_517
.LBB88_515:
                                        ; implicit-def: $vgpr29
.LBB88_516:
	ds_read_b32 v29, v116
.LBB88_517:
	v_cmp_ne_u32_e32 vcc, 14, v0
	s_and_saveexec_b64 s[6:7], vcc
	s_cbranch_execz .LBB88_521
; %bb.518:
	v_mov_b32_e32 v27, 0x74
	v_lshl_add_u32 v30, v0, 2, v27
	v_mov_b32_e32 v28, v1
	s_mov_b64 s[8:9], 0
	v_mov_b32_e32 v27, v0
.LBB88_519:                             ; =>This Inner Loop Header: Depth=1
	v_add_co_u32_e32 v27, vcc, 1, v27
	v_addc_co_u32_e32 v28, vcc, 0, v28, vcc
	v_cmp_eq_u32_e32 vcc, 1, v27
	v_cndmask_b32_e32 v32, v2, v3, vcc
	v_cmp_lt_u32_e32 vcc, 13, v27
	v_cmp_eq_u32_e64 s[2:3], 2, v27
	v_cndmask_b32_e64 v32, v32, v4, s[2:3]
	s_or_b64 s[8:9], vcc, s[8:9]
	v_cmp_eq_u32_e32 vcc, 3, v27
	v_cndmask_b32_e32 v32, v32, v5, vcc
	v_cmp_eq_u32_e32 vcc, 4, v27
	v_cndmask_b32_e32 v32, v32, v6, vcc
	;; [unrolled: 2-line block ×17, first 2 shown]
	v_cmp_eq_u32_e32 vcc, 20, v27
	ds_read_b32 v31, v30
	v_cndmask_b32_e32 v32, v32, v22, vcc
	v_cmp_eq_u32_e32 vcc, 21, v27
	v_cndmask_b32_e32 v32, v32, v23, vcc
	v_cmp_eq_u32_e32 vcc, 22, v27
	;; [unrolled: 2-line block ×4, first 2 shown]
	v_cndmask_b32_e32 v32, v32, v26, vcc
	v_add_u32_e32 v30, 4, v30
	s_waitcnt lgkmcnt(0)
	v_fmac_f32_e32 v29, v32, v31
	s_andn2_b64 exec, exec, s[8:9]
	s_cbranch_execnz .LBB88_519
; %bb.520:
	s_or_b64 exec, exec, s[8:9]
.LBB88_521:
	s_or_b64 exec, exec, s[6:7]
	v_mov_b32_e32 v17, 0
	ds_read_b32 v17, v17 offset:60
	s_waitcnt lgkmcnt(0)
	v_mul_f32_e32 v17, v29, v17
.LBB88_522:
	s_or_b64 exec, exec, s[4:5]
	v_cmp_gt_u32_e32 vcc, 16, v0
	ds_write_b32 v116, v18
	s_waitcnt lgkmcnt(0)
	; wave barrier
	s_and_saveexec_b64 s[4:5], vcc
	s_cbranch_execz .LBB88_532
; %bb.523:
	s_and_b64 vcc, exec, s[0:1]
	s_cbranch_vccnz .LBB88_525
; %bb.524:
	v_cmp_eq_u32_e32 vcc, 1, v0
	v_cndmask_b32_e32 v27, v2, v3, vcc
	v_cmp_eq_u32_e32 vcc, 2, v0
	v_cndmask_b32_e32 v27, v27, v4, vcc
	;; [unrolled: 2-line block ×20, first 2 shown]
	v_cmp_eq_u32_e32 vcc, 21, v0
	ds_read_b32 v28, v116
	v_cndmask_b32_e32 v27, v27, v23, vcc
	v_cmp_eq_u32_e32 vcc, 22, v0
	v_cndmask_b32_e32 v27, v27, v24, vcc
	v_cmp_eq_u32_e32 vcc, 23, v0
	;; [unrolled: 2-line block ×3, first 2 shown]
	v_cndmask_b32_e32 v27, v27, v26, vcc
	s_waitcnt lgkmcnt(0)
	v_mul_f32_e32 v29, v27, v28
	s_cbranch_execz .LBB88_526
	s_branch .LBB88_527
.LBB88_525:
                                        ; implicit-def: $vgpr29
.LBB88_526:
	ds_read_b32 v29, v116
.LBB88_527:
	v_cmp_ne_u32_e32 vcc, 15, v0
	s_and_saveexec_b64 s[6:7], vcc
	s_cbranch_execz .LBB88_531
; %bb.528:
	v_mov_b32_e32 v27, 0x74
	v_lshl_add_u32 v30, v0, 2, v27
	v_mov_b32_e32 v28, v1
	s_mov_b64 s[8:9], 0
	v_mov_b32_e32 v27, v0
.LBB88_529:                             ; =>This Inner Loop Header: Depth=1
	v_add_co_u32_e32 v27, vcc, 1, v27
	v_addc_co_u32_e32 v28, vcc, 0, v28, vcc
	v_cmp_eq_u32_e32 vcc, 1, v27
	v_cndmask_b32_e32 v32, v2, v3, vcc
	v_cmp_lt_u32_e32 vcc, 14, v27
	v_cmp_eq_u32_e64 s[2:3], 2, v27
	v_cndmask_b32_e64 v32, v32, v4, s[2:3]
	s_or_b64 s[8:9], vcc, s[8:9]
	v_cmp_eq_u32_e32 vcc, 3, v27
	v_cndmask_b32_e32 v32, v32, v5, vcc
	v_cmp_eq_u32_e32 vcc, 4, v27
	v_cndmask_b32_e32 v32, v32, v6, vcc
	;; [unrolled: 2-line block ×17, first 2 shown]
	v_cmp_eq_u32_e32 vcc, 20, v27
	ds_read_b32 v31, v30
	v_cndmask_b32_e32 v32, v32, v22, vcc
	v_cmp_eq_u32_e32 vcc, 21, v27
	v_cndmask_b32_e32 v32, v32, v23, vcc
	v_cmp_eq_u32_e32 vcc, 22, v27
	;; [unrolled: 2-line block ×4, first 2 shown]
	v_cndmask_b32_e32 v32, v32, v26, vcc
	v_add_u32_e32 v30, 4, v30
	s_waitcnt lgkmcnt(0)
	v_fmac_f32_e32 v29, v32, v31
	s_andn2_b64 exec, exec, s[8:9]
	s_cbranch_execnz .LBB88_529
; %bb.530:
	s_or_b64 exec, exec, s[8:9]
.LBB88_531:
	s_or_b64 exec, exec, s[6:7]
	v_mov_b32_e32 v18, 0
	ds_read_b32 v18, v18 offset:64
	s_waitcnt lgkmcnt(0)
	v_mul_f32_e32 v18, v29, v18
.LBB88_532:
	s_or_b64 exec, exec, s[4:5]
	v_cmp_gt_u32_e32 vcc, 17, v0
	ds_write_b32 v116, v19
	s_waitcnt lgkmcnt(0)
	; wave barrier
	s_and_saveexec_b64 s[4:5], vcc
	s_cbranch_execz .LBB88_542
; %bb.533:
	s_and_b64 vcc, exec, s[0:1]
	s_cbranch_vccnz .LBB88_535
; %bb.534:
	v_cmp_eq_u32_e32 vcc, 1, v0
	v_cndmask_b32_e32 v27, v2, v3, vcc
	v_cmp_eq_u32_e32 vcc, 2, v0
	v_cndmask_b32_e32 v27, v27, v4, vcc
	v_cmp_eq_u32_e32 vcc, 3, v0
	v_cndmask_b32_e32 v27, v27, v5, vcc
	v_cmp_eq_u32_e32 vcc, 4, v0
	v_cndmask_b32_e32 v27, v27, v6, vcc
	v_cmp_eq_u32_e32 vcc, 5, v0
	v_cndmask_b32_e32 v27, v27, v7, vcc
	v_cmp_eq_u32_e32 vcc, 6, v0
	v_cndmask_b32_e32 v27, v27, v8, vcc
	v_cmp_eq_u32_e32 vcc, 7, v0
	v_cndmask_b32_e32 v27, v27, v9, vcc
	v_cmp_eq_u32_e32 vcc, 8, v0
	v_cndmask_b32_e32 v27, v27, v10, vcc
	v_cmp_eq_u32_e32 vcc, 9, v0
	v_cndmask_b32_e32 v27, v27, v11, vcc
	v_cmp_eq_u32_e32 vcc, 10, v0
	v_cndmask_b32_e32 v27, v27, v12, vcc
	v_cmp_eq_u32_e32 vcc, 11, v0
	v_cndmask_b32_e32 v27, v27, v13, vcc
	v_cmp_eq_u32_e32 vcc, 12, v0
	v_cndmask_b32_e32 v27, v27, v14, vcc
	v_cmp_eq_u32_e32 vcc, 13, v0
	v_cndmask_b32_e32 v27, v27, v15, vcc
	v_cmp_eq_u32_e32 vcc, 14, v0
	v_cndmask_b32_e32 v27, v27, v16, vcc
	v_cmp_eq_u32_e32 vcc, 15, v0
	v_cndmask_b32_e32 v27, v27, v17, vcc
	v_cmp_eq_u32_e32 vcc, 16, v0
	v_cndmask_b32_e32 v27, v27, v18, vcc
	v_cmp_eq_u32_e32 vcc, 17, v0
	v_cndmask_b32_e32 v27, v27, v19, vcc
	v_cmp_eq_u32_e32 vcc, 18, v0
	v_cndmask_b32_e32 v27, v27, v20, vcc
	v_cmp_eq_u32_e32 vcc, 19, v0
	v_cndmask_b32_e32 v27, v27, v21, vcc
	v_cmp_eq_u32_e32 vcc, 20, v0
	v_cndmask_b32_e32 v27, v27, v22, vcc
	v_cmp_eq_u32_e32 vcc, 21, v0
	ds_read_b32 v28, v116
	v_cndmask_b32_e32 v27, v27, v23, vcc
	v_cmp_eq_u32_e32 vcc, 22, v0
	v_cndmask_b32_e32 v27, v27, v24, vcc
	v_cmp_eq_u32_e32 vcc, 23, v0
	;; [unrolled: 2-line block ×3, first 2 shown]
	v_cndmask_b32_e32 v27, v27, v26, vcc
	s_waitcnt lgkmcnt(0)
	v_mul_f32_e32 v29, v27, v28
	s_cbranch_execz .LBB88_536
	s_branch .LBB88_537
.LBB88_535:
                                        ; implicit-def: $vgpr29
.LBB88_536:
	ds_read_b32 v29, v116
.LBB88_537:
	v_cmp_ne_u32_e32 vcc, 16, v0
	s_and_saveexec_b64 s[6:7], vcc
	s_cbranch_execz .LBB88_541
; %bb.538:
	v_mov_b32_e32 v27, 0x74
	v_lshl_add_u32 v30, v0, 2, v27
	v_mov_b32_e32 v28, v1
	s_mov_b64 s[8:9], 0
	v_mov_b32_e32 v27, v0
.LBB88_539:                             ; =>This Inner Loop Header: Depth=1
	v_add_co_u32_e32 v27, vcc, 1, v27
	v_addc_co_u32_e32 v28, vcc, 0, v28, vcc
	v_cmp_eq_u32_e32 vcc, 1, v27
	v_cndmask_b32_e32 v32, v2, v3, vcc
	v_cmp_lt_u32_e32 vcc, 15, v27
	v_cmp_eq_u32_e64 s[2:3], 2, v27
	v_cndmask_b32_e64 v32, v32, v4, s[2:3]
	s_or_b64 s[8:9], vcc, s[8:9]
	v_cmp_eq_u32_e32 vcc, 3, v27
	v_cndmask_b32_e32 v32, v32, v5, vcc
	v_cmp_eq_u32_e32 vcc, 4, v27
	v_cndmask_b32_e32 v32, v32, v6, vcc
	;; [unrolled: 2-line block ×17, first 2 shown]
	v_cmp_eq_u32_e32 vcc, 20, v27
	ds_read_b32 v31, v30
	v_cndmask_b32_e32 v32, v32, v22, vcc
	v_cmp_eq_u32_e32 vcc, 21, v27
	v_cndmask_b32_e32 v32, v32, v23, vcc
	v_cmp_eq_u32_e32 vcc, 22, v27
	;; [unrolled: 2-line block ×4, first 2 shown]
	v_cndmask_b32_e32 v32, v32, v26, vcc
	v_add_u32_e32 v30, 4, v30
	s_waitcnt lgkmcnt(0)
	v_fmac_f32_e32 v29, v32, v31
	s_andn2_b64 exec, exec, s[8:9]
	s_cbranch_execnz .LBB88_539
; %bb.540:
	s_or_b64 exec, exec, s[8:9]
.LBB88_541:
	s_or_b64 exec, exec, s[6:7]
	v_mov_b32_e32 v19, 0
	ds_read_b32 v19, v19 offset:68
	s_waitcnt lgkmcnt(0)
	v_mul_f32_e32 v19, v29, v19
.LBB88_542:
	s_or_b64 exec, exec, s[4:5]
	v_cmp_gt_u32_e32 vcc, 18, v0
	ds_write_b32 v116, v20
	s_waitcnt lgkmcnt(0)
	; wave barrier
	s_and_saveexec_b64 s[4:5], vcc
	s_cbranch_execz .LBB88_552
; %bb.543:
	s_and_b64 vcc, exec, s[0:1]
	s_cbranch_vccnz .LBB88_545
; %bb.544:
	v_cmp_eq_u32_e32 vcc, 1, v0
	v_cndmask_b32_e32 v27, v2, v3, vcc
	v_cmp_eq_u32_e32 vcc, 2, v0
	v_cndmask_b32_e32 v27, v27, v4, vcc
	;; [unrolled: 2-line block ×20, first 2 shown]
	v_cmp_eq_u32_e32 vcc, 21, v0
	ds_read_b32 v28, v116
	v_cndmask_b32_e32 v27, v27, v23, vcc
	v_cmp_eq_u32_e32 vcc, 22, v0
	v_cndmask_b32_e32 v27, v27, v24, vcc
	v_cmp_eq_u32_e32 vcc, 23, v0
	;; [unrolled: 2-line block ×3, first 2 shown]
	v_cndmask_b32_e32 v27, v27, v26, vcc
	s_waitcnt lgkmcnt(0)
	v_mul_f32_e32 v29, v27, v28
	s_cbranch_execz .LBB88_546
	s_branch .LBB88_547
.LBB88_545:
                                        ; implicit-def: $vgpr29
.LBB88_546:
	ds_read_b32 v29, v116
.LBB88_547:
	v_cmp_ne_u32_e32 vcc, 17, v0
	s_and_saveexec_b64 s[6:7], vcc
	s_cbranch_execz .LBB88_551
; %bb.548:
	v_mov_b32_e32 v27, 0x74
	v_lshl_add_u32 v30, v0, 2, v27
	v_mov_b32_e32 v28, v1
	s_mov_b64 s[8:9], 0
	v_mov_b32_e32 v27, v0
.LBB88_549:                             ; =>This Inner Loop Header: Depth=1
	v_add_co_u32_e32 v27, vcc, 1, v27
	v_addc_co_u32_e32 v28, vcc, 0, v28, vcc
	v_cmp_eq_u32_e32 vcc, 1, v27
	v_cndmask_b32_e32 v32, v2, v3, vcc
	v_cmp_lt_u32_e32 vcc, 16, v27
	v_cmp_eq_u32_e64 s[2:3], 2, v27
	v_cndmask_b32_e64 v32, v32, v4, s[2:3]
	s_or_b64 s[8:9], vcc, s[8:9]
	v_cmp_eq_u32_e32 vcc, 3, v27
	v_cndmask_b32_e32 v32, v32, v5, vcc
	v_cmp_eq_u32_e32 vcc, 4, v27
	v_cndmask_b32_e32 v32, v32, v6, vcc
	;; [unrolled: 2-line block ×17, first 2 shown]
	v_cmp_eq_u32_e32 vcc, 20, v27
	ds_read_b32 v31, v30
	v_cndmask_b32_e32 v32, v32, v22, vcc
	v_cmp_eq_u32_e32 vcc, 21, v27
	v_cndmask_b32_e32 v32, v32, v23, vcc
	v_cmp_eq_u32_e32 vcc, 22, v27
	;; [unrolled: 2-line block ×4, first 2 shown]
	v_cndmask_b32_e32 v32, v32, v26, vcc
	v_add_u32_e32 v30, 4, v30
	s_waitcnt lgkmcnt(0)
	v_fmac_f32_e32 v29, v32, v31
	s_andn2_b64 exec, exec, s[8:9]
	s_cbranch_execnz .LBB88_549
; %bb.550:
	s_or_b64 exec, exec, s[8:9]
.LBB88_551:
	s_or_b64 exec, exec, s[6:7]
	v_mov_b32_e32 v20, 0
	ds_read_b32 v20, v20 offset:72
	s_waitcnt lgkmcnt(0)
	v_mul_f32_e32 v20, v29, v20
.LBB88_552:
	s_or_b64 exec, exec, s[4:5]
	v_cmp_gt_u32_e32 vcc, 19, v0
	ds_write_b32 v116, v21
	s_waitcnt lgkmcnt(0)
	; wave barrier
	s_and_saveexec_b64 s[4:5], vcc
	s_cbranch_execz .LBB88_562
; %bb.553:
	s_and_b64 vcc, exec, s[0:1]
	s_cbranch_vccnz .LBB88_555
; %bb.554:
	v_cmp_eq_u32_e32 vcc, 1, v0
	v_cndmask_b32_e32 v27, v2, v3, vcc
	v_cmp_eq_u32_e32 vcc, 2, v0
	v_cndmask_b32_e32 v27, v27, v4, vcc
	;; [unrolled: 2-line block ×20, first 2 shown]
	v_cmp_eq_u32_e32 vcc, 21, v0
	ds_read_b32 v28, v116
	v_cndmask_b32_e32 v27, v27, v23, vcc
	v_cmp_eq_u32_e32 vcc, 22, v0
	v_cndmask_b32_e32 v27, v27, v24, vcc
	v_cmp_eq_u32_e32 vcc, 23, v0
	;; [unrolled: 2-line block ×3, first 2 shown]
	v_cndmask_b32_e32 v27, v27, v26, vcc
	s_waitcnt lgkmcnt(0)
	v_mul_f32_e32 v29, v27, v28
	s_cbranch_execz .LBB88_556
	s_branch .LBB88_557
.LBB88_555:
                                        ; implicit-def: $vgpr29
.LBB88_556:
	ds_read_b32 v29, v116
.LBB88_557:
	v_cmp_ne_u32_e32 vcc, 18, v0
	s_and_saveexec_b64 s[6:7], vcc
	s_cbranch_execz .LBB88_561
; %bb.558:
	v_mov_b32_e32 v27, 0x74
	v_lshl_add_u32 v30, v0, 2, v27
	v_mov_b32_e32 v28, v1
	s_mov_b64 s[8:9], 0
	v_mov_b32_e32 v27, v0
.LBB88_559:                             ; =>This Inner Loop Header: Depth=1
	v_add_co_u32_e32 v27, vcc, 1, v27
	v_addc_co_u32_e32 v28, vcc, 0, v28, vcc
	v_cmp_eq_u32_e32 vcc, 1, v27
	v_cndmask_b32_e32 v32, v2, v3, vcc
	v_cmp_lt_u32_e32 vcc, 17, v27
	v_cmp_eq_u32_e64 s[2:3], 2, v27
	v_cndmask_b32_e64 v32, v32, v4, s[2:3]
	s_or_b64 s[8:9], vcc, s[8:9]
	v_cmp_eq_u32_e32 vcc, 3, v27
	v_cndmask_b32_e32 v32, v32, v5, vcc
	v_cmp_eq_u32_e32 vcc, 4, v27
	v_cndmask_b32_e32 v32, v32, v6, vcc
	;; [unrolled: 2-line block ×17, first 2 shown]
	v_cmp_eq_u32_e32 vcc, 20, v27
	ds_read_b32 v31, v30
	v_cndmask_b32_e32 v32, v32, v22, vcc
	v_cmp_eq_u32_e32 vcc, 21, v27
	v_cndmask_b32_e32 v32, v32, v23, vcc
	v_cmp_eq_u32_e32 vcc, 22, v27
	;; [unrolled: 2-line block ×4, first 2 shown]
	v_cndmask_b32_e32 v32, v32, v26, vcc
	v_add_u32_e32 v30, 4, v30
	s_waitcnt lgkmcnt(0)
	v_fmac_f32_e32 v29, v32, v31
	s_andn2_b64 exec, exec, s[8:9]
	s_cbranch_execnz .LBB88_559
; %bb.560:
	s_or_b64 exec, exec, s[8:9]
.LBB88_561:
	s_or_b64 exec, exec, s[6:7]
	v_mov_b32_e32 v21, 0
	ds_read_b32 v21, v21 offset:76
	s_waitcnt lgkmcnt(0)
	v_mul_f32_e32 v21, v29, v21
.LBB88_562:
	s_or_b64 exec, exec, s[4:5]
	v_cmp_gt_u32_e32 vcc, 20, v0
	ds_write_b32 v116, v22
	s_waitcnt lgkmcnt(0)
	; wave barrier
	s_and_saveexec_b64 s[4:5], vcc
	s_cbranch_execz .LBB88_572
; %bb.563:
	s_and_b64 vcc, exec, s[0:1]
	s_cbranch_vccnz .LBB88_565
; %bb.564:
	v_cmp_eq_u32_e32 vcc, 1, v0
	v_cndmask_b32_e32 v27, v2, v3, vcc
	v_cmp_eq_u32_e32 vcc, 2, v0
	v_cndmask_b32_e32 v27, v27, v4, vcc
	v_cmp_eq_u32_e32 vcc, 3, v0
	v_cndmask_b32_e32 v27, v27, v5, vcc
	v_cmp_eq_u32_e32 vcc, 4, v0
	v_cndmask_b32_e32 v27, v27, v6, vcc
	v_cmp_eq_u32_e32 vcc, 5, v0
	v_cndmask_b32_e32 v27, v27, v7, vcc
	v_cmp_eq_u32_e32 vcc, 6, v0
	v_cndmask_b32_e32 v27, v27, v8, vcc
	v_cmp_eq_u32_e32 vcc, 7, v0
	v_cndmask_b32_e32 v27, v27, v9, vcc
	v_cmp_eq_u32_e32 vcc, 8, v0
	v_cndmask_b32_e32 v27, v27, v10, vcc
	v_cmp_eq_u32_e32 vcc, 9, v0
	v_cndmask_b32_e32 v27, v27, v11, vcc
	v_cmp_eq_u32_e32 vcc, 10, v0
	v_cndmask_b32_e32 v27, v27, v12, vcc
	v_cmp_eq_u32_e32 vcc, 11, v0
	v_cndmask_b32_e32 v27, v27, v13, vcc
	v_cmp_eq_u32_e32 vcc, 12, v0
	v_cndmask_b32_e32 v27, v27, v14, vcc
	v_cmp_eq_u32_e32 vcc, 13, v0
	v_cndmask_b32_e32 v27, v27, v15, vcc
	v_cmp_eq_u32_e32 vcc, 14, v0
	v_cndmask_b32_e32 v27, v27, v16, vcc
	v_cmp_eq_u32_e32 vcc, 15, v0
	v_cndmask_b32_e32 v27, v27, v17, vcc
	v_cmp_eq_u32_e32 vcc, 16, v0
	v_cndmask_b32_e32 v27, v27, v18, vcc
	v_cmp_eq_u32_e32 vcc, 17, v0
	v_cndmask_b32_e32 v27, v27, v19, vcc
	v_cmp_eq_u32_e32 vcc, 18, v0
	v_cndmask_b32_e32 v27, v27, v20, vcc
	v_cmp_eq_u32_e32 vcc, 19, v0
	v_cndmask_b32_e32 v27, v27, v21, vcc
	v_cmp_eq_u32_e32 vcc, 20, v0
	v_cndmask_b32_e32 v27, v27, v22, vcc
	v_cmp_eq_u32_e32 vcc, 21, v0
	ds_read_b32 v28, v116
	v_cndmask_b32_e32 v27, v27, v23, vcc
	v_cmp_eq_u32_e32 vcc, 22, v0
	v_cndmask_b32_e32 v27, v27, v24, vcc
	v_cmp_eq_u32_e32 vcc, 23, v0
	;; [unrolled: 2-line block ×3, first 2 shown]
	v_cndmask_b32_e32 v27, v27, v26, vcc
	s_waitcnt lgkmcnt(0)
	v_mul_f32_e32 v29, v27, v28
	s_cbranch_execz .LBB88_566
	s_branch .LBB88_567
.LBB88_565:
                                        ; implicit-def: $vgpr29
.LBB88_566:
	ds_read_b32 v29, v116
.LBB88_567:
	v_cmp_ne_u32_e32 vcc, 19, v0
	s_and_saveexec_b64 s[6:7], vcc
	s_cbranch_execz .LBB88_571
; %bb.568:
	v_mov_b32_e32 v27, 0x74
	v_lshl_add_u32 v30, v0, 2, v27
	v_mov_b32_e32 v28, v1
	s_mov_b64 s[8:9], 0
	v_mov_b32_e32 v27, v0
.LBB88_569:                             ; =>This Inner Loop Header: Depth=1
	v_add_co_u32_e32 v27, vcc, 1, v27
	v_addc_co_u32_e32 v28, vcc, 0, v28, vcc
	v_cmp_eq_u32_e32 vcc, 1, v27
	v_cndmask_b32_e32 v32, v2, v3, vcc
	v_cmp_lt_u32_e32 vcc, 18, v27
	v_cmp_eq_u32_e64 s[2:3], 2, v27
	v_cndmask_b32_e64 v32, v32, v4, s[2:3]
	s_or_b64 s[8:9], vcc, s[8:9]
	v_cmp_eq_u32_e32 vcc, 3, v27
	v_cndmask_b32_e32 v32, v32, v5, vcc
	v_cmp_eq_u32_e32 vcc, 4, v27
	v_cndmask_b32_e32 v32, v32, v6, vcc
	;; [unrolled: 2-line block ×17, first 2 shown]
	v_cmp_eq_u32_e32 vcc, 20, v27
	ds_read_b32 v31, v30
	v_cndmask_b32_e32 v32, v32, v22, vcc
	v_cmp_eq_u32_e32 vcc, 21, v27
	v_cndmask_b32_e32 v32, v32, v23, vcc
	v_cmp_eq_u32_e32 vcc, 22, v27
	;; [unrolled: 2-line block ×4, first 2 shown]
	v_cndmask_b32_e32 v32, v32, v26, vcc
	v_add_u32_e32 v30, 4, v30
	s_waitcnt lgkmcnt(0)
	v_fmac_f32_e32 v29, v32, v31
	s_andn2_b64 exec, exec, s[8:9]
	s_cbranch_execnz .LBB88_569
; %bb.570:
	s_or_b64 exec, exec, s[8:9]
.LBB88_571:
	s_or_b64 exec, exec, s[6:7]
	v_mov_b32_e32 v22, 0
	ds_read_b32 v22, v22 offset:80
	s_waitcnt lgkmcnt(0)
	v_mul_f32_e32 v22, v29, v22
.LBB88_572:
	s_or_b64 exec, exec, s[4:5]
	v_cmp_gt_u32_e32 vcc, 21, v0
	ds_write_b32 v116, v23
	s_waitcnt lgkmcnt(0)
	; wave barrier
	s_and_saveexec_b64 s[4:5], vcc
	s_cbranch_execz .LBB88_582
; %bb.573:
	s_and_b64 vcc, exec, s[0:1]
	s_cbranch_vccnz .LBB88_575
; %bb.574:
	v_cmp_eq_u32_e32 vcc, 1, v0
	v_cndmask_b32_e32 v27, v2, v3, vcc
	v_cmp_eq_u32_e32 vcc, 2, v0
	v_cndmask_b32_e32 v27, v27, v4, vcc
	;; [unrolled: 2-line block ×20, first 2 shown]
	v_cmp_eq_u32_e32 vcc, 21, v0
	ds_read_b32 v28, v116
	v_cndmask_b32_e32 v27, v27, v23, vcc
	v_cmp_eq_u32_e32 vcc, 22, v0
	v_cndmask_b32_e32 v27, v27, v24, vcc
	v_cmp_eq_u32_e32 vcc, 23, v0
	;; [unrolled: 2-line block ×3, first 2 shown]
	v_cndmask_b32_e32 v27, v27, v26, vcc
	s_waitcnt lgkmcnt(0)
	v_mul_f32_e32 v29, v27, v28
	s_cbranch_execz .LBB88_576
	s_branch .LBB88_577
.LBB88_575:
                                        ; implicit-def: $vgpr29
.LBB88_576:
	ds_read_b32 v29, v116
.LBB88_577:
	v_cmp_ne_u32_e32 vcc, 20, v0
	s_and_saveexec_b64 s[6:7], vcc
	s_cbranch_execz .LBB88_581
; %bb.578:
	v_mov_b32_e32 v27, 0x74
	v_lshl_add_u32 v30, v0, 2, v27
	v_mov_b32_e32 v28, v1
	s_mov_b64 s[8:9], 0
	v_mov_b32_e32 v27, v0
.LBB88_579:                             ; =>This Inner Loop Header: Depth=1
	v_add_co_u32_e32 v27, vcc, 1, v27
	v_addc_co_u32_e32 v28, vcc, 0, v28, vcc
	v_cmp_eq_u32_e32 vcc, 1, v27
	v_cndmask_b32_e32 v32, v2, v3, vcc
	v_cmp_lt_u32_e32 vcc, 19, v27
	v_cmp_eq_u32_e64 s[2:3], 2, v27
	v_cndmask_b32_e64 v32, v32, v4, s[2:3]
	s_or_b64 s[8:9], vcc, s[8:9]
	v_cmp_eq_u32_e32 vcc, 3, v27
	v_cndmask_b32_e32 v32, v32, v5, vcc
	v_cmp_eq_u32_e32 vcc, 4, v27
	v_cndmask_b32_e32 v32, v32, v6, vcc
	;; [unrolled: 2-line block ×17, first 2 shown]
	v_cmp_eq_u32_e32 vcc, 20, v27
	ds_read_b32 v31, v30
	v_cndmask_b32_e32 v32, v32, v22, vcc
	v_cmp_eq_u32_e32 vcc, 21, v27
	v_cndmask_b32_e32 v32, v32, v23, vcc
	v_cmp_eq_u32_e32 vcc, 22, v27
	;; [unrolled: 2-line block ×4, first 2 shown]
	v_cndmask_b32_e32 v32, v32, v26, vcc
	v_add_u32_e32 v30, 4, v30
	s_waitcnt lgkmcnt(0)
	v_fmac_f32_e32 v29, v32, v31
	s_andn2_b64 exec, exec, s[8:9]
	s_cbranch_execnz .LBB88_579
; %bb.580:
	s_or_b64 exec, exec, s[8:9]
.LBB88_581:
	s_or_b64 exec, exec, s[6:7]
	v_mov_b32_e32 v23, 0
	ds_read_b32 v23, v23 offset:84
	s_waitcnt lgkmcnt(0)
	v_mul_f32_e32 v23, v29, v23
.LBB88_582:
	s_or_b64 exec, exec, s[4:5]
	v_cmp_gt_u32_e32 vcc, 22, v0
	ds_write_b32 v116, v24
	s_waitcnt lgkmcnt(0)
	; wave barrier
	s_and_saveexec_b64 s[4:5], vcc
	s_cbranch_execz .LBB88_592
; %bb.583:
	s_and_b64 vcc, exec, s[0:1]
	s_cbranch_vccnz .LBB88_585
; %bb.584:
	v_cmp_eq_u32_e32 vcc, 1, v0
	v_cndmask_b32_e32 v27, v2, v3, vcc
	v_cmp_eq_u32_e32 vcc, 2, v0
	v_cndmask_b32_e32 v27, v27, v4, vcc
	;; [unrolled: 2-line block ×20, first 2 shown]
	v_cmp_eq_u32_e32 vcc, 21, v0
	ds_read_b32 v28, v116
	v_cndmask_b32_e32 v27, v27, v23, vcc
	v_cmp_eq_u32_e32 vcc, 22, v0
	v_cndmask_b32_e32 v27, v27, v24, vcc
	v_cmp_eq_u32_e32 vcc, 23, v0
	;; [unrolled: 2-line block ×3, first 2 shown]
	v_cndmask_b32_e32 v27, v27, v26, vcc
	s_waitcnt lgkmcnt(0)
	v_mul_f32_e32 v29, v27, v28
	s_cbranch_execz .LBB88_586
	s_branch .LBB88_587
.LBB88_585:
                                        ; implicit-def: $vgpr29
.LBB88_586:
	ds_read_b32 v29, v116
.LBB88_587:
	v_cmp_ne_u32_e32 vcc, 21, v0
	s_and_saveexec_b64 s[6:7], vcc
	s_cbranch_execz .LBB88_591
; %bb.588:
	v_mov_b32_e32 v27, 0x74
	v_lshl_add_u32 v30, v0, 2, v27
	v_mov_b32_e32 v28, v1
	s_mov_b64 s[8:9], 0
	v_mov_b32_e32 v27, v0
.LBB88_589:                             ; =>This Inner Loop Header: Depth=1
	v_add_co_u32_e32 v27, vcc, 1, v27
	v_addc_co_u32_e32 v28, vcc, 0, v28, vcc
	v_cmp_eq_u32_e32 vcc, 1, v27
	v_cndmask_b32_e32 v32, v2, v3, vcc
	v_cmp_lt_u32_e32 vcc, 20, v27
	v_cmp_eq_u32_e64 s[2:3], 2, v27
	v_cndmask_b32_e64 v32, v32, v4, s[2:3]
	s_or_b64 s[8:9], vcc, s[8:9]
	v_cmp_eq_u32_e32 vcc, 3, v27
	v_cndmask_b32_e32 v32, v32, v5, vcc
	v_cmp_eq_u32_e32 vcc, 4, v27
	v_cndmask_b32_e32 v32, v32, v6, vcc
	;; [unrolled: 2-line block ×17, first 2 shown]
	v_cmp_eq_u32_e32 vcc, 20, v27
	ds_read_b32 v31, v30
	v_cndmask_b32_e32 v32, v32, v22, vcc
	v_cmp_eq_u32_e32 vcc, 21, v27
	v_cndmask_b32_e32 v32, v32, v23, vcc
	v_cmp_eq_u32_e32 vcc, 22, v27
	;; [unrolled: 2-line block ×4, first 2 shown]
	v_cndmask_b32_e32 v32, v32, v26, vcc
	v_add_u32_e32 v30, 4, v30
	s_waitcnt lgkmcnt(0)
	v_fmac_f32_e32 v29, v32, v31
	s_andn2_b64 exec, exec, s[8:9]
	s_cbranch_execnz .LBB88_589
; %bb.590:
	s_or_b64 exec, exec, s[8:9]
.LBB88_591:
	s_or_b64 exec, exec, s[6:7]
	v_mov_b32_e32 v24, 0
	ds_read_b32 v24, v24 offset:88
	s_waitcnt lgkmcnt(0)
	v_mul_f32_e32 v24, v29, v24
.LBB88_592:
	s_or_b64 exec, exec, s[4:5]
	v_cmp_gt_u32_e64 s[2:3], 23, v0
	ds_write_b32 v116, v25
	s_waitcnt lgkmcnt(0)
	; wave barrier
	s_and_saveexec_b64 s[6:7], s[2:3]
	s_cbranch_execz .LBB88_602
; %bb.593:
	s_and_b64 vcc, exec, s[0:1]
	s_cbranch_vccnz .LBB88_595
; %bb.594:
	v_cmp_eq_u32_e32 vcc, 1, v0
	v_cndmask_b32_e32 v27, v2, v3, vcc
	v_cmp_eq_u32_e32 vcc, 2, v0
	v_cndmask_b32_e32 v27, v27, v4, vcc
	;; [unrolled: 2-line block ×20, first 2 shown]
	v_cmp_eq_u32_e32 vcc, 21, v0
	ds_read_b32 v28, v116
	v_cndmask_b32_e32 v27, v27, v23, vcc
	v_cmp_eq_u32_e32 vcc, 22, v0
	v_cndmask_b32_e32 v27, v27, v24, vcc
	v_cmp_eq_u32_e32 vcc, 23, v0
	;; [unrolled: 2-line block ×3, first 2 shown]
	v_cndmask_b32_e32 v27, v27, v26, vcc
	s_waitcnt lgkmcnt(0)
	v_mul_f32_e32 v29, v27, v28
	s_cbranch_execz .LBB88_596
	s_branch .LBB88_597
.LBB88_595:
                                        ; implicit-def: $vgpr29
.LBB88_596:
	ds_read_b32 v29, v116
.LBB88_597:
	v_cmp_ne_u32_e32 vcc, 22, v0
	s_and_saveexec_b64 s[8:9], vcc
	s_cbranch_execz .LBB88_601
; %bb.598:
	v_mov_b32_e32 v27, 0x74
	v_lshl_add_u32 v30, v0, 2, v27
	v_mov_b32_e32 v28, v1
	s_mov_b64 s[10:11], 0
	v_mov_b32_e32 v27, v0
.LBB88_599:                             ; =>This Inner Loop Header: Depth=1
	v_add_co_u32_e32 v27, vcc, 1, v27
	v_addc_co_u32_e32 v28, vcc, 0, v28, vcc
	v_cmp_eq_u32_e32 vcc, 1, v27
	v_cndmask_b32_e32 v32, v2, v3, vcc
	v_cmp_lt_u32_e32 vcc, 21, v27
	v_cmp_eq_u32_e64 s[4:5], 2, v27
	v_cndmask_b32_e64 v32, v32, v4, s[4:5]
	s_or_b64 s[10:11], vcc, s[10:11]
	v_cmp_eq_u32_e32 vcc, 3, v27
	v_cndmask_b32_e32 v32, v32, v5, vcc
	v_cmp_eq_u32_e32 vcc, 4, v27
	v_cndmask_b32_e32 v32, v32, v6, vcc
	;; [unrolled: 2-line block ×17, first 2 shown]
	v_cmp_eq_u32_e32 vcc, 20, v27
	ds_read_b32 v31, v30
	v_cndmask_b32_e32 v32, v32, v22, vcc
	v_cmp_eq_u32_e32 vcc, 21, v27
	v_cndmask_b32_e32 v32, v32, v23, vcc
	v_cmp_eq_u32_e32 vcc, 22, v27
	;; [unrolled: 2-line block ×4, first 2 shown]
	v_cndmask_b32_e32 v32, v32, v26, vcc
	v_add_u32_e32 v30, 4, v30
	s_waitcnt lgkmcnt(0)
	v_fmac_f32_e32 v29, v32, v31
	s_andn2_b64 exec, exec, s[10:11]
	s_cbranch_execnz .LBB88_599
; %bb.600:
	s_or_b64 exec, exec, s[10:11]
.LBB88_601:
	s_or_b64 exec, exec, s[8:9]
	v_mov_b32_e32 v25, 0
	ds_read_b32 v25, v25 offset:92
	s_waitcnt lgkmcnt(0)
	v_mul_f32_e32 v25, v29, v25
.LBB88_602:
	s_or_b64 exec, exec, s[6:7]
	v_cmp_ne_u32_e32 vcc, 24, v0
	ds_write_b32 v116, v26
	s_waitcnt lgkmcnt(0)
	; wave barrier
	s_and_saveexec_b64 s[4:5], vcc
	s_cbranch_execz .LBB88_612
; %bb.603:
	s_and_b64 vcc, exec, s[0:1]
	s_cbranch_vccnz .LBB88_605
; %bb.604:
	v_cmp_eq_u32_e32 vcc, 1, v0
	v_cndmask_b32_e32 v27, v2, v3, vcc
	v_cmp_eq_u32_e32 vcc, 2, v0
	v_cndmask_b32_e32 v27, v27, v4, vcc
	;; [unrolled: 2-line block ×20, first 2 shown]
	v_cmp_eq_u32_e32 vcc, 21, v0
	ds_read_b32 v28, v116
	v_cndmask_b32_e32 v27, v27, v23, vcc
	v_cmp_eq_u32_e32 vcc, 22, v0
	v_cndmask_b32_e32 v27, v27, v24, vcc
	v_cmp_eq_u32_e32 vcc, 23, v0
	;; [unrolled: 2-line block ×3, first 2 shown]
	v_cndmask_b32_e32 v27, v27, v26, vcc
	s_waitcnt lgkmcnt(0)
	v_mul_f32_e32 v27, v27, v28
	s_cbranch_execz .LBB88_606
	s_branch .LBB88_607
.LBB88_605:
                                        ; implicit-def: $vgpr27
.LBB88_606:
	ds_read_b32 v27, v116
.LBB88_607:
	s_and_saveexec_b64 s[6:7], s[2:3]
	s_cbranch_execz .LBB88_611
; %bb.608:
	v_mov_b32_e32 v28, 0x74
	v_lshl_add_u32 v28, v0, 2, v28
	s_mov_b64 s[2:3], 0
.LBB88_609:                             ; =>This Inner Loop Header: Depth=1
	v_add_co_u32_e32 v0, vcc, 1, v0
	v_addc_co_u32_e32 v1, vcc, 0, v1, vcc
	v_cmp_eq_u32_e32 vcc, 1, v0
	v_cndmask_b32_e32 v30, v2, v3, vcc
	v_cmp_lt_u32_e32 vcc, 22, v0
	v_cmp_eq_u32_e64 s[0:1], 2, v0
	v_cndmask_b32_e64 v30, v30, v4, s[0:1]
	s_or_b64 s[2:3], vcc, s[2:3]
	v_cmp_eq_u32_e32 vcc, 3, v0
	v_cndmask_b32_e32 v30, v30, v5, vcc
	v_cmp_eq_u32_e32 vcc, 4, v0
	v_cndmask_b32_e32 v30, v30, v6, vcc
	;; [unrolled: 2-line block ×17, first 2 shown]
	v_cmp_eq_u32_e32 vcc, 20, v0
	ds_read_b32 v29, v28
	v_cndmask_b32_e32 v30, v30, v22, vcc
	v_cmp_eq_u32_e32 vcc, 21, v0
	v_cndmask_b32_e32 v30, v30, v23, vcc
	v_cmp_eq_u32_e32 vcc, 22, v0
	;; [unrolled: 2-line block ×4, first 2 shown]
	v_cndmask_b32_e32 v30, v30, v26, vcc
	v_add_u32_e32 v28, 4, v28
	s_waitcnt lgkmcnt(0)
	v_fmac_f32_e32 v27, v30, v29
	s_andn2_b64 exec, exec, s[2:3]
	s_cbranch_execnz .LBB88_609
; %bb.610:
	s_or_b64 exec, exec, s[2:3]
.LBB88_611:
	s_or_b64 exec, exec, s[6:7]
	v_mov_b32_e32 v0, 0
	ds_read_b32 v0, v0 offset:96
	s_waitcnt lgkmcnt(0)
	v_mul_f32_e32 v26, v27, v0
.LBB88_612:
	s_or_b64 exec, exec, s[4:5]
	v_mov_b32_e32 v65, v33
	v_mov_b32_e32 v64, v32
	;; [unrolled: 1-line block ×32, first 2 shown]
.LBB88_613:
	flat_store_dword v[112:113], v34
	flat_store_dword v[114:115], v35
	;; [unrolled: 1-line block ×25, first 2 shown]
.LBB88_614:
	s_endpgm
	.section	.rodata,"a",@progbits
	.p2align	6, 0x0
	.amdhsa_kernel _ZN9rocsolver6v33100L18trti2_kernel_smallILi25EfPKPfEEv13rocblas_fill_17rocblas_diagonal_T1_iil
		.amdhsa_group_segment_fixed_size 212
		.amdhsa_private_segment_fixed_size 0
		.amdhsa_kernarg_size 32
		.amdhsa_user_sgpr_count 6
		.amdhsa_user_sgpr_private_segment_buffer 1
		.amdhsa_user_sgpr_dispatch_ptr 0
		.amdhsa_user_sgpr_queue_ptr 0
		.amdhsa_user_sgpr_kernarg_segment_ptr 1
		.amdhsa_user_sgpr_dispatch_id 0
		.amdhsa_user_sgpr_flat_scratch_init 0
		.amdhsa_user_sgpr_private_segment_size 0
		.amdhsa_uses_dynamic_stack 0
		.amdhsa_system_sgpr_private_segment_wavefront_offset 0
		.amdhsa_system_sgpr_workgroup_id_x 1
		.amdhsa_system_sgpr_workgroup_id_y 0
		.amdhsa_system_sgpr_workgroup_id_z 0
		.amdhsa_system_sgpr_workgroup_info 0
		.amdhsa_system_vgpr_workitem_id 0
		.amdhsa_next_free_vgpr 134
		.amdhsa_next_free_sgpr 58
		.amdhsa_reserve_vcc 1
		.amdhsa_reserve_flat_scratch 0
		.amdhsa_float_round_mode_32 0
		.amdhsa_float_round_mode_16_64 0
		.amdhsa_float_denorm_mode_32 3
		.amdhsa_float_denorm_mode_16_64 3
		.amdhsa_dx10_clamp 1
		.amdhsa_ieee_mode 1
		.amdhsa_fp16_overflow 0
		.amdhsa_exception_fp_ieee_invalid_op 0
		.amdhsa_exception_fp_denorm_src 0
		.amdhsa_exception_fp_ieee_div_zero 0
		.amdhsa_exception_fp_ieee_overflow 0
		.amdhsa_exception_fp_ieee_underflow 0
		.amdhsa_exception_fp_ieee_inexact 0
		.amdhsa_exception_int_div_zero 0
	.end_amdhsa_kernel
	.section	.text._ZN9rocsolver6v33100L18trti2_kernel_smallILi25EfPKPfEEv13rocblas_fill_17rocblas_diagonal_T1_iil,"axG",@progbits,_ZN9rocsolver6v33100L18trti2_kernel_smallILi25EfPKPfEEv13rocblas_fill_17rocblas_diagonal_T1_iil,comdat
.Lfunc_end88:
	.size	_ZN9rocsolver6v33100L18trti2_kernel_smallILi25EfPKPfEEv13rocblas_fill_17rocblas_diagonal_T1_iil, .Lfunc_end88-_ZN9rocsolver6v33100L18trti2_kernel_smallILi25EfPKPfEEv13rocblas_fill_17rocblas_diagonal_T1_iil
                                        ; -- End function
	.set _ZN9rocsolver6v33100L18trti2_kernel_smallILi25EfPKPfEEv13rocblas_fill_17rocblas_diagonal_T1_iil.num_vgpr, 134
	.set _ZN9rocsolver6v33100L18trti2_kernel_smallILi25EfPKPfEEv13rocblas_fill_17rocblas_diagonal_T1_iil.num_agpr, 0
	.set _ZN9rocsolver6v33100L18trti2_kernel_smallILi25EfPKPfEEv13rocblas_fill_17rocblas_diagonal_T1_iil.numbered_sgpr, 58
	.set _ZN9rocsolver6v33100L18trti2_kernel_smallILi25EfPKPfEEv13rocblas_fill_17rocblas_diagonal_T1_iil.num_named_barrier, 0
	.set _ZN9rocsolver6v33100L18trti2_kernel_smallILi25EfPKPfEEv13rocblas_fill_17rocblas_diagonal_T1_iil.private_seg_size, 0
	.set _ZN9rocsolver6v33100L18trti2_kernel_smallILi25EfPKPfEEv13rocblas_fill_17rocblas_diagonal_T1_iil.uses_vcc, 1
	.set _ZN9rocsolver6v33100L18trti2_kernel_smallILi25EfPKPfEEv13rocblas_fill_17rocblas_diagonal_T1_iil.uses_flat_scratch, 0
	.set _ZN9rocsolver6v33100L18trti2_kernel_smallILi25EfPKPfEEv13rocblas_fill_17rocblas_diagonal_T1_iil.has_dyn_sized_stack, 0
	.set _ZN9rocsolver6v33100L18trti2_kernel_smallILi25EfPKPfEEv13rocblas_fill_17rocblas_diagonal_T1_iil.has_recursion, 0
	.set _ZN9rocsolver6v33100L18trti2_kernel_smallILi25EfPKPfEEv13rocblas_fill_17rocblas_diagonal_T1_iil.has_indirect_call, 0
	.section	.AMDGPU.csdata,"",@progbits
; Kernel info:
; codeLenInByte = 36760
; TotalNumSgprs: 62
; NumVgprs: 134
; ScratchSize: 0
; MemoryBound: 0
; FloatMode: 240
; IeeeMode: 1
; LDSByteSize: 212 bytes/workgroup (compile time only)
; SGPRBlocks: 7
; VGPRBlocks: 33
; NumSGPRsForWavesPerEU: 62
; NumVGPRsForWavesPerEU: 134
; Occupancy: 1
; WaveLimiterHint : 1
; COMPUTE_PGM_RSRC2:SCRATCH_EN: 0
; COMPUTE_PGM_RSRC2:USER_SGPR: 6
; COMPUTE_PGM_RSRC2:TRAP_HANDLER: 0
; COMPUTE_PGM_RSRC2:TGID_X_EN: 1
; COMPUTE_PGM_RSRC2:TGID_Y_EN: 0
; COMPUTE_PGM_RSRC2:TGID_Z_EN: 0
; COMPUTE_PGM_RSRC2:TIDIG_COMP_CNT: 0
	.section	.text._ZN9rocsolver6v33100L18trti2_kernel_smallILi26EfPKPfEEv13rocblas_fill_17rocblas_diagonal_T1_iil,"axG",@progbits,_ZN9rocsolver6v33100L18trti2_kernel_smallILi26EfPKPfEEv13rocblas_fill_17rocblas_diagonal_T1_iil,comdat
	.globl	_ZN9rocsolver6v33100L18trti2_kernel_smallILi26EfPKPfEEv13rocblas_fill_17rocblas_diagonal_T1_iil ; -- Begin function _ZN9rocsolver6v33100L18trti2_kernel_smallILi26EfPKPfEEv13rocblas_fill_17rocblas_diagonal_T1_iil
	.p2align	8
	.type	_ZN9rocsolver6v33100L18trti2_kernel_smallILi26EfPKPfEEv13rocblas_fill_17rocblas_diagonal_T1_iil,@function
_ZN9rocsolver6v33100L18trti2_kernel_smallILi26EfPKPfEEv13rocblas_fill_17rocblas_diagonal_T1_iil: ; @_ZN9rocsolver6v33100L18trti2_kernel_smallILi26EfPKPfEEv13rocblas_fill_17rocblas_diagonal_T1_iil
; %bb.0:
	v_cmp_gt_u32_e32 vcc, 26, v0
	s_and_saveexec_b64 s[0:1], vcc
	s_cbranch_execz .LBB89_640
; %bb.1:
	s_load_dwordx2 s[0:1], s[4:5], 0x10
	s_load_dwordx4 s[56:59], s[4:5], 0x0
	s_ashr_i32 s7, s6, 31
	s_lshl_b64 s[2:3], s[6:7], 3
	v_lshlrev_b32_e32 v34, 2, v0
	s_waitcnt lgkmcnt(0)
	s_ashr_i32 s5, s0, 31
	s_add_u32 s2, s58, s2
	s_addc_u32 s3, s59, s3
	s_load_dwordx2 s[2:3], s[2:3], 0x0
	s_mov_b32 s4, s0
	s_lshl_b64 s[4:5], s[4:5], 2
	v_mov_b32_e32 v35, -1.0
	s_waitcnt lgkmcnt(0)
	s_add_u32 s0, s2, s4
	s_addc_u32 s2, s3, s5
	s_add_i32 s3, s1, s1
	v_add_u32_e32 v1, s3, v0
	v_ashrrev_i32_e32 v2, 31, v1
	v_lshlrev_b64 v[2:3], 2, v[1:2]
	v_add_u32_e32 v1, s1, v1
	v_mov_b32_e32 v4, s2
	v_add_co_u32_e32 v66, vcc, s0, v2
	v_ashrrev_i32_e32 v2, 31, v1
	v_addc_co_u32_e32 v67, vcc, v4, v3, vcc
	v_lshlrev_b64 v[2:3], 2, v[1:2]
	v_add_u32_e32 v1, s1, v1
	v_add_co_u32_e32 v68, vcc, s0, v2
	v_ashrrev_i32_e32 v2, 31, v1
	v_addc_co_u32_e32 v69, vcc, v4, v3, vcc
	v_lshlrev_b64 v[2:3], 2, v[1:2]
	v_add_u32_e32 v1, s1, v1
	;; [unrolled: 5-line block ×22, first 2 shown]
	v_add_co_u32_e32 v110, vcc, s0, v2
	v_ashrrev_i32_e32 v2, 31, v1
	v_lshlrev_b64 v[1:2], 2, v[1:2]
	v_addc_co_u32_e32 v111, vcc, v4, v3, vcc
	v_mov_b32_e32 v3, s2
	v_add_co_u32_e32 v112, vcc, s0, v1
	v_addc_co_u32_e32 v113, vcc, v3, v2, vcc
	v_mov_b32_e32 v1, s2
	v_add_co_u32_e32 v114, vcc, s0, v34
	s_ashr_i32 s3, s1, 31
	s_mov_b32 s2, s1
	v_addc_co_u32_e32 v115, vcc, 0, v1, vcc
	s_lshl_b64 s[0:1], s[2:3], 2
	v_mov_b32_e32 v1, s1
	v_add_co_u32_e32 v116, vcc, s0, v114
	v_addc_co_u32_e32 v117, vcc, v115, v1, vcc
	flat_load_dword v2, v[114:115]
	flat_load_dword v3, v[116:117]
	;; [unrolled: 1-line block ×26, first 2 shown]
	s_cmpk_lg_i32 s57, 0x84
	v_mov_b32_e32 v1, 0
	s_cselect_b64 s[54:55], -1, 0
	s_cmpk_eq_i32 s57, 0x84
	v_cmp_eq_u32_e64 s[0:1], 0, v0
	s_cbranch_scc1 .LBB89_3
; %bb.2:
	v_cmp_eq_u32_e64 s[2:3], 1, v0
	s_waitcnt vmcnt(0) lgkmcnt(0)
	v_cndmask_b32_e64 v28, v2, v3, s[2:3]
	v_cmp_eq_u32_e64 s[4:5], 2, v0
	v_cndmask_b32_e64 v28, v28, v4, s[4:5]
	v_cmp_eq_u32_e64 s[6:7], 3, v0
	;; [unrolled: 2-line block ×24, first 2 shown]
	v_cndmask_b32_e64 v28, v28, v27, s[52:53]
	v_div_scale_f32 v29, s[58:59], v28, v28, 1.0
	v_div_scale_f32 v30, vcc, 1.0, v28, 1.0
	v_rcp_f32_e32 v31, v29
	v_fma_f32 v32, -v29, v31, 1.0
	v_fmac_f32_e32 v31, v32, v31
	v_mul_f32_e32 v32, v30, v31
	v_fma_f32 v33, -v29, v32, v30
	v_fmac_f32_e32 v32, v33, v31
	v_fma_f32 v29, -v29, v32, v30
	v_div_fmas_f32 v29, v29, v31, v32
	v_div_fixup_f32 v28, v29, v28, 1.0
	v_cndmask_b32_e64 v27, v27, v28, s[52:53]
	v_cndmask_b32_e64 v26, v26, v28, s[50:51]
	v_cndmask_b32_e64 v25, v25, v28, s[48:49]
	v_cndmask_b32_e64 v24, v24, v28, s[46:47]
	v_cndmask_b32_e64 v23, v23, v28, s[44:45]
	v_cndmask_b32_e64 v22, v22, v28, s[42:43]
	v_cndmask_b32_e64 v21, v21, v28, s[40:41]
	v_cndmask_b32_e64 v20, v20, v28, s[38:39]
	v_cndmask_b32_e64 v19, v19, v28, s[36:37]
	v_cndmask_b32_e64 v18, v18, v28, s[34:35]
	v_cndmask_b32_e64 v17, v17, v28, s[30:31]
	v_cndmask_b32_e64 v16, v16, v28, s[28:29]
	v_cndmask_b32_e64 v15, v15, v28, s[26:27]
	v_cndmask_b32_e64 v14, v14, v28, s[24:25]
	v_cndmask_b32_e64 v13, v13, v28, s[22:23]
	v_cndmask_b32_e64 v12, v12, v28, s[20:21]
	v_cndmask_b32_e64 v11, v11, v28, s[18:19]
	v_cndmask_b32_e64 v10, v10, v28, s[16:17]
	v_cndmask_b32_e64 v9, v9, v28, s[14:15]
	v_cndmask_b32_e64 v8, v8, v28, s[12:13]
	v_cndmask_b32_e64 v7, v7, v28, s[10:11]
	v_cndmask_b32_e64 v6, v6, v28, s[8:9]
	v_cndmask_b32_e64 v5, v5, v28, s[6:7]
	v_cndmask_b32_e64 v4, v4, v28, s[4:5]
	v_cndmask_b32_e64 v3, v3, v28, s[2:3]
	v_cndmask_b32_e64 v2, v2, v28, s[0:1]
	v_xor_b32_e32 v35, 0x80000000, v28
.LBB89_3:
	s_cmpk_eq_i32 s56, 0x79
	v_add_u32_e32 v118, 0x70, v34
	ds_write_b32 v34, v35
	s_cbranch_scc1 .LBB89_7
; %bb.4:
	s_waitcnt vmcnt(0) lgkmcnt(0)
	v_mov_b32_e32 v65, v33
	v_mov_b32_e32 v64, v32
	;; [unrolled: 1-line block ×32, first 2 shown]
	v_cmp_eq_u32_e64 s[0:1], 25, v0
	ds_write_b32 v118, v26
	s_waitcnt lgkmcnt(0)
	; wave barrier
	s_and_saveexec_b64 s[2:3], s[0:1]
	s_cbranch_execz .LBB89_11
; %bb.5:
	s_and_b64 vcc, exec, s[54:55]
	s_cbranch_vccz .LBB89_8
; %bb.6:
	v_cmp_eq_u32_e32 vcc, 1, v0
	v_cndmask_b32_e32 v34, v2, v3, vcc
	v_cmp_eq_u32_e32 vcc, 2, v0
	v_cndmask_b32_e32 v34, v34, v4, vcc
	;; [unrolled: 2-line block ×21, first 2 shown]
	v_cmp_eq_u32_e32 vcc, 22, v0
	ds_read_b32 v35, v118
	v_cndmask_b32_e32 v34, v34, v24, vcc
	v_cmp_eq_u32_e32 vcc, 23, v0
	v_cndmask_b32_e32 v34, v34, v25, vcc
	v_cmp_eq_u32_e32 vcc, 24, v0
	;; [unrolled: 2-line block ×3, first 2 shown]
	v_cndmask_b32_e32 v34, v34, v27, vcc
	s_waitcnt lgkmcnt(0)
	v_mul_f32_e32 v38, v34, v35
	s_cbranch_execz .LBB89_9
	s_branch .LBB89_10
.LBB89_7:
                                        ; implicit-def: $vgpr34_vgpr35_vgpr36_vgpr37_vgpr38_vgpr39_vgpr40_vgpr41_vgpr42_vgpr43_vgpr44_vgpr45_vgpr46_vgpr47_vgpr48_vgpr49_vgpr50_vgpr51_vgpr52_vgpr53_vgpr54_vgpr55_vgpr56_vgpr57_vgpr58_vgpr59_vgpr60_vgpr61_vgpr62_vgpr63_vgpr64_vgpr65
	s_cbranch_execnz .LBB89_386
	s_branch .LBB89_639
.LBB89_8:
                                        ; implicit-def: $vgpr38
.LBB89_9:
	ds_read_b32 v38, v118
.LBB89_10:
	v_mov_b32_e32 v34, 0
	ds_read_b32 v39, v34 offset:96
	v_mov_b32_e32 v34, v2
	v_mov_b32_e32 v35, v3
	v_mov_b32_e32 v36, v4
	v_mov_b32_e32 v37, v5
	s_waitcnt lgkmcnt(0)
	v_mul_f32_e32 v58, v38, v39
	v_mov_b32_e32 v38, v6
	v_mov_b32_e32 v39, v7
	;; [unrolled: 1-line block ×21, first 2 shown]
.LBB89_11:
	s_or_b64 exec, exec, s[2:3]
	v_cmp_lt_u32_e64 s[2:3], 23, v0
	ds_write_b32 v118, v57
	s_waitcnt lgkmcnt(0)
	; wave barrier
	s_and_saveexec_b64 s[4:5], s[2:3]
	s_cbranch_execz .LBB89_17
; %bb.12:
	s_andn2_b64 vcc, exec, s[54:55]
	s_cbranch_vccnz .LBB89_14
; %bb.13:
	v_cmp_eq_u32_e32 vcc, 1, v0
	v_cndmask_b32_e32 v60, v34, v35, vcc
	v_cmp_eq_u32_e32 vcc, 2, v0
	v_cndmask_b32_e32 v60, v60, v36, vcc
	v_cmp_eq_u32_e32 vcc, 3, v0
	v_cndmask_b32_e32 v60, v60, v37, vcc
	v_cmp_eq_u32_e32 vcc, 4, v0
	v_cndmask_b32_e32 v60, v60, v38, vcc
	v_cmp_eq_u32_e32 vcc, 5, v0
	v_cndmask_b32_e32 v60, v60, v39, vcc
	v_cmp_eq_u32_e32 vcc, 6, v0
	v_cndmask_b32_e32 v60, v60, v40, vcc
	v_cmp_eq_u32_e32 vcc, 7, v0
	v_cndmask_b32_e32 v60, v60, v41, vcc
	v_cmp_eq_u32_e32 vcc, 8, v0
	v_cndmask_b32_e32 v60, v60, v42, vcc
	v_cmp_eq_u32_e32 vcc, 9, v0
	v_cndmask_b32_e32 v60, v60, v43, vcc
	v_cmp_eq_u32_e32 vcc, 10, v0
	v_cndmask_b32_e32 v60, v60, v44, vcc
	v_cmp_eq_u32_e32 vcc, 11, v0
	v_cndmask_b32_e32 v60, v60, v45, vcc
	v_cmp_eq_u32_e32 vcc, 12, v0
	v_cndmask_b32_e32 v60, v60, v46, vcc
	v_cmp_eq_u32_e32 vcc, 13, v0
	v_cndmask_b32_e32 v60, v60, v47, vcc
	v_cmp_eq_u32_e32 vcc, 14, v0
	v_cndmask_b32_e32 v60, v60, v48, vcc
	v_cmp_eq_u32_e32 vcc, 15, v0
	v_cndmask_b32_e32 v60, v60, v49, vcc
	v_cmp_eq_u32_e32 vcc, 16, v0
	v_cndmask_b32_e32 v60, v60, v50, vcc
	v_cmp_eq_u32_e32 vcc, 17, v0
	v_cndmask_b32_e32 v60, v60, v51, vcc
	v_cmp_eq_u32_e32 vcc, 18, v0
	v_cndmask_b32_e32 v60, v60, v52, vcc
	v_cmp_eq_u32_e32 vcc, 19, v0
	v_cndmask_b32_e32 v60, v60, v53, vcc
	v_cmp_eq_u32_e32 vcc, 20, v0
	v_cndmask_b32_e32 v60, v60, v54, vcc
	v_cmp_eq_u32_e32 vcc, 21, v0
	v_cndmask_b32_e32 v60, v60, v55, vcc
	v_cmp_eq_u32_e32 vcc, 22, v0
	v_cndmask_b32_e32 v60, v60, v56, vcc
	v_cmp_eq_u32_e32 vcc, 23, v0
	v_cndmask_b32_e32 v57, v60, v57, vcc
	ds_read_b32 v60, v118
	v_cmp_eq_u32_e32 vcc, 24, v0
	v_cndmask_b32_e32 v57, v57, v58, vcc
	v_cmp_eq_u32_e32 vcc, 25, v0
	v_cndmask_b32_e32 v57, v57, v59, vcc
	s_waitcnt lgkmcnt(0)
	v_mul_f32_e32 v57, v57, v60
	s_cbranch_execz .LBB89_15
	s_branch .LBB89_16
.LBB89_14:
                                        ; implicit-def: $vgpr57
.LBB89_15:
	ds_read_b32 v57, v118
.LBB89_16:
	v_mov_b32_e32 v60, 0
	ds_read2_b32 v[60:61], v60 offset0:23 offset1:52
	s_waitcnt lgkmcnt(0)
	v_fma_f32 v61, v58, v61, v57
	v_cndmask_b32_e64 v57, v57, v61, s[0:1]
	v_mul_f32_e32 v57, v57, v60
.LBB89_17:
	s_or_b64 exec, exec, s[4:5]
	v_cmp_lt_u32_e64 s[0:1], 22, v0
	ds_write_b32 v118, v56
	s_waitcnt lgkmcnt(0)
	; wave barrier
	s_and_saveexec_b64 s[4:5], s[0:1]
	s_cbranch_execz .LBB89_33
; %bb.18:
	s_andn2_b64 vcc, exec, s[54:55]
	s_cbranch_vccnz .LBB89_20
; %bb.19:
	v_cmp_eq_u32_e32 vcc, 1, v0
	v_cndmask_b32_e32 v119, v34, v35, vcc
	v_cmp_eq_u32_e32 vcc, 2, v0
	v_cndmask_b32_e32 v119, v119, v36, vcc
	;; [unrolled: 2-line block ×21, first 2 shown]
	v_cmp_eq_u32_e32 vcc, 22, v0
	ds_read_b32 v120, v118
	v_cndmask_b32_e32 v119, v119, v56, vcc
	v_cmp_eq_u32_e32 vcc, 23, v0
	v_cndmask_b32_e32 v119, v119, v57, vcc
	v_cmp_eq_u32_e32 vcc, 24, v0
	;; [unrolled: 2-line block ×3, first 2 shown]
	v_cndmask_b32_e32 v119, v119, v59, vcc
	s_waitcnt lgkmcnt(0)
	v_mul_f32_e32 v119, v119, v120
	s_cbranch_execz .LBB89_21
	s_branch .LBB89_22
.LBB89_20:
                                        ; implicit-def: $vgpr119
.LBB89_21:
	ds_read_b32 v119, v118
.LBB89_22:
	s_and_saveexec_b64 s[6:7], s[2:3]
	s_cbranch_execz .LBB89_32
; %bb.23:
	v_subrev_u32_e32 v122, 24, v0
	v_mov_b32_e32 v120, 23
	v_subrev_u32_e32 v121, 23, v0
	v_cmp_lt_u32_e32 vcc, 6, v122
	s_and_saveexec_b64 s[2:3], vcc
	s_cbranch_execz .LBB89_27
; %bb.24:
	v_and_b32_e32 v120, -8, v121
	v_sub_u32_e32 v122, 0, v120
	s_mov_b64 s[8:9], 30
	s_movk_i32 s12, 0xcc
	s_mov_b64 s[10:11], 0
.LBB89_25:                              ; =>This Inner Loop Header: Depth=1
	s_add_i32 s13, s8, -7
	v_mov_b32_e32 v125, s12
	s_set_gpr_idx_on s13, gpr_idx(SRC0)
	v_mov_b32_e32 v120, v34
	s_set_gpr_idx_off
	ds_read2_b32 v[123:124], v125 offset1:1
	s_add_i32 s13, s8, -6
	s_waitcnt lgkmcnt(0)
	v_fmac_f32_e32 v119, v120, v123
	s_set_gpr_idx_on s13, gpr_idx(SRC0)
	v_mov_b32_e32 v120, v34
	s_set_gpr_idx_off
	s_add_i32 s13, s8, -5
	v_fmac_f32_e32 v119, v120, v124
	s_set_gpr_idx_on s13, gpr_idx(SRC0)
	v_mov_b32_e32 v120, v34
	s_set_gpr_idx_off
	ds_read2_b32 v[123:124], v125 offset0:2 offset1:3
	s_add_i32 s13, s8, -4
	s_waitcnt lgkmcnt(0)
	v_fmac_f32_e32 v119, v120, v123
	s_set_gpr_idx_on s13, gpr_idx(SRC0)
	v_mov_b32_e32 v120, v34
	s_set_gpr_idx_off
	s_add_i32 s13, s8, -3
	v_fmac_f32_e32 v119, v120, v124
	s_set_gpr_idx_on s13, gpr_idx(SRC0)
	v_mov_b32_e32 v120, v34
	s_set_gpr_idx_off
	ds_read2_b32 v[123:124], v125 offset0:4 offset1:5
	;; [unrolled: 12-line block ×3, first 2 shown]
	s_waitcnt lgkmcnt(0)
	v_fmac_f32_e32 v119, v120, v123
	s_set_gpr_idx_on s8, gpr_idx(SRC0)
	v_mov_b32_e32 v120, v34
	s_set_gpr_idx_off
	s_add_u32 s8, s8, 8
	v_fmac_f32_e32 v119, v120, v124
	v_add_u32_e32 v120, s8, v122
	s_addc_u32 s9, s9, 0
	s_add_i32 s12, s12, 32
	v_cmp_eq_u32_e32 vcc, 30, v120
	s_add_i32 s13, s8, -7
	s_or_b64 s[10:11], vcc, s[10:11]
	v_mov_b32_e32 v120, s13
	s_andn2_b64 exec, exec, s[10:11]
	s_cbranch_execnz .LBB89_25
; %bb.26:
	s_or_b64 exec, exec, s[10:11]
.LBB89_27:
	s_or_b64 exec, exec, s[2:3]
	v_and_b32_e32 v60, 7, v121
	v_cmp_ne_u32_e32 vcc, 0, v60
	s_and_saveexec_b64 s[8:9], vcc
	s_cbranch_execz .LBB89_31
; %bb.28:
	v_mov_b32_e32 v61, 0x70
	v_lshl_add_u32 v61, v120, 2, v61
	v_mov_b32_e32 v62, 0
	s_mov_b64 s[10:11], 0
.LBB89_29:                              ; =>This Inner Loop Header: Depth=1
	v_cmp_eq_u32_e32 vcc, 1, v120
	v_cndmask_b32_e32 v63, v34, v35, vcc
	v_add_u32_e32 v60, -1, v60
	v_cmp_eq_u32_e32 vcc, 2, v120
	v_cndmask_b32_e32 v63, v63, v36, vcc
	v_cmp_eq_u32_e32 vcc, 0, v60
	v_cmp_eq_u32_e64 s[2:3], 3, v120
	v_cndmask_b32_e64 v63, v63, v37, s[2:3]
	s_or_b64 s[10:11], vcc, s[10:11]
	v_cmp_eq_u32_e32 vcc, 4, v120
	v_cndmask_b32_e32 v63, v63, v38, vcc
	v_cmp_eq_u32_e32 vcc, 5, v120
	v_cndmask_b32_e32 v63, v63, v39, vcc
	;; [unrolled: 2-line block ×17, first 2 shown]
	v_cmp_eq_u32_e32 vcc, 21, v120
	ds_read_b32 v64, v61
	v_cndmask_b32_e32 v63, v63, v55, vcc
	v_cmp_eq_u32_e32 vcc, 22, v120
	v_cndmask_b32_e32 v63, v63, v56, vcc
	v_cmp_eq_u32_e32 vcc, 23, v120
	;; [unrolled: 2-line block ×4, first 2 shown]
	v_add_co_u32_e64 v120, s[2:3], 1, v120
	v_cndmask_b32_e32 v63, v63, v59, vcc
	v_add_u32_e32 v61, 4, v61
	v_addc_co_u32_e64 v62, s[2:3], 0, v62, s[2:3]
	s_waitcnt lgkmcnt(0)
	v_fmac_f32_e32 v119, v63, v64
	s_andn2_b64 exec, exec, s[10:11]
	s_cbranch_execnz .LBB89_29
; %bb.30:
	s_or_b64 exec, exec, s[10:11]
.LBB89_31:
	s_or_b64 exec, exec, s[8:9]
.LBB89_32:
	s_or_b64 exec, exec, s[6:7]
	v_mov_b32_e32 v56, 0
	ds_read_b32 v56, v56 offset:88
	s_waitcnt lgkmcnt(0)
	v_mul_f32_e32 v56, v119, v56
.LBB89_33:
	s_or_b64 exec, exec, s[4:5]
	v_cmp_lt_u32_e64 s[2:3], 21, v0
	ds_write_b32 v118, v55
	s_waitcnt lgkmcnt(0)
	; wave barrier
	s_and_saveexec_b64 s[4:5], s[2:3]
	s_cbranch_execz .LBB89_49
; %bb.34:
	s_andn2_b64 vcc, exec, s[54:55]
	s_cbranch_vccnz .LBB89_36
; %bb.35:
	v_cmp_eq_u32_e32 vcc, 1, v0
	v_cndmask_b32_e32 v119, v34, v35, vcc
	v_cmp_eq_u32_e32 vcc, 2, v0
	v_cndmask_b32_e32 v119, v119, v36, vcc
	;; [unrolled: 2-line block ×21, first 2 shown]
	v_cmp_eq_u32_e32 vcc, 22, v0
	ds_read_b32 v120, v118
	v_cndmask_b32_e32 v119, v119, v56, vcc
	v_cmp_eq_u32_e32 vcc, 23, v0
	v_cndmask_b32_e32 v119, v119, v57, vcc
	v_cmp_eq_u32_e32 vcc, 24, v0
	;; [unrolled: 2-line block ×3, first 2 shown]
	v_cndmask_b32_e32 v119, v119, v59, vcc
	s_waitcnt lgkmcnt(0)
	v_mul_f32_e32 v119, v119, v120
	s_cbranch_execz .LBB89_37
	s_branch .LBB89_38
.LBB89_36:
                                        ; implicit-def: $vgpr119
.LBB89_37:
	ds_read_b32 v119, v118
.LBB89_38:
	s_and_saveexec_b64 s[6:7], s[0:1]
	s_cbranch_execz .LBB89_48
; %bb.39:
	v_subrev_u32_e32 v122, 23, v0
	v_mov_b32_e32 v120, 22
	v_subrev_u32_e32 v121, 22, v0
	v_cmp_lt_u32_e32 vcc, 6, v122
	s_and_saveexec_b64 s[0:1], vcc
	s_cbranch_execz .LBB89_43
; %bb.40:
	v_and_b32_e32 v120, -8, v121
	v_sub_u32_e32 v122, 0, v120
	s_mov_b64 s[8:9], 29
	s_movk_i32 s12, 0xc8
	s_mov_b64 s[10:11], 0
.LBB89_41:                              ; =>This Inner Loop Header: Depth=1
	s_add_i32 s13, s8, -7
	v_mov_b32_e32 v127, s12
	s_set_gpr_idx_on s13, gpr_idx(SRC0)
	v_mov_b32_e32 v120, v34
	s_set_gpr_idx_off
	ds_read2_b64 v[123:126], v127 offset1:1
	s_add_i32 s13, s8, -6
	s_waitcnt lgkmcnt(0)
	v_fmac_f32_e32 v119, v120, v123
	s_set_gpr_idx_on s13, gpr_idx(SRC0)
	v_mov_b32_e32 v120, v34
	s_set_gpr_idx_off
	s_add_i32 s13, s8, -5
	v_fmac_f32_e32 v119, v120, v124
	s_set_gpr_idx_on s13, gpr_idx(SRC0)
	v_mov_b32_e32 v120, v34
	s_set_gpr_idx_off
	s_add_i32 s13, s8, -4
	;; [unrolled: 5-line block ×3, first 2 shown]
	v_fmac_f32_e32 v119, v120, v126
	s_set_gpr_idx_on s13, gpr_idx(SRC0)
	v_mov_b32_e32 v120, v34
	s_set_gpr_idx_off
	ds_read2_b64 v[123:126], v127 offset0:2 offset1:3
	s_add_i32 s13, s8, -2
	s_waitcnt lgkmcnt(0)
	v_fmac_f32_e32 v119, v120, v123
	s_set_gpr_idx_on s13, gpr_idx(SRC0)
	v_mov_b32_e32 v120, v34
	s_set_gpr_idx_off
	s_add_i32 s13, s8, -1
	v_fmac_f32_e32 v119, v120, v124
	s_set_gpr_idx_on s13, gpr_idx(SRC0)
	v_mov_b32_e32 v120, v34
	s_set_gpr_idx_off
	v_fmac_f32_e32 v119, v120, v125
	s_set_gpr_idx_on s8, gpr_idx(SRC0)
	v_mov_b32_e32 v120, v34
	s_set_gpr_idx_off
	s_add_u32 s8, s8, 8
	v_fmac_f32_e32 v119, v120, v126
	v_add_u32_e32 v120, s8, v122
	s_addc_u32 s9, s9, 0
	s_add_i32 s12, s12, 32
	v_cmp_eq_u32_e32 vcc, 29, v120
	s_add_i32 s13, s8, -7
	s_or_b64 s[10:11], vcc, s[10:11]
	v_mov_b32_e32 v120, s13
	s_andn2_b64 exec, exec, s[10:11]
	s_cbranch_execnz .LBB89_41
; %bb.42:
	s_or_b64 exec, exec, s[10:11]
.LBB89_43:
	s_or_b64 exec, exec, s[0:1]
	v_and_b32_e32 v60, 7, v121
	v_cmp_ne_u32_e32 vcc, 0, v60
	s_and_saveexec_b64 s[8:9], vcc
	s_cbranch_execz .LBB89_47
; %bb.44:
	v_mov_b32_e32 v61, 0x70
	v_lshl_add_u32 v61, v120, 2, v61
	v_mov_b32_e32 v62, 0
	s_mov_b64 s[10:11], 0
.LBB89_45:                              ; =>This Inner Loop Header: Depth=1
	v_cmp_eq_u32_e32 vcc, 1, v120
	v_cndmask_b32_e32 v63, v34, v35, vcc
	v_add_u32_e32 v60, -1, v60
	v_cmp_eq_u32_e32 vcc, 2, v120
	v_cndmask_b32_e32 v63, v63, v36, vcc
	v_cmp_eq_u32_e32 vcc, 0, v60
	v_cmp_eq_u32_e64 s[0:1], 3, v120
	v_cndmask_b32_e64 v63, v63, v37, s[0:1]
	s_or_b64 s[10:11], vcc, s[10:11]
	v_cmp_eq_u32_e32 vcc, 4, v120
	v_cndmask_b32_e32 v63, v63, v38, vcc
	v_cmp_eq_u32_e32 vcc, 5, v120
	v_cndmask_b32_e32 v63, v63, v39, vcc
	;; [unrolled: 2-line block ×17, first 2 shown]
	v_cmp_eq_u32_e32 vcc, 21, v120
	ds_read_b32 v64, v61
	v_cndmask_b32_e32 v63, v63, v55, vcc
	v_cmp_eq_u32_e32 vcc, 22, v120
	v_cndmask_b32_e32 v63, v63, v56, vcc
	v_cmp_eq_u32_e32 vcc, 23, v120
	;; [unrolled: 2-line block ×4, first 2 shown]
	v_add_co_u32_e64 v120, s[0:1], 1, v120
	v_cndmask_b32_e32 v63, v63, v59, vcc
	v_add_u32_e32 v61, 4, v61
	v_addc_co_u32_e64 v62, s[0:1], 0, v62, s[0:1]
	s_waitcnt lgkmcnt(0)
	v_fmac_f32_e32 v119, v63, v64
	s_andn2_b64 exec, exec, s[10:11]
	s_cbranch_execnz .LBB89_45
; %bb.46:
	s_or_b64 exec, exec, s[10:11]
.LBB89_47:
	s_or_b64 exec, exec, s[8:9]
.LBB89_48:
	s_or_b64 exec, exec, s[6:7]
	v_mov_b32_e32 v55, 0
	ds_read_b32 v55, v55 offset:84
	s_waitcnt lgkmcnt(0)
	v_mul_f32_e32 v55, v119, v55
.LBB89_49:
	s_or_b64 exec, exec, s[4:5]
	v_cmp_lt_u32_e64 s[0:1], 20, v0
	ds_write_b32 v118, v54
	s_waitcnt lgkmcnt(0)
	; wave barrier
	s_and_saveexec_b64 s[4:5], s[0:1]
	s_cbranch_execz .LBB89_65
; %bb.50:
	s_andn2_b64 vcc, exec, s[54:55]
	s_cbranch_vccnz .LBB89_52
; %bb.51:
	v_cmp_eq_u32_e32 vcc, 1, v0
	v_cndmask_b32_e32 v119, v34, v35, vcc
	v_cmp_eq_u32_e32 vcc, 2, v0
	v_cndmask_b32_e32 v119, v119, v36, vcc
	;; [unrolled: 2-line block ×21, first 2 shown]
	v_cmp_eq_u32_e32 vcc, 22, v0
	ds_read_b32 v120, v118
	v_cndmask_b32_e32 v119, v119, v56, vcc
	v_cmp_eq_u32_e32 vcc, 23, v0
	v_cndmask_b32_e32 v119, v119, v57, vcc
	v_cmp_eq_u32_e32 vcc, 24, v0
	;; [unrolled: 2-line block ×3, first 2 shown]
	v_cndmask_b32_e32 v119, v119, v59, vcc
	s_waitcnt lgkmcnt(0)
	v_mul_f32_e32 v119, v119, v120
	s_cbranch_execz .LBB89_53
	s_branch .LBB89_54
.LBB89_52:
                                        ; implicit-def: $vgpr119
.LBB89_53:
	ds_read_b32 v119, v118
.LBB89_54:
	s_and_saveexec_b64 s[6:7], s[2:3]
	s_cbranch_execz .LBB89_64
; %bb.55:
	v_subrev_u32_e32 v122, 22, v0
	v_mov_b32_e32 v120, 21
	v_subrev_u32_e32 v121, 21, v0
	v_cmp_lt_u32_e32 vcc, 6, v122
	s_and_saveexec_b64 s[2:3], vcc
	s_cbranch_execz .LBB89_59
; %bb.56:
	v_and_b32_e32 v120, -8, v121
	v_sub_u32_e32 v122, 0, v120
	s_mov_b64 s[8:9], 28
	s_movk_i32 s12, 0xc4
	s_mov_b64 s[10:11], 0
.LBB89_57:                              ; =>This Inner Loop Header: Depth=1
	s_add_i32 s13, s8, -7
	v_mov_b32_e32 v125, s12
	s_set_gpr_idx_on s13, gpr_idx(SRC0)
	v_mov_b32_e32 v120, v34
	s_set_gpr_idx_off
	ds_read2_b32 v[123:124], v125 offset1:1
	s_add_i32 s13, s8, -6
	s_waitcnt lgkmcnt(0)
	v_fmac_f32_e32 v119, v120, v123
	s_set_gpr_idx_on s13, gpr_idx(SRC0)
	v_mov_b32_e32 v120, v34
	s_set_gpr_idx_off
	s_add_i32 s13, s8, -5
	v_fmac_f32_e32 v119, v120, v124
	s_set_gpr_idx_on s13, gpr_idx(SRC0)
	v_mov_b32_e32 v120, v34
	s_set_gpr_idx_off
	ds_read2_b32 v[123:124], v125 offset0:2 offset1:3
	s_add_i32 s13, s8, -4
	s_waitcnt lgkmcnt(0)
	v_fmac_f32_e32 v119, v120, v123
	s_set_gpr_idx_on s13, gpr_idx(SRC0)
	v_mov_b32_e32 v120, v34
	s_set_gpr_idx_off
	s_add_i32 s13, s8, -3
	v_fmac_f32_e32 v119, v120, v124
	s_set_gpr_idx_on s13, gpr_idx(SRC0)
	v_mov_b32_e32 v120, v34
	s_set_gpr_idx_off
	ds_read2_b32 v[123:124], v125 offset0:4 offset1:5
	;; [unrolled: 12-line block ×3, first 2 shown]
	s_waitcnt lgkmcnt(0)
	v_fmac_f32_e32 v119, v120, v123
	s_set_gpr_idx_on s8, gpr_idx(SRC0)
	v_mov_b32_e32 v120, v34
	s_set_gpr_idx_off
	s_add_u32 s8, s8, 8
	v_fmac_f32_e32 v119, v120, v124
	v_add_u32_e32 v120, s8, v122
	s_addc_u32 s9, s9, 0
	s_add_i32 s12, s12, 32
	v_cmp_eq_u32_e32 vcc, 28, v120
	s_add_i32 s13, s8, -7
	s_or_b64 s[10:11], vcc, s[10:11]
	v_mov_b32_e32 v120, s13
	s_andn2_b64 exec, exec, s[10:11]
	s_cbranch_execnz .LBB89_57
; %bb.58:
	s_or_b64 exec, exec, s[10:11]
.LBB89_59:
	s_or_b64 exec, exec, s[2:3]
	v_and_b32_e32 v60, 7, v121
	v_cmp_ne_u32_e32 vcc, 0, v60
	s_and_saveexec_b64 s[8:9], vcc
	s_cbranch_execz .LBB89_63
; %bb.60:
	v_mov_b32_e32 v61, 0x70
	v_lshl_add_u32 v61, v120, 2, v61
	v_mov_b32_e32 v62, 0
	s_mov_b64 s[10:11], 0
.LBB89_61:                              ; =>This Inner Loop Header: Depth=1
	v_cmp_eq_u32_e32 vcc, 1, v120
	v_cndmask_b32_e32 v63, v34, v35, vcc
	v_add_u32_e32 v60, -1, v60
	v_cmp_eq_u32_e32 vcc, 2, v120
	v_cndmask_b32_e32 v63, v63, v36, vcc
	v_cmp_eq_u32_e32 vcc, 0, v60
	v_cmp_eq_u32_e64 s[2:3], 3, v120
	v_cndmask_b32_e64 v63, v63, v37, s[2:3]
	s_or_b64 s[10:11], vcc, s[10:11]
	v_cmp_eq_u32_e32 vcc, 4, v120
	v_cndmask_b32_e32 v63, v63, v38, vcc
	v_cmp_eq_u32_e32 vcc, 5, v120
	v_cndmask_b32_e32 v63, v63, v39, vcc
	v_cmp_eq_u32_e32 vcc, 6, v120
	v_cndmask_b32_e32 v63, v63, v40, vcc
	v_cmp_eq_u32_e32 vcc, 7, v120
	v_cndmask_b32_e32 v63, v63, v41, vcc
	v_cmp_eq_u32_e32 vcc, 8, v120
	v_cndmask_b32_e32 v63, v63, v42, vcc
	v_cmp_eq_u32_e32 vcc, 9, v120
	v_cndmask_b32_e32 v63, v63, v43, vcc
	v_cmp_eq_u32_e32 vcc, 10, v120
	v_cndmask_b32_e32 v63, v63, v44, vcc
	v_cmp_eq_u32_e32 vcc, 11, v120
	v_cndmask_b32_e32 v63, v63, v45, vcc
	v_cmp_eq_u32_e32 vcc, 12, v120
	v_cndmask_b32_e32 v63, v63, v46, vcc
	v_cmp_eq_u32_e32 vcc, 13, v120
	v_cndmask_b32_e32 v63, v63, v47, vcc
	v_cmp_eq_u32_e32 vcc, 14, v120
	v_cndmask_b32_e32 v63, v63, v48, vcc
	v_cmp_eq_u32_e32 vcc, 15, v120
	v_cndmask_b32_e32 v63, v63, v49, vcc
	v_cmp_eq_u32_e32 vcc, 16, v120
	v_cndmask_b32_e32 v63, v63, v50, vcc
	v_cmp_eq_u32_e32 vcc, 17, v120
	v_cndmask_b32_e32 v63, v63, v51, vcc
	v_cmp_eq_u32_e32 vcc, 18, v120
	v_cndmask_b32_e32 v63, v63, v52, vcc
	v_cmp_eq_u32_e32 vcc, 19, v120
	v_cndmask_b32_e32 v63, v63, v53, vcc
	v_cmp_eq_u32_e32 vcc, 20, v120
	v_cndmask_b32_e32 v63, v63, v54, vcc
	v_cmp_eq_u32_e32 vcc, 21, v120
	ds_read_b32 v64, v61
	v_cndmask_b32_e32 v63, v63, v55, vcc
	v_cmp_eq_u32_e32 vcc, 22, v120
	v_cndmask_b32_e32 v63, v63, v56, vcc
	v_cmp_eq_u32_e32 vcc, 23, v120
	;; [unrolled: 2-line block ×4, first 2 shown]
	v_add_co_u32_e64 v120, s[2:3], 1, v120
	v_cndmask_b32_e32 v63, v63, v59, vcc
	v_add_u32_e32 v61, 4, v61
	v_addc_co_u32_e64 v62, s[2:3], 0, v62, s[2:3]
	s_waitcnt lgkmcnt(0)
	v_fmac_f32_e32 v119, v63, v64
	s_andn2_b64 exec, exec, s[10:11]
	s_cbranch_execnz .LBB89_61
; %bb.62:
	s_or_b64 exec, exec, s[10:11]
.LBB89_63:
	s_or_b64 exec, exec, s[8:9]
.LBB89_64:
	s_or_b64 exec, exec, s[6:7]
	v_mov_b32_e32 v54, 0
	ds_read_b32 v54, v54 offset:80
	s_waitcnt lgkmcnt(0)
	v_mul_f32_e32 v54, v119, v54
.LBB89_65:
	s_or_b64 exec, exec, s[4:5]
	v_cmp_lt_u32_e64 s[2:3], 19, v0
	ds_write_b32 v118, v53
	s_waitcnt lgkmcnt(0)
	; wave barrier
	s_and_saveexec_b64 s[4:5], s[2:3]
	s_cbranch_execz .LBB89_81
; %bb.66:
	s_andn2_b64 vcc, exec, s[54:55]
	s_cbranch_vccnz .LBB89_68
; %bb.67:
	v_cmp_eq_u32_e32 vcc, 1, v0
	v_cndmask_b32_e32 v119, v34, v35, vcc
	v_cmp_eq_u32_e32 vcc, 2, v0
	v_cndmask_b32_e32 v119, v119, v36, vcc
	;; [unrolled: 2-line block ×21, first 2 shown]
	v_cmp_eq_u32_e32 vcc, 22, v0
	ds_read_b32 v120, v118
	v_cndmask_b32_e32 v119, v119, v56, vcc
	v_cmp_eq_u32_e32 vcc, 23, v0
	v_cndmask_b32_e32 v119, v119, v57, vcc
	v_cmp_eq_u32_e32 vcc, 24, v0
	;; [unrolled: 2-line block ×3, first 2 shown]
	v_cndmask_b32_e32 v119, v119, v59, vcc
	s_waitcnt lgkmcnt(0)
	v_mul_f32_e32 v119, v119, v120
	s_cbranch_execz .LBB89_69
	s_branch .LBB89_70
.LBB89_68:
                                        ; implicit-def: $vgpr119
.LBB89_69:
	ds_read_b32 v119, v118
.LBB89_70:
	s_and_saveexec_b64 s[6:7], s[0:1]
	s_cbranch_execz .LBB89_80
; %bb.71:
	v_subrev_u32_e32 v122, 21, v0
	v_mov_b32_e32 v120, 20
	v_subrev_u32_e32 v121, 20, v0
	v_cmp_lt_u32_e32 vcc, 6, v122
	s_and_saveexec_b64 s[0:1], vcc
	s_cbranch_execz .LBB89_75
; %bb.72:
	v_and_b32_e32 v120, -8, v121
	v_sub_u32_e32 v122, 0, v120
	s_mov_b64 s[8:9], 27
	s_movk_i32 s12, 0xc0
	s_mov_b64 s[10:11], 0
.LBB89_73:                              ; =>This Inner Loop Header: Depth=1
	s_add_i32 s13, s8, -7
	v_mov_b32_e32 v120, s12
	s_add_i32 s14, s8, -6
	s_set_gpr_idx_on s13, gpr_idx(SRC0)
	v_mov_b32_e32 v131, v34
	s_set_gpr_idx_off
	s_add_i32 s15, s8, -5
	ds_read_b128 v[123:126], v120
	ds_read_b128 v[127:130], v120 offset:16
	s_set_gpr_idx_on s14, gpr_idx(SRC0)
	v_mov_b32_e32 v120, v34
	s_set_gpr_idx_off
	s_add_i32 s16, s8, -4
	s_set_gpr_idx_on s15, gpr_idx(SRC0)
	v_mov_b32_e32 v132, v34
	s_set_gpr_idx_off
	s_add_i32 s17, s8, -3
	;; [unrolled: 4-line block ×4, first 2 shown]
	s_waitcnt lgkmcnt(1)
	v_fmac_f32_e32 v119, v131, v123
	s_set_gpr_idx_on s18, gpr_idx(SRC0)
	v_mov_b32_e32 v123, v34
	s_set_gpr_idx_off
	v_fmac_f32_e32 v119, v120, v124
	s_set_gpr_idx_on s19, gpr_idx(SRC0)
	v_mov_b32_e32 v124, v34
	s_set_gpr_idx_off
	;; [unrolled: 4-line block ×3, first 2 shown]
	v_fmac_f32_e32 v119, v133, v126
	s_add_u32 s8, s8, 8
	s_waitcnt lgkmcnt(0)
	v_fmac_f32_e32 v119, v134, v127
	v_add_u32_e32 v120, s8, v122
	v_fmac_f32_e32 v119, v123, v128
	s_addc_u32 s9, s9, 0
	s_add_i32 s12, s12, 32
	s_add_i32 s13, s8, -7
	v_cmp_eq_u32_e32 vcc, 27, v120
	v_fmac_f32_e32 v119, v124, v129
	v_mov_b32_e32 v120, s13
	s_or_b64 s[10:11], vcc, s[10:11]
	v_fmac_f32_e32 v119, v125, v130
	s_andn2_b64 exec, exec, s[10:11]
	s_cbranch_execnz .LBB89_73
; %bb.74:
	s_or_b64 exec, exec, s[10:11]
.LBB89_75:
	s_or_b64 exec, exec, s[0:1]
	v_and_b32_e32 v60, 7, v121
	v_cmp_ne_u32_e32 vcc, 0, v60
	s_and_saveexec_b64 s[8:9], vcc
	s_cbranch_execz .LBB89_79
; %bb.76:
	v_mov_b32_e32 v61, 0x70
	v_lshl_add_u32 v61, v120, 2, v61
	v_mov_b32_e32 v62, 0
	s_mov_b64 s[10:11], 0
.LBB89_77:                              ; =>This Inner Loop Header: Depth=1
	v_cmp_eq_u32_e32 vcc, 1, v120
	v_cndmask_b32_e32 v63, v34, v35, vcc
	v_add_u32_e32 v60, -1, v60
	v_cmp_eq_u32_e32 vcc, 2, v120
	v_cndmask_b32_e32 v63, v63, v36, vcc
	v_cmp_eq_u32_e32 vcc, 0, v60
	v_cmp_eq_u32_e64 s[0:1], 3, v120
	v_cndmask_b32_e64 v63, v63, v37, s[0:1]
	s_or_b64 s[10:11], vcc, s[10:11]
	v_cmp_eq_u32_e32 vcc, 4, v120
	v_cndmask_b32_e32 v63, v63, v38, vcc
	v_cmp_eq_u32_e32 vcc, 5, v120
	v_cndmask_b32_e32 v63, v63, v39, vcc
	;; [unrolled: 2-line block ×17, first 2 shown]
	v_cmp_eq_u32_e32 vcc, 21, v120
	ds_read_b32 v64, v61
	v_cndmask_b32_e32 v63, v63, v55, vcc
	v_cmp_eq_u32_e32 vcc, 22, v120
	v_cndmask_b32_e32 v63, v63, v56, vcc
	v_cmp_eq_u32_e32 vcc, 23, v120
	;; [unrolled: 2-line block ×4, first 2 shown]
	v_add_co_u32_e64 v120, s[0:1], 1, v120
	v_cndmask_b32_e32 v63, v63, v59, vcc
	v_add_u32_e32 v61, 4, v61
	v_addc_co_u32_e64 v62, s[0:1], 0, v62, s[0:1]
	s_waitcnt lgkmcnt(0)
	v_fmac_f32_e32 v119, v63, v64
	s_andn2_b64 exec, exec, s[10:11]
	s_cbranch_execnz .LBB89_77
; %bb.78:
	s_or_b64 exec, exec, s[10:11]
.LBB89_79:
	s_or_b64 exec, exec, s[8:9]
.LBB89_80:
	s_or_b64 exec, exec, s[6:7]
	v_mov_b32_e32 v53, 0
	ds_read_b32 v53, v53 offset:76
	s_waitcnt lgkmcnt(0)
	v_mul_f32_e32 v53, v119, v53
.LBB89_81:
	s_or_b64 exec, exec, s[4:5]
	v_cmp_lt_u32_e64 s[0:1], 18, v0
	ds_write_b32 v118, v52
	s_waitcnt lgkmcnt(0)
	; wave barrier
	s_and_saveexec_b64 s[4:5], s[0:1]
	s_cbranch_execz .LBB89_97
; %bb.82:
	s_andn2_b64 vcc, exec, s[54:55]
	s_cbranch_vccnz .LBB89_84
; %bb.83:
	v_cmp_eq_u32_e32 vcc, 1, v0
	v_cndmask_b32_e32 v119, v34, v35, vcc
	v_cmp_eq_u32_e32 vcc, 2, v0
	v_cndmask_b32_e32 v119, v119, v36, vcc
	;; [unrolled: 2-line block ×21, first 2 shown]
	v_cmp_eq_u32_e32 vcc, 22, v0
	ds_read_b32 v120, v118
	v_cndmask_b32_e32 v119, v119, v56, vcc
	v_cmp_eq_u32_e32 vcc, 23, v0
	v_cndmask_b32_e32 v119, v119, v57, vcc
	v_cmp_eq_u32_e32 vcc, 24, v0
	;; [unrolled: 2-line block ×3, first 2 shown]
	v_cndmask_b32_e32 v119, v119, v59, vcc
	s_waitcnt lgkmcnt(0)
	v_mul_f32_e32 v119, v119, v120
	s_cbranch_execz .LBB89_85
	s_branch .LBB89_86
.LBB89_84:
                                        ; implicit-def: $vgpr119
.LBB89_85:
	ds_read_b32 v119, v118
.LBB89_86:
	s_and_saveexec_b64 s[6:7], s[2:3]
	s_cbranch_execz .LBB89_96
; %bb.87:
	v_subrev_u32_e32 v122, 20, v0
	v_mov_b32_e32 v120, 19
	v_subrev_u32_e32 v121, 19, v0
	v_cmp_lt_u32_e32 vcc, 6, v122
	s_and_saveexec_b64 s[2:3], vcc
	s_cbranch_execz .LBB89_91
; %bb.88:
	v_and_b32_e32 v120, -8, v121
	v_sub_u32_e32 v122, 0, v120
	s_mov_b64 s[8:9], 26
	s_movk_i32 s12, 0xbc
	s_mov_b64 s[10:11], 0
.LBB89_89:                              ; =>This Inner Loop Header: Depth=1
	s_add_i32 s13, s8, -7
	v_mov_b32_e32 v120, s12
	s_add_i32 s14, s8, -6
	s_set_gpr_idx_on s13, gpr_idx(SRC0)
	v_mov_b32_e32 v129, v34
	s_set_gpr_idx_off
	ds_read2_b32 v[123:124], v120 offset1:1
	s_add_i32 s15, s8, -5
	s_set_gpr_idx_on s14, gpr_idx(SRC0)
	v_mov_b32_e32 v130, v34
	s_set_gpr_idx_off
	s_add_i32 s16, s8, -4
	s_set_gpr_idx_on s15, gpr_idx(SRC0)
	v_mov_b32_e32 v131, v34
	s_set_gpr_idx_off
	ds_read2_b32 v[125:126], v120 offset0:2 offset1:3
	s_add_i32 s17, s8, -3
	s_set_gpr_idx_on s16, gpr_idx(SRC0)
	v_mov_b32_e32 v132, v34
	s_set_gpr_idx_off
	s_add_i32 s18, s8, -2
	s_set_gpr_idx_on s17, gpr_idx(SRC0)
	v_mov_b32_e32 v133, v34
	s_set_gpr_idx_off
	ds_read2_b32 v[127:128], v120 offset0:4 offset1:5
	s_add_i32 s19, s8, -1
	s_waitcnt lgkmcnt(2)
	v_fmac_f32_e32 v119, v129, v123
	s_set_gpr_idx_on s18, gpr_idx(SRC0)
	v_mov_b32_e32 v129, v34
	s_set_gpr_idx_off
	v_fmac_f32_e32 v119, v130, v124
	s_set_gpr_idx_on s19, gpr_idx(SRC0)
	v_mov_b32_e32 v130, v34
	s_set_gpr_idx_off
	ds_read2_b32 v[123:124], v120 offset0:6 offset1:7
	s_waitcnt lgkmcnt(2)
	v_fmac_f32_e32 v119, v131, v125
	s_set_gpr_idx_on s8, gpr_idx(SRC0)
	v_mov_b32_e32 v125, v34
	s_set_gpr_idx_off
	v_fmac_f32_e32 v119, v132, v126
	s_add_u32 s8, s8, 8
	s_waitcnt lgkmcnt(1)
	v_fmac_f32_e32 v119, v133, v127
	v_add_u32_e32 v120, s8, v122
	v_fmac_f32_e32 v119, v129, v128
	s_addc_u32 s9, s9, 0
	s_add_i32 s12, s12, 32
	s_add_i32 s13, s8, -7
	v_cmp_eq_u32_e32 vcc, 26, v120
	s_waitcnt lgkmcnt(0)
	v_fmac_f32_e32 v119, v130, v123
	v_mov_b32_e32 v120, s13
	s_or_b64 s[10:11], vcc, s[10:11]
	v_fmac_f32_e32 v119, v125, v124
	s_andn2_b64 exec, exec, s[10:11]
	s_cbranch_execnz .LBB89_89
; %bb.90:
	s_or_b64 exec, exec, s[10:11]
.LBB89_91:
	s_or_b64 exec, exec, s[2:3]
	v_and_b32_e32 v60, 7, v121
	v_cmp_ne_u32_e32 vcc, 0, v60
	s_and_saveexec_b64 s[8:9], vcc
	s_cbranch_execz .LBB89_95
; %bb.92:
	v_mov_b32_e32 v61, 0x70
	v_lshl_add_u32 v61, v120, 2, v61
	v_mov_b32_e32 v62, 0
	s_mov_b64 s[10:11], 0
.LBB89_93:                              ; =>This Inner Loop Header: Depth=1
	v_cmp_eq_u32_e32 vcc, 1, v120
	v_cndmask_b32_e32 v63, v34, v35, vcc
	v_add_u32_e32 v60, -1, v60
	v_cmp_eq_u32_e32 vcc, 2, v120
	v_cndmask_b32_e32 v63, v63, v36, vcc
	v_cmp_eq_u32_e32 vcc, 0, v60
	v_cmp_eq_u32_e64 s[2:3], 3, v120
	v_cndmask_b32_e64 v63, v63, v37, s[2:3]
	s_or_b64 s[10:11], vcc, s[10:11]
	v_cmp_eq_u32_e32 vcc, 4, v120
	v_cndmask_b32_e32 v63, v63, v38, vcc
	v_cmp_eq_u32_e32 vcc, 5, v120
	v_cndmask_b32_e32 v63, v63, v39, vcc
	;; [unrolled: 2-line block ×17, first 2 shown]
	v_cmp_eq_u32_e32 vcc, 21, v120
	ds_read_b32 v64, v61
	v_cndmask_b32_e32 v63, v63, v55, vcc
	v_cmp_eq_u32_e32 vcc, 22, v120
	v_cndmask_b32_e32 v63, v63, v56, vcc
	v_cmp_eq_u32_e32 vcc, 23, v120
	;; [unrolled: 2-line block ×4, first 2 shown]
	v_add_co_u32_e64 v120, s[2:3], 1, v120
	v_cndmask_b32_e32 v63, v63, v59, vcc
	v_add_u32_e32 v61, 4, v61
	v_addc_co_u32_e64 v62, s[2:3], 0, v62, s[2:3]
	s_waitcnt lgkmcnt(0)
	v_fmac_f32_e32 v119, v63, v64
	s_andn2_b64 exec, exec, s[10:11]
	s_cbranch_execnz .LBB89_93
; %bb.94:
	s_or_b64 exec, exec, s[10:11]
.LBB89_95:
	s_or_b64 exec, exec, s[8:9]
.LBB89_96:
	s_or_b64 exec, exec, s[6:7]
	v_mov_b32_e32 v52, 0
	ds_read_b32 v52, v52 offset:72
	s_waitcnt lgkmcnt(0)
	v_mul_f32_e32 v52, v119, v52
.LBB89_97:
	s_or_b64 exec, exec, s[4:5]
	v_cmp_lt_u32_e64 s[2:3], 17, v0
	ds_write_b32 v118, v51
	s_waitcnt lgkmcnt(0)
	; wave barrier
	s_and_saveexec_b64 s[4:5], s[2:3]
	s_cbranch_execz .LBB89_113
; %bb.98:
	s_andn2_b64 vcc, exec, s[54:55]
	s_cbranch_vccnz .LBB89_100
; %bb.99:
	v_cmp_eq_u32_e32 vcc, 1, v0
	v_cndmask_b32_e32 v119, v34, v35, vcc
	v_cmp_eq_u32_e32 vcc, 2, v0
	v_cndmask_b32_e32 v119, v119, v36, vcc
	;; [unrolled: 2-line block ×21, first 2 shown]
	v_cmp_eq_u32_e32 vcc, 22, v0
	ds_read_b32 v120, v118
	v_cndmask_b32_e32 v119, v119, v56, vcc
	v_cmp_eq_u32_e32 vcc, 23, v0
	v_cndmask_b32_e32 v119, v119, v57, vcc
	v_cmp_eq_u32_e32 vcc, 24, v0
	;; [unrolled: 2-line block ×3, first 2 shown]
	v_cndmask_b32_e32 v119, v119, v59, vcc
	s_waitcnt lgkmcnt(0)
	v_mul_f32_e32 v119, v119, v120
	s_cbranch_execz .LBB89_101
	s_branch .LBB89_102
.LBB89_100:
                                        ; implicit-def: $vgpr119
.LBB89_101:
	ds_read_b32 v119, v118
.LBB89_102:
	s_and_saveexec_b64 s[6:7], s[0:1]
	s_cbranch_execz .LBB89_112
; %bb.103:
	v_subrev_u32_e32 v122, 19, v0
	v_mov_b32_e32 v120, 18
	v_subrev_u32_e32 v121, 18, v0
	v_cmp_lt_u32_e32 vcc, 6, v122
	s_and_saveexec_b64 s[0:1], vcc
	s_cbranch_execz .LBB89_107
; %bb.104:
	v_and_b32_e32 v120, -8, v121
	v_sub_u32_e32 v122, 0, v120
	s_mov_b64 s[8:9], 25
	s_movk_i32 s12, 0xb8
	s_mov_b64 s[10:11], 0
.LBB89_105:                             ; =>This Inner Loop Header: Depth=1
	s_add_i32 s13, s8, -7
	v_mov_b32_e32 v120, s12
	s_add_i32 s14, s8, -6
	s_set_gpr_idx_on s13, gpr_idx(SRC0)
	v_mov_b32_e32 v131, v34
	s_set_gpr_idx_off
	ds_read2_b64 v[123:126], v120 offset1:1
	s_add_i32 s15, s8, -5
	s_set_gpr_idx_on s14, gpr_idx(SRC0)
	v_mov_b32_e32 v132, v34
	s_set_gpr_idx_off
	s_add_i32 s16, s8, -4
	s_set_gpr_idx_on s15, gpr_idx(SRC0)
	v_mov_b32_e32 v133, v34
	s_set_gpr_idx_off
	;; [unrolled: 4-line block ×4, first 2 shown]
	ds_read2_b64 v[127:130], v120 offset0:2 offset1:3
	s_add_i32 s19, s8, -1
	s_waitcnt lgkmcnt(1)
	v_fmac_f32_e32 v119, v131, v123
	s_set_gpr_idx_on s18, gpr_idx(SRC0)
	v_mov_b32_e32 v123, v34
	s_set_gpr_idx_off
	v_fmac_f32_e32 v119, v132, v124
	s_set_gpr_idx_on s19, gpr_idx(SRC0)
	v_mov_b32_e32 v124, v34
	s_set_gpr_idx_off
	;; [unrolled: 4-line block ×3, first 2 shown]
	v_fmac_f32_e32 v119, v134, v126
	s_add_u32 s8, s8, 8
	s_waitcnt lgkmcnt(0)
	v_fmac_f32_e32 v119, v135, v127
	v_add_u32_e32 v120, s8, v122
	v_fmac_f32_e32 v119, v123, v128
	s_addc_u32 s9, s9, 0
	s_add_i32 s12, s12, 32
	s_add_i32 s13, s8, -7
	v_cmp_eq_u32_e32 vcc, 25, v120
	v_fmac_f32_e32 v119, v124, v129
	v_mov_b32_e32 v120, s13
	s_or_b64 s[10:11], vcc, s[10:11]
	v_fmac_f32_e32 v119, v125, v130
	s_andn2_b64 exec, exec, s[10:11]
	s_cbranch_execnz .LBB89_105
; %bb.106:
	s_or_b64 exec, exec, s[10:11]
.LBB89_107:
	s_or_b64 exec, exec, s[0:1]
	v_and_b32_e32 v60, 7, v121
	v_cmp_ne_u32_e32 vcc, 0, v60
	s_and_saveexec_b64 s[8:9], vcc
	s_cbranch_execz .LBB89_111
; %bb.108:
	v_mov_b32_e32 v61, 0x70
	v_lshl_add_u32 v61, v120, 2, v61
	v_mov_b32_e32 v62, 0
	s_mov_b64 s[10:11], 0
.LBB89_109:                             ; =>This Inner Loop Header: Depth=1
	v_cmp_eq_u32_e32 vcc, 1, v120
	v_cndmask_b32_e32 v63, v34, v35, vcc
	v_add_u32_e32 v60, -1, v60
	v_cmp_eq_u32_e32 vcc, 2, v120
	v_cndmask_b32_e32 v63, v63, v36, vcc
	v_cmp_eq_u32_e32 vcc, 0, v60
	v_cmp_eq_u32_e64 s[0:1], 3, v120
	v_cndmask_b32_e64 v63, v63, v37, s[0:1]
	s_or_b64 s[10:11], vcc, s[10:11]
	v_cmp_eq_u32_e32 vcc, 4, v120
	v_cndmask_b32_e32 v63, v63, v38, vcc
	v_cmp_eq_u32_e32 vcc, 5, v120
	v_cndmask_b32_e32 v63, v63, v39, vcc
	;; [unrolled: 2-line block ×17, first 2 shown]
	v_cmp_eq_u32_e32 vcc, 21, v120
	ds_read_b32 v64, v61
	v_cndmask_b32_e32 v63, v63, v55, vcc
	v_cmp_eq_u32_e32 vcc, 22, v120
	v_cndmask_b32_e32 v63, v63, v56, vcc
	v_cmp_eq_u32_e32 vcc, 23, v120
	;; [unrolled: 2-line block ×4, first 2 shown]
	v_add_co_u32_e64 v120, s[0:1], 1, v120
	v_cndmask_b32_e32 v63, v63, v59, vcc
	v_add_u32_e32 v61, 4, v61
	v_addc_co_u32_e64 v62, s[0:1], 0, v62, s[0:1]
	s_waitcnt lgkmcnt(0)
	v_fmac_f32_e32 v119, v63, v64
	s_andn2_b64 exec, exec, s[10:11]
	s_cbranch_execnz .LBB89_109
; %bb.110:
	s_or_b64 exec, exec, s[10:11]
.LBB89_111:
	s_or_b64 exec, exec, s[8:9]
.LBB89_112:
	s_or_b64 exec, exec, s[6:7]
	v_mov_b32_e32 v51, 0
	ds_read_b32 v51, v51 offset:68
	s_waitcnt lgkmcnt(0)
	v_mul_f32_e32 v51, v119, v51
.LBB89_113:
	s_or_b64 exec, exec, s[4:5]
	v_cmp_lt_u32_e64 s[0:1], 16, v0
	ds_write_b32 v118, v50
	s_waitcnt lgkmcnt(0)
	; wave barrier
	s_and_saveexec_b64 s[4:5], s[0:1]
	s_cbranch_execz .LBB89_129
; %bb.114:
	s_andn2_b64 vcc, exec, s[54:55]
	s_cbranch_vccnz .LBB89_116
; %bb.115:
	v_cmp_eq_u32_e32 vcc, 1, v0
	v_cndmask_b32_e32 v119, v34, v35, vcc
	v_cmp_eq_u32_e32 vcc, 2, v0
	v_cndmask_b32_e32 v119, v119, v36, vcc
	;; [unrolled: 2-line block ×21, first 2 shown]
	v_cmp_eq_u32_e32 vcc, 22, v0
	ds_read_b32 v120, v118
	v_cndmask_b32_e32 v119, v119, v56, vcc
	v_cmp_eq_u32_e32 vcc, 23, v0
	v_cndmask_b32_e32 v119, v119, v57, vcc
	v_cmp_eq_u32_e32 vcc, 24, v0
	;; [unrolled: 2-line block ×3, first 2 shown]
	v_cndmask_b32_e32 v119, v119, v59, vcc
	s_waitcnt lgkmcnt(0)
	v_mul_f32_e32 v119, v119, v120
	s_cbranch_execz .LBB89_117
	s_branch .LBB89_118
.LBB89_116:
                                        ; implicit-def: $vgpr119
.LBB89_117:
	ds_read_b32 v119, v118
.LBB89_118:
	s_and_saveexec_b64 s[6:7], s[2:3]
	s_cbranch_execz .LBB89_128
; %bb.119:
	v_subrev_u32_e32 v122, 18, v0
	v_mov_b32_e32 v120, 17
	v_subrev_u32_e32 v121, 17, v0
	v_cmp_lt_u32_e32 vcc, 6, v122
	s_and_saveexec_b64 s[2:3], vcc
	s_cbranch_execz .LBB89_123
; %bb.120:
	v_and_b32_e32 v120, -8, v121
	v_sub_u32_e32 v122, 0, v120
	s_mov_b64 s[8:9], 24
	s_movk_i32 s12, 0xb4
	s_mov_b64 s[10:11], 0
.LBB89_121:                             ; =>This Inner Loop Header: Depth=1
	s_add_i32 s13, s8, -7
	v_mov_b32_e32 v120, s12
	s_add_i32 s14, s8, -6
	s_set_gpr_idx_on s13, gpr_idx(SRC0)
	v_mov_b32_e32 v129, v34
	s_set_gpr_idx_off
	ds_read2_b32 v[123:124], v120 offset1:1
	s_add_i32 s15, s8, -5
	s_set_gpr_idx_on s14, gpr_idx(SRC0)
	v_mov_b32_e32 v130, v34
	s_set_gpr_idx_off
	s_add_i32 s16, s8, -4
	s_set_gpr_idx_on s15, gpr_idx(SRC0)
	v_mov_b32_e32 v131, v34
	s_set_gpr_idx_off
	ds_read2_b32 v[125:126], v120 offset0:2 offset1:3
	s_add_i32 s17, s8, -3
	s_set_gpr_idx_on s16, gpr_idx(SRC0)
	v_mov_b32_e32 v132, v34
	s_set_gpr_idx_off
	s_add_i32 s18, s8, -2
	s_set_gpr_idx_on s17, gpr_idx(SRC0)
	v_mov_b32_e32 v133, v34
	s_set_gpr_idx_off
	ds_read2_b32 v[127:128], v120 offset0:4 offset1:5
	s_add_i32 s19, s8, -1
	s_waitcnt lgkmcnt(2)
	v_fmac_f32_e32 v119, v129, v123
	s_set_gpr_idx_on s18, gpr_idx(SRC0)
	v_mov_b32_e32 v129, v34
	s_set_gpr_idx_off
	v_fmac_f32_e32 v119, v130, v124
	s_set_gpr_idx_on s19, gpr_idx(SRC0)
	v_mov_b32_e32 v130, v34
	s_set_gpr_idx_off
	ds_read2_b32 v[123:124], v120 offset0:6 offset1:7
	s_waitcnt lgkmcnt(2)
	v_fmac_f32_e32 v119, v131, v125
	s_set_gpr_idx_on s8, gpr_idx(SRC0)
	v_mov_b32_e32 v125, v34
	s_set_gpr_idx_off
	v_fmac_f32_e32 v119, v132, v126
	s_add_u32 s8, s8, 8
	s_waitcnt lgkmcnt(1)
	v_fmac_f32_e32 v119, v133, v127
	v_add_u32_e32 v120, s8, v122
	v_fmac_f32_e32 v119, v129, v128
	s_addc_u32 s9, s9, 0
	s_add_i32 s12, s12, 32
	s_add_i32 s13, s8, -7
	v_cmp_eq_u32_e32 vcc, 24, v120
	s_waitcnt lgkmcnt(0)
	v_fmac_f32_e32 v119, v130, v123
	v_mov_b32_e32 v120, s13
	s_or_b64 s[10:11], vcc, s[10:11]
	v_fmac_f32_e32 v119, v125, v124
	s_andn2_b64 exec, exec, s[10:11]
	s_cbranch_execnz .LBB89_121
; %bb.122:
	s_or_b64 exec, exec, s[10:11]
.LBB89_123:
	s_or_b64 exec, exec, s[2:3]
	v_and_b32_e32 v60, 7, v121
	v_cmp_ne_u32_e32 vcc, 0, v60
	s_and_saveexec_b64 s[8:9], vcc
	s_cbranch_execz .LBB89_127
; %bb.124:
	v_mov_b32_e32 v61, 0x70
	v_lshl_add_u32 v61, v120, 2, v61
	v_mov_b32_e32 v62, 0
	s_mov_b64 s[10:11], 0
.LBB89_125:                             ; =>This Inner Loop Header: Depth=1
	v_cmp_eq_u32_e32 vcc, 1, v120
	v_cndmask_b32_e32 v63, v34, v35, vcc
	v_add_u32_e32 v60, -1, v60
	v_cmp_eq_u32_e32 vcc, 2, v120
	v_cndmask_b32_e32 v63, v63, v36, vcc
	v_cmp_eq_u32_e32 vcc, 0, v60
	v_cmp_eq_u32_e64 s[2:3], 3, v120
	v_cndmask_b32_e64 v63, v63, v37, s[2:3]
	s_or_b64 s[10:11], vcc, s[10:11]
	v_cmp_eq_u32_e32 vcc, 4, v120
	v_cndmask_b32_e32 v63, v63, v38, vcc
	v_cmp_eq_u32_e32 vcc, 5, v120
	v_cndmask_b32_e32 v63, v63, v39, vcc
	;; [unrolled: 2-line block ×17, first 2 shown]
	v_cmp_eq_u32_e32 vcc, 21, v120
	ds_read_b32 v64, v61
	v_cndmask_b32_e32 v63, v63, v55, vcc
	v_cmp_eq_u32_e32 vcc, 22, v120
	v_cndmask_b32_e32 v63, v63, v56, vcc
	v_cmp_eq_u32_e32 vcc, 23, v120
	;; [unrolled: 2-line block ×4, first 2 shown]
	v_add_co_u32_e64 v120, s[2:3], 1, v120
	v_cndmask_b32_e32 v63, v63, v59, vcc
	v_add_u32_e32 v61, 4, v61
	v_addc_co_u32_e64 v62, s[2:3], 0, v62, s[2:3]
	s_waitcnt lgkmcnt(0)
	v_fmac_f32_e32 v119, v63, v64
	s_andn2_b64 exec, exec, s[10:11]
	s_cbranch_execnz .LBB89_125
; %bb.126:
	s_or_b64 exec, exec, s[10:11]
.LBB89_127:
	s_or_b64 exec, exec, s[8:9]
.LBB89_128:
	s_or_b64 exec, exec, s[6:7]
	v_mov_b32_e32 v50, 0
	ds_read_b32 v50, v50 offset:64
	s_waitcnt lgkmcnt(0)
	v_mul_f32_e32 v50, v119, v50
.LBB89_129:
	s_or_b64 exec, exec, s[4:5]
	v_cmp_lt_u32_e64 s[2:3], 15, v0
	ds_write_b32 v118, v49
	s_waitcnt lgkmcnt(0)
	; wave barrier
	s_and_saveexec_b64 s[4:5], s[2:3]
	s_cbranch_execz .LBB89_145
; %bb.130:
	s_andn2_b64 vcc, exec, s[54:55]
	s_cbranch_vccnz .LBB89_132
; %bb.131:
	v_cmp_eq_u32_e32 vcc, 1, v0
	v_cndmask_b32_e32 v119, v34, v35, vcc
	v_cmp_eq_u32_e32 vcc, 2, v0
	v_cndmask_b32_e32 v119, v119, v36, vcc
	;; [unrolled: 2-line block ×21, first 2 shown]
	v_cmp_eq_u32_e32 vcc, 22, v0
	ds_read_b32 v120, v118
	v_cndmask_b32_e32 v119, v119, v56, vcc
	v_cmp_eq_u32_e32 vcc, 23, v0
	v_cndmask_b32_e32 v119, v119, v57, vcc
	v_cmp_eq_u32_e32 vcc, 24, v0
	v_cndmask_b32_e32 v119, v119, v58, vcc
	v_cmp_eq_u32_e32 vcc, 25, v0
	v_cndmask_b32_e32 v119, v119, v59, vcc
	s_waitcnt lgkmcnt(0)
	v_mul_f32_e32 v119, v119, v120
	s_cbranch_execz .LBB89_133
	s_branch .LBB89_134
.LBB89_132:
                                        ; implicit-def: $vgpr119
.LBB89_133:
	ds_read_b32 v119, v118
.LBB89_134:
	s_and_saveexec_b64 s[6:7], s[0:1]
	s_cbranch_execz .LBB89_144
; %bb.135:
	v_subrev_u32_e32 v120, 17, v0
	v_cmp_lt_u32_e32 vcc, 6, v120
	v_mov_b32_e32 v120, 16
	s_and_saveexec_b64 s[0:1], vcc
	s_cbranch_execz .LBB89_139
; %bb.136:
	v_and_b32_e32 v120, 24, v0
	v_sub_u32_e32 v121, 0, v120
	s_mov_b64 s[8:9], 23
	s_movk_i32 s12, 0xb0
	s_mov_b64 s[10:11], 0
.LBB89_137:                             ; =>This Inner Loop Header: Depth=1
	s_add_i32 s13, s8, -7
	v_mov_b32_e32 v120, s12
	s_add_i32 s14, s8, -6
	s_set_gpr_idx_on s13, gpr_idx(SRC0)
	v_mov_b32_e32 v130, v34
	s_set_gpr_idx_off
	s_add_i32 s15, s8, -5
	ds_read_b128 v[122:125], v120
	ds_read_b128 v[126:129], v120 offset:16
	s_set_gpr_idx_on s14, gpr_idx(SRC0)
	v_mov_b32_e32 v120, v34
	s_set_gpr_idx_off
	s_add_i32 s16, s8, -4
	s_set_gpr_idx_on s15, gpr_idx(SRC0)
	v_mov_b32_e32 v131, v34
	s_set_gpr_idx_off
	s_add_i32 s17, s8, -3
	;; [unrolled: 4-line block ×4, first 2 shown]
	s_waitcnt lgkmcnt(1)
	v_fmac_f32_e32 v119, v130, v122
	s_set_gpr_idx_on s18, gpr_idx(SRC0)
	v_mov_b32_e32 v122, v34
	s_set_gpr_idx_off
	v_fmac_f32_e32 v119, v120, v123
	s_set_gpr_idx_on s19, gpr_idx(SRC0)
	v_mov_b32_e32 v123, v34
	s_set_gpr_idx_off
	;; [unrolled: 4-line block ×3, first 2 shown]
	v_fmac_f32_e32 v119, v132, v125
	s_add_u32 s8, s8, 8
	s_waitcnt lgkmcnt(0)
	v_fmac_f32_e32 v119, v133, v126
	v_add_u32_e32 v120, s8, v121
	v_fmac_f32_e32 v119, v122, v127
	s_addc_u32 s9, s9, 0
	s_add_i32 s12, s12, 32
	s_add_i32 s13, s8, -7
	v_cmp_eq_u32_e32 vcc, 7, v120
	v_fmac_f32_e32 v119, v123, v128
	v_mov_b32_e32 v120, s13
	s_or_b64 s[10:11], vcc, s[10:11]
	v_fmac_f32_e32 v119, v124, v129
	s_andn2_b64 exec, exec, s[10:11]
	s_cbranch_execnz .LBB89_137
; %bb.138:
	s_or_b64 exec, exec, s[10:11]
.LBB89_139:
	s_or_b64 exec, exec, s[0:1]
	v_and_b32_e32 v60, 7, v0
	v_cmp_ne_u32_e32 vcc, 0, v60
	s_and_saveexec_b64 s[8:9], vcc
	s_cbranch_execz .LBB89_143
; %bb.140:
	v_mov_b32_e32 v61, 0x70
	v_lshl_add_u32 v61, v120, 2, v61
	v_mov_b32_e32 v62, 0
	s_mov_b64 s[10:11], 0
.LBB89_141:                             ; =>This Inner Loop Header: Depth=1
	v_cmp_eq_u32_e32 vcc, 1, v120
	v_cndmask_b32_e32 v63, v34, v35, vcc
	v_add_u32_e32 v60, -1, v60
	v_cmp_eq_u32_e32 vcc, 2, v120
	v_cndmask_b32_e32 v63, v63, v36, vcc
	v_cmp_eq_u32_e32 vcc, 0, v60
	v_cmp_eq_u32_e64 s[0:1], 3, v120
	v_cndmask_b32_e64 v63, v63, v37, s[0:1]
	s_or_b64 s[10:11], vcc, s[10:11]
	v_cmp_eq_u32_e32 vcc, 4, v120
	v_cndmask_b32_e32 v63, v63, v38, vcc
	v_cmp_eq_u32_e32 vcc, 5, v120
	v_cndmask_b32_e32 v63, v63, v39, vcc
	;; [unrolled: 2-line block ×17, first 2 shown]
	v_cmp_eq_u32_e32 vcc, 21, v120
	ds_read_b32 v64, v61
	v_cndmask_b32_e32 v63, v63, v55, vcc
	v_cmp_eq_u32_e32 vcc, 22, v120
	v_cndmask_b32_e32 v63, v63, v56, vcc
	v_cmp_eq_u32_e32 vcc, 23, v120
	;; [unrolled: 2-line block ×4, first 2 shown]
	v_add_co_u32_e64 v120, s[0:1], 1, v120
	v_cndmask_b32_e32 v63, v63, v59, vcc
	v_add_u32_e32 v61, 4, v61
	v_addc_co_u32_e64 v62, s[0:1], 0, v62, s[0:1]
	s_waitcnt lgkmcnt(0)
	v_fmac_f32_e32 v119, v63, v64
	s_andn2_b64 exec, exec, s[10:11]
	s_cbranch_execnz .LBB89_141
; %bb.142:
	s_or_b64 exec, exec, s[10:11]
.LBB89_143:
	s_or_b64 exec, exec, s[8:9]
.LBB89_144:
	s_or_b64 exec, exec, s[6:7]
	v_mov_b32_e32 v49, 0
	ds_read_b32 v49, v49 offset:60
	s_waitcnt lgkmcnt(0)
	v_mul_f32_e32 v49, v119, v49
.LBB89_145:
	s_or_b64 exec, exec, s[4:5]
	v_cmp_lt_u32_e64 s[0:1], 14, v0
	ds_write_b32 v118, v48
	s_waitcnt lgkmcnt(0)
	; wave barrier
	s_and_saveexec_b64 s[4:5], s[0:1]
	s_cbranch_execz .LBB89_161
; %bb.146:
	s_andn2_b64 vcc, exec, s[54:55]
	s_cbranch_vccnz .LBB89_148
; %bb.147:
	v_cmp_eq_u32_e32 vcc, 1, v0
	v_cndmask_b32_e32 v119, v34, v35, vcc
	v_cmp_eq_u32_e32 vcc, 2, v0
	v_cndmask_b32_e32 v119, v119, v36, vcc
	;; [unrolled: 2-line block ×21, first 2 shown]
	v_cmp_eq_u32_e32 vcc, 22, v0
	ds_read_b32 v120, v118
	v_cndmask_b32_e32 v119, v119, v56, vcc
	v_cmp_eq_u32_e32 vcc, 23, v0
	v_cndmask_b32_e32 v119, v119, v57, vcc
	v_cmp_eq_u32_e32 vcc, 24, v0
	;; [unrolled: 2-line block ×3, first 2 shown]
	v_cndmask_b32_e32 v119, v119, v59, vcc
	s_waitcnt lgkmcnt(0)
	v_mul_f32_e32 v119, v119, v120
	s_cbranch_execz .LBB89_149
	s_branch .LBB89_150
.LBB89_148:
                                        ; implicit-def: $vgpr119
.LBB89_149:
	ds_read_b32 v119, v118
.LBB89_150:
	s_and_saveexec_b64 s[6:7], s[2:3]
	s_cbranch_execz .LBB89_160
; %bb.151:
	v_add_u32_e32 v120, -16, v0
	v_add_u32_e32 v121, -15, v0
	v_cmp_lt_u32_e32 vcc, 6, v120
	v_mov_b32_e32 v120, 15
	s_and_saveexec_b64 s[2:3], vcc
	s_cbranch_execz .LBB89_155
; %bb.152:
	v_and_b32_e32 v120, -8, v121
	v_sub_u32_e32 v122, 0, v120
	s_mov_b64 s[8:9], 22
	s_movk_i32 s12, 0xac
	s_mov_b64 s[10:11], 0
.LBB89_153:                             ; =>This Inner Loop Header: Depth=1
	s_add_i32 s13, s8, -7
	v_mov_b32_e32 v120, s12
	s_add_i32 s14, s8, -6
	s_set_gpr_idx_on s13, gpr_idx(SRC0)
	v_mov_b32_e32 v129, v34
	s_set_gpr_idx_off
	ds_read2_b32 v[123:124], v120 offset1:1
	s_add_i32 s15, s8, -5
	s_set_gpr_idx_on s14, gpr_idx(SRC0)
	v_mov_b32_e32 v130, v34
	s_set_gpr_idx_off
	s_add_i32 s16, s8, -4
	s_set_gpr_idx_on s15, gpr_idx(SRC0)
	v_mov_b32_e32 v131, v34
	s_set_gpr_idx_off
	ds_read2_b32 v[125:126], v120 offset0:2 offset1:3
	s_add_i32 s17, s8, -3
	s_set_gpr_idx_on s16, gpr_idx(SRC0)
	v_mov_b32_e32 v132, v34
	s_set_gpr_idx_off
	s_add_i32 s18, s8, -2
	s_set_gpr_idx_on s17, gpr_idx(SRC0)
	v_mov_b32_e32 v133, v34
	s_set_gpr_idx_off
	ds_read2_b32 v[127:128], v120 offset0:4 offset1:5
	s_add_i32 s19, s8, -1
	s_waitcnt lgkmcnt(2)
	v_fmac_f32_e32 v119, v129, v123
	s_set_gpr_idx_on s18, gpr_idx(SRC0)
	v_mov_b32_e32 v129, v34
	s_set_gpr_idx_off
	v_fmac_f32_e32 v119, v130, v124
	s_set_gpr_idx_on s19, gpr_idx(SRC0)
	v_mov_b32_e32 v130, v34
	s_set_gpr_idx_off
	ds_read2_b32 v[123:124], v120 offset0:6 offset1:7
	s_waitcnt lgkmcnt(2)
	v_fmac_f32_e32 v119, v131, v125
	s_set_gpr_idx_on s8, gpr_idx(SRC0)
	v_mov_b32_e32 v125, v34
	s_set_gpr_idx_off
	v_fmac_f32_e32 v119, v132, v126
	s_add_u32 s8, s8, 8
	s_waitcnt lgkmcnt(1)
	v_fmac_f32_e32 v119, v133, v127
	v_add_u32_e32 v120, s8, v122
	v_fmac_f32_e32 v119, v129, v128
	s_addc_u32 s9, s9, 0
	s_add_i32 s12, s12, 32
	s_add_i32 s13, s8, -7
	v_cmp_eq_u32_e32 vcc, 22, v120
	s_waitcnt lgkmcnt(0)
	v_fmac_f32_e32 v119, v130, v123
	v_mov_b32_e32 v120, s13
	s_or_b64 s[10:11], vcc, s[10:11]
	v_fmac_f32_e32 v119, v125, v124
	s_andn2_b64 exec, exec, s[10:11]
	s_cbranch_execnz .LBB89_153
; %bb.154:
	s_or_b64 exec, exec, s[10:11]
.LBB89_155:
	s_or_b64 exec, exec, s[2:3]
	v_and_b32_e32 v60, 7, v121
	v_cmp_ne_u32_e32 vcc, 0, v60
	s_and_saveexec_b64 s[8:9], vcc
	s_cbranch_execz .LBB89_159
; %bb.156:
	v_mov_b32_e32 v61, 0x70
	v_lshl_add_u32 v61, v120, 2, v61
	v_mov_b32_e32 v62, 0
	s_mov_b64 s[10:11], 0
.LBB89_157:                             ; =>This Inner Loop Header: Depth=1
	v_cmp_eq_u32_e32 vcc, 1, v120
	v_cndmask_b32_e32 v63, v34, v35, vcc
	v_add_u32_e32 v60, -1, v60
	v_cmp_eq_u32_e32 vcc, 2, v120
	v_cndmask_b32_e32 v63, v63, v36, vcc
	v_cmp_eq_u32_e32 vcc, 0, v60
	v_cmp_eq_u32_e64 s[2:3], 3, v120
	v_cndmask_b32_e64 v63, v63, v37, s[2:3]
	s_or_b64 s[10:11], vcc, s[10:11]
	v_cmp_eq_u32_e32 vcc, 4, v120
	v_cndmask_b32_e32 v63, v63, v38, vcc
	v_cmp_eq_u32_e32 vcc, 5, v120
	v_cndmask_b32_e32 v63, v63, v39, vcc
	;; [unrolled: 2-line block ×17, first 2 shown]
	v_cmp_eq_u32_e32 vcc, 21, v120
	ds_read_b32 v64, v61
	v_cndmask_b32_e32 v63, v63, v55, vcc
	v_cmp_eq_u32_e32 vcc, 22, v120
	v_cndmask_b32_e32 v63, v63, v56, vcc
	v_cmp_eq_u32_e32 vcc, 23, v120
	;; [unrolled: 2-line block ×4, first 2 shown]
	v_add_co_u32_e64 v120, s[2:3], 1, v120
	v_cndmask_b32_e32 v63, v63, v59, vcc
	v_add_u32_e32 v61, 4, v61
	v_addc_co_u32_e64 v62, s[2:3], 0, v62, s[2:3]
	s_waitcnt lgkmcnt(0)
	v_fmac_f32_e32 v119, v63, v64
	s_andn2_b64 exec, exec, s[10:11]
	s_cbranch_execnz .LBB89_157
; %bb.158:
	s_or_b64 exec, exec, s[10:11]
.LBB89_159:
	s_or_b64 exec, exec, s[8:9]
.LBB89_160:
	s_or_b64 exec, exec, s[6:7]
	v_mov_b32_e32 v48, 0
	ds_read_b32 v48, v48 offset:56
	s_waitcnt lgkmcnt(0)
	v_mul_f32_e32 v48, v119, v48
.LBB89_161:
	s_or_b64 exec, exec, s[4:5]
	v_cmp_lt_u32_e64 s[2:3], 13, v0
	ds_write_b32 v118, v47
	s_waitcnt lgkmcnt(0)
	; wave barrier
	s_and_saveexec_b64 s[4:5], s[2:3]
	s_cbranch_execz .LBB89_177
; %bb.162:
	s_andn2_b64 vcc, exec, s[54:55]
	s_cbranch_vccnz .LBB89_164
; %bb.163:
	v_cmp_eq_u32_e32 vcc, 1, v0
	v_cndmask_b32_e32 v119, v34, v35, vcc
	v_cmp_eq_u32_e32 vcc, 2, v0
	v_cndmask_b32_e32 v119, v119, v36, vcc
	v_cmp_eq_u32_e32 vcc, 3, v0
	v_cndmask_b32_e32 v119, v119, v37, vcc
	v_cmp_eq_u32_e32 vcc, 4, v0
	v_cndmask_b32_e32 v119, v119, v38, vcc
	v_cmp_eq_u32_e32 vcc, 5, v0
	v_cndmask_b32_e32 v119, v119, v39, vcc
	v_cmp_eq_u32_e32 vcc, 6, v0
	v_cndmask_b32_e32 v119, v119, v40, vcc
	v_cmp_eq_u32_e32 vcc, 7, v0
	v_cndmask_b32_e32 v119, v119, v41, vcc
	v_cmp_eq_u32_e32 vcc, 8, v0
	v_cndmask_b32_e32 v119, v119, v42, vcc
	v_cmp_eq_u32_e32 vcc, 9, v0
	v_cndmask_b32_e32 v119, v119, v43, vcc
	v_cmp_eq_u32_e32 vcc, 10, v0
	v_cndmask_b32_e32 v119, v119, v44, vcc
	v_cmp_eq_u32_e32 vcc, 11, v0
	v_cndmask_b32_e32 v119, v119, v45, vcc
	v_cmp_eq_u32_e32 vcc, 12, v0
	v_cndmask_b32_e32 v119, v119, v46, vcc
	v_cmp_eq_u32_e32 vcc, 13, v0
	v_cndmask_b32_e32 v119, v119, v47, vcc
	v_cmp_eq_u32_e32 vcc, 14, v0
	v_cndmask_b32_e32 v119, v119, v48, vcc
	v_cmp_eq_u32_e32 vcc, 15, v0
	v_cndmask_b32_e32 v119, v119, v49, vcc
	v_cmp_eq_u32_e32 vcc, 16, v0
	v_cndmask_b32_e32 v119, v119, v50, vcc
	v_cmp_eq_u32_e32 vcc, 17, v0
	v_cndmask_b32_e32 v119, v119, v51, vcc
	v_cmp_eq_u32_e32 vcc, 18, v0
	v_cndmask_b32_e32 v119, v119, v52, vcc
	v_cmp_eq_u32_e32 vcc, 19, v0
	v_cndmask_b32_e32 v119, v119, v53, vcc
	v_cmp_eq_u32_e32 vcc, 20, v0
	v_cndmask_b32_e32 v119, v119, v54, vcc
	v_cmp_eq_u32_e32 vcc, 21, v0
	v_cndmask_b32_e32 v119, v119, v55, vcc
	v_cmp_eq_u32_e32 vcc, 22, v0
	ds_read_b32 v120, v118
	v_cndmask_b32_e32 v119, v119, v56, vcc
	v_cmp_eq_u32_e32 vcc, 23, v0
	v_cndmask_b32_e32 v119, v119, v57, vcc
	v_cmp_eq_u32_e32 vcc, 24, v0
	;; [unrolled: 2-line block ×3, first 2 shown]
	v_cndmask_b32_e32 v119, v119, v59, vcc
	s_waitcnt lgkmcnt(0)
	v_mul_f32_e32 v119, v119, v120
	s_cbranch_execz .LBB89_165
	s_branch .LBB89_166
.LBB89_164:
                                        ; implicit-def: $vgpr119
.LBB89_165:
	ds_read_b32 v119, v118
.LBB89_166:
	s_and_saveexec_b64 s[6:7], s[0:1]
	s_cbranch_execz .LBB89_176
; %bb.167:
	v_add_u32_e32 v120, -15, v0
	v_add_u32_e32 v121, -14, v0
	v_cmp_lt_u32_e32 vcc, 6, v120
	v_mov_b32_e32 v120, 14
	s_and_saveexec_b64 s[0:1], vcc
	s_cbranch_execz .LBB89_171
; %bb.168:
	v_and_b32_e32 v120, -8, v121
	v_sub_u32_e32 v122, 0, v120
	s_mov_b64 s[8:9], 21
	s_movk_i32 s12, 0xa8
	s_mov_b64 s[10:11], 0
.LBB89_169:                             ; =>This Inner Loop Header: Depth=1
	s_add_i32 s13, s8, -7
	v_mov_b32_e32 v120, s12
	s_add_i32 s14, s8, -6
	s_set_gpr_idx_on s13, gpr_idx(SRC0)
	v_mov_b32_e32 v131, v34
	s_set_gpr_idx_off
	ds_read2_b64 v[123:126], v120 offset1:1
	s_add_i32 s15, s8, -5
	s_set_gpr_idx_on s14, gpr_idx(SRC0)
	v_mov_b32_e32 v132, v34
	s_set_gpr_idx_off
	s_add_i32 s16, s8, -4
	s_set_gpr_idx_on s15, gpr_idx(SRC0)
	v_mov_b32_e32 v133, v34
	s_set_gpr_idx_off
	;; [unrolled: 4-line block ×4, first 2 shown]
	ds_read2_b64 v[127:130], v120 offset0:2 offset1:3
	s_add_i32 s19, s8, -1
	s_waitcnt lgkmcnt(1)
	v_fmac_f32_e32 v119, v131, v123
	s_set_gpr_idx_on s18, gpr_idx(SRC0)
	v_mov_b32_e32 v123, v34
	s_set_gpr_idx_off
	v_fmac_f32_e32 v119, v132, v124
	s_set_gpr_idx_on s19, gpr_idx(SRC0)
	v_mov_b32_e32 v124, v34
	s_set_gpr_idx_off
	;; [unrolled: 4-line block ×3, first 2 shown]
	v_fmac_f32_e32 v119, v134, v126
	s_add_u32 s8, s8, 8
	s_waitcnt lgkmcnt(0)
	v_fmac_f32_e32 v119, v135, v127
	v_add_u32_e32 v120, s8, v122
	v_fmac_f32_e32 v119, v123, v128
	s_addc_u32 s9, s9, 0
	s_add_i32 s12, s12, 32
	s_add_i32 s13, s8, -7
	v_cmp_eq_u32_e32 vcc, 21, v120
	v_fmac_f32_e32 v119, v124, v129
	v_mov_b32_e32 v120, s13
	s_or_b64 s[10:11], vcc, s[10:11]
	v_fmac_f32_e32 v119, v125, v130
	s_andn2_b64 exec, exec, s[10:11]
	s_cbranch_execnz .LBB89_169
; %bb.170:
	s_or_b64 exec, exec, s[10:11]
.LBB89_171:
	s_or_b64 exec, exec, s[0:1]
	v_and_b32_e32 v60, 7, v121
	v_cmp_ne_u32_e32 vcc, 0, v60
	s_and_saveexec_b64 s[8:9], vcc
	s_cbranch_execz .LBB89_175
; %bb.172:
	v_mov_b32_e32 v61, 0x70
	v_lshl_add_u32 v61, v120, 2, v61
	v_mov_b32_e32 v62, 0
	s_mov_b64 s[10:11], 0
.LBB89_173:                             ; =>This Inner Loop Header: Depth=1
	v_cmp_eq_u32_e32 vcc, 1, v120
	v_cndmask_b32_e32 v63, v34, v35, vcc
	v_add_u32_e32 v60, -1, v60
	v_cmp_eq_u32_e32 vcc, 2, v120
	v_cndmask_b32_e32 v63, v63, v36, vcc
	v_cmp_eq_u32_e32 vcc, 0, v60
	v_cmp_eq_u32_e64 s[0:1], 3, v120
	v_cndmask_b32_e64 v63, v63, v37, s[0:1]
	s_or_b64 s[10:11], vcc, s[10:11]
	v_cmp_eq_u32_e32 vcc, 4, v120
	v_cndmask_b32_e32 v63, v63, v38, vcc
	v_cmp_eq_u32_e32 vcc, 5, v120
	v_cndmask_b32_e32 v63, v63, v39, vcc
	v_cmp_eq_u32_e32 vcc, 6, v120
	v_cndmask_b32_e32 v63, v63, v40, vcc
	v_cmp_eq_u32_e32 vcc, 7, v120
	v_cndmask_b32_e32 v63, v63, v41, vcc
	v_cmp_eq_u32_e32 vcc, 8, v120
	v_cndmask_b32_e32 v63, v63, v42, vcc
	v_cmp_eq_u32_e32 vcc, 9, v120
	v_cndmask_b32_e32 v63, v63, v43, vcc
	v_cmp_eq_u32_e32 vcc, 10, v120
	v_cndmask_b32_e32 v63, v63, v44, vcc
	v_cmp_eq_u32_e32 vcc, 11, v120
	v_cndmask_b32_e32 v63, v63, v45, vcc
	v_cmp_eq_u32_e32 vcc, 12, v120
	v_cndmask_b32_e32 v63, v63, v46, vcc
	v_cmp_eq_u32_e32 vcc, 13, v120
	v_cndmask_b32_e32 v63, v63, v47, vcc
	v_cmp_eq_u32_e32 vcc, 14, v120
	v_cndmask_b32_e32 v63, v63, v48, vcc
	v_cmp_eq_u32_e32 vcc, 15, v120
	v_cndmask_b32_e32 v63, v63, v49, vcc
	v_cmp_eq_u32_e32 vcc, 16, v120
	v_cndmask_b32_e32 v63, v63, v50, vcc
	v_cmp_eq_u32_e32 vcc, 17, v120
	v_cndmask_b32_e32 v63, v63, v51, vcc
	v_cmp_eq_u32_e32 vcc, 18, v120
	v_cndmask_b32_e32 v63, v63, v52, vcc
	v_cmp_eq_u32_e32 vcc, 19, v120
	v_cndmask_b32_e32 v63, v63, v53, vcc
	v_cmp_eq_u32_e32 vcc, 20, v120
	v_cndmask_b32_e32 v63, v63, v54, vcc
	v_cmp_eq_u32_e32 vcc, 21, v120
	ds_read_b32 v64, v61
	v_cndmask_b32_e32 v63, v63, v55, vcc
	v_cmp_eq_u32_e32 vcc, 22, v120
	v_cndmask_b32_e32 v63, v63, v56, vcc
	v_cmp_eq_u32_e32 vcc, 23, v120
	;; [unrolled: 2-line block ×4, first 2 shown]
	v_add_co_u32_e64 v120, s[0:1], 1, v120
	v_cndmask_b32_e32 v63, v63, v59, vcc
	v_add_u32_e32 v61, 4, v61
	v_addc_co_u32_e64 v62, s[0:1], 0, v62, s[0:1]
	s_waitcnt lgkmcnt(0)
	v_fmac_f32_e32 v119, v63, v64
	s_andn2_b64 exec, exec, s[10:11]
	s_cbranch_execnz .LBB89_173
; %bb.174:
	s_or_b64 exec, exec, s[10:11]
.LBB89_175:
	s_or_b64 exec, exec, s[8:9]
.LBB89_176:
	s_or_b64 exec, exec, s[6:7]
	v_mov_b32_e32 v47, 0
	ds_read_b32 v47, v47 offset:52
	s_waitcnt lgkmcnt(0)
	v_mul_f32_e32 v47, v119, v47
.LBB89_177:
	s_or_b64 exec, exec, s[4:5]
	v_cmp_lt_u32_e64 s[0:1], 12, v0
	ds_write_b32 v118, v46
	s_waitcnt lgkmcnt(0)
	; wave barrier
	s_and_saveexec_b64 s[4:5], s[0:1]
	s_cbranch_execz .LBB89_193
; %bb.178:
	s_andn2_b64 vcc, exec, s[54:55]
	s_cbranch_vccnz .LBB89_180
; %bb.179:
	v_cmp_eq_u32_e32 vcc, 1, v0
	v_cndmask_b32_e32 v119, v34, v35, vcc
	v_cmp_eq_u32_e32 vcc, 2, v0
	v_cndmask_b32_e32 v119, v119, v36, vcc
	;; [unrolled: 2-line block ×21, first 2 shown]
	v_cmp_eq_u32_e32 vcc, 22, v0
	ds_read_b32 v120, v118
	v_cndmask_b32_e32 v119, v119, v56, vcc
	v_cmp_eq_u32_e32 vcc, 23, v0
	v_cndmask_b32_e32 v119, v119, v57, vcc
	v_cmp_eq_u32_e32 vcc, 24, v0
	;; [unrolled: 2-line block ×3, first 2 shown]
	v_cndmask_b32_e32 v119, v119, v59, vcc
	s_waitcnt lgkmcnt(0)
	v_mul_f32_e32 v119, v119, v120
	s_cbranch_execz .LBB89_181
	s_branch .LBB89_182
.LBB89_180:
                                        ; implicit-def: $vgpr119
.LBB89_181:
	ds_read_b32 v119, v118
.LBB89_182:
	s_and_saveexec_b64 s[6:7], s[2:3]
	s_cbranch_execz .LBB89_192
; %bb.183:
	v_add_u32_e32 v120, -14, v0
	v_add_u32_e32 v121, -13, v0
	v_cmp_lt_u32_e32 vcc, 6, v120
	v_mov_b32_e32 v120, 13
	s_and_saveexec_b64 s[2:3], vcc
	s_cbranch_execz .LBB89_187
; %bb.184:
	v_and_b32_e32 v120, -8, v121
	v_sub_u32_e32 v122, 0, v120
	s_mov_b64 s[8:9], 20
	s_movk_i32 s12, 0xa4
	s_mov_b64 s[10:11], 0
.LBB89_185:                             ; =>This Inner Loop Header: Depth=1
	s_add_i32 s13, s8, -7
	v_mov_b32_e32 v120, s12
	s_add_i32 s14, s8, -6
	s_set_gpr_idx_on s13, gpr_idx(SRC0)
	v_mov_b32_e32 v129, v34
	s_set_gpr_idx_off
	ds_read2_b32 v[123:124], v120 offset1:1
	s_add_i32 s15, s8, -5
	s_set_gpr_idx_on s14, gpr_idx(SRC0)
	v_mov_b32_e32 v130, v34
	s_set_gpr_idx_off
	s_add_i32 s16, s8, -4
	s_set_gpr_idx_on s15, gpr_idx(SRC0)
	v_mov_b32_e32 v131, v34
	s_set_gpr_idx_off
	ds_read2_b32 v[125:126], v120 offset0:2 offset1:3
	s_add_i32 s17, s8, -3
	s_set_gpr_idx_on s16, gpr_idx(SRC0)
	v_mov_b32_e32 v132, v34
	s_set_gpr_idx_off
	s_add_i32 s18, s8, -2
	s_set_gpr_idx_on s17, gpr_idx(SRC0)
	v_mov_b32_e32 v133, v34
	s_set_gpr_idx_off
	ds_read2_b32 v[127:128], v120 offset0:4 offset1:5
	s_add_i32 s19, s8, -1
	s_waitcnt lgkmcnt(2)
	v_fmac_f32_e32 v119, v129, v123
	s_set_gpr_idx_on s18, gpr_idx(SRC0)
	v_mov_b32_e32 v129, v34
	s_set_gpr_idx_off
	v_fmac_f32_e32 v119, v130, v124
	s_set_gpr_idx_on s19, gpr_idx(SRC0)
	v_mov_b32_e32 v130, v34
	s_set_gpr_idx_off
	ds_read2_b32 v[123:124], v120 offset0:6 offset1:7
	s_waitcnt lgkmcnt(2)
	v_fmac_f32_e32 v119, v131, v125
	s_set_gpr_idx_on s8, gpr_idx(SRC0)
	v_mov_b32_e32 v125, v34
	s_set_gpr_idx_off
	v_fmac_f32_e32 v119, v132, v126
	s_add_u32 s8, s8, 8
	s_waitcnt lgkmcnt(1)
	v_fmac_f32_e32 v119, v133, v127
	v_add_u32_e32 v120, s8, v122
	v_fmac_f32_e32 v119, v129, v128
	s_addc_u32 s9, s9, 0
	s_add_i32 s12, s12, 32
	s_add_i32 s13, s8, -7
	v_cmp_eq_u32_e32 vcc, 20, v120
	s_waitcnt lgkmcnt(0)
	v_fmac_f32_e32 v119, v130, v123
	v_mov_b32_e32 v120, s13
	s_or_b64 s[10:11], vcc, s[10:11]
	v_fmac_f32_e32 v119, v125, v124
	s_andn2_b64 exec, exec, s[10:11]
	s_cbranch_execnz .LBB89_185
; %bb.186:
	s_or_b64 exec, exec, s[10:11]
.LBB89_187:
	s_or_b64 exec, exec, s[2:3]
	v_and_b32_e32 v60, 7, v121
	v_cmp_ne_u32_e32 vcc, 0, v60
	s_and_saveexec_b64 s[8:9], vcc
	s_cbranch_execz .LBB89_191
; %bb.188:
	v_mov_b32_e32 v61, 0x70
	v_lshl_add_u32 v61, v120, 2, v61
	v_mov_b32_e32 v62, 0
	s_mov_b64 s[10:11], 0
.LBB89_189:                             ; =>This Inner Loop Header: Depth=1
	v_cmp_eq_u32_e32 vcc, 1, v120
	v_cndmask_b32_e32 v63, v34, v35, vcc
	v_add_u32_e32 v60, -1, v60
	v_cmp_eq_u32_e32 vcc, 2, v120
	v_cndmask_b32_e32 v63, v63, v36, vcc
	v_cmp_eq_u32_e32 vcc, 0, v60
	v_cmp_eq_u32_e64 s[2:3], 3, v120
	v_cndmask_b32_e64 v63, v63, v37, s[2:3]
	s_or_b64 s[10:11], vcc, s[10:11]
	v_cmp_eq_u32_e32 vcc, 4, v120
	v_cndmask_b32_e32 v63, v63, v38, vcc
	v_cmp_eq_u32_e32 vcc, 5, v120
	v_cndmask_b32_e32 v63, v63, v39, vcc
	;; [unrolled: 2-line block ×17, first 2 shown]
	v_cmp_eq_u32_e32 vcc, 21, v120
	ds_read_b32 v64, v61
	v_cndmask_b32_e32 v63, v63, v55, vcc
	v_cmp_eq_u32_e32 vcc, 22, v120
	v_cndmask_b32_e32 v63, v63, v56, vcc
	v_cmp_eq_u32_e32 vcc, 23, v120
	v_cndmask_b32_e32 v63, v63, v57, vcc
	v_cmp_eq_u32_e32 vcc, 24, v120
	v_cndmask_b32_e32 v63, v63, v58, vcc
	v_cmp_eq_u32_e32 vcc, 25, v120
	v_add_co_u32_e64 v120, s[2:3], 1, v120
	v_cndmask_b32_e32 v63, v63, v59, vcc
	v_add_u32_e32 v61, 4, v61
	v_addc_co_u32_e64 v62, s[2:3], 0, v62, s[2:3]
	s_waitcnt lgkmcnt(0)
	v_fmac_f32_e32 v119, v63, v64
	s_andn2_b64 exec, exec, s[10:11]
	s_cbranch_execnz .LBB89_189
; %bb.190:
	s_or_b64 exec, exec, s[10:11]
.LBB89_191:
	s_or_b64 exec, exec, s[8:9]
.LBB89_192:
	s_or_b64 exec, exec, s[6:7]
	v_mov_b32_e32 v46, 0
	ds_read_b32 v46, v46 offset:48
	s_waitcnt lgkmcnt(0)
	v_mul_f32_e32 v46, v119, v46
.LBB89_193:
	s_or_b64 exec, exec, s[4:5]
	v_cmp_lt_u32_e64 s[2:3], 11, v0
	ds_write_b32 v118, v45
	s_waitcnt lgkmcnt(0)
	; wave barrier
	s_and_saveexec_b64 s[4:5], s[2:3]
	s_cbranch_execz .LBB89_209
; %bb.194:
	s_andn2_b64 vcc, exec, s[54:55]
	s_cbranch_vccnz .LBB89_196
; %bb.195:
	v_cmp_eq_u32_e32 vcc, 1, v0
	v_cndmask_b32_e32 v119, v34, v35, vcc
	v_cmp_eq_u32_e32 vcc, 2, v0
	v_cndmask_b32_e32 v119, v119, v36, vcc
	;; [unrolled: 2-line block ×21, first 2 shown]
	v_cmp_eq_u32_e32 vcc, 22, v0
	ds_read_b32 v120, v118
	v_cndmask_b32_e32 v119, v119, v56, vcc
	v_cmp_eq_u32_e32 vcc, 23, v0
	v_cndmask_b32_e32 v119, v119, v57, vcc
	v_cmp_eq_u32_e32 vcc, 24, v0
	;; [unrolled: 2-line block ×3, first 2 shown]
	v_cndmask_b32_e32 v119, v119, v59, vcc
	s_waitcnt lgkmcnt(0)
	v_mul_f32_e32 v119, v119, v120
	s_cbranch_execz .LBB89_197
	s_branch .LBB89_198
.LBB89_196:
                                        ; implicit-def: $vgpr119
.LBB89_197:
	ds_read_b32 v119, v118
.LBB89_198:
	s_and_saveexec_b64 s[6:7], s[0:1]
	s_cbranch_execz .LBB89_208
; %bb.199:
	v_add_u32_e32 v120, -13, v0
	v_add_u32_e32 v121, -12, v0
	v_cmp_lt_u32_e32 vcc, 6, v120
	v_mov_b32_e32 v120, 12
	s_and_saveexec_b64 s[0:1], vcc
	s_cbranch_execz .LBB89_203
; %bb.200:
	v_and_b32_e32 v120, -8, v121
	v_sub_u32_e32 v122, 0, v120
	s_mov_b64 s[8:9], 19
	s_movk_i32 s12, 0xa0
	s_mov_b64 s[10:11], 0
.LBB89_201:                             ; =>This Inner Loop Header: Depth=1
	s_add_i32 s13, s8, -7
	v_mov_b32_e32 v120, s12
	s_add_i32 s14, s8, -6
	s_set_gpr_idx_on s13, gpr_idx(SRC0)
	v_mov_b32_e32 v131, v34
	s_set_gpr_idx_off
	s_add_i32 s15, s8, -5
	ds_read_b128 v[123:126], v120
	ds_read_b128 v[127:130], v120 offset:16
	s_set_gpr_idx_on s14, gpr_idx(SRC0)
	v_mov_b32_e32 v120, v34
	s_set_gpr_idx_off
	s_add_i32 s16, s8, -4
	s_set_gpr_idx_on s15, gpr_idx(SRC0)
	v_mov_b32_e32 v132, v34
	s_set_gpr_idx_off
	s_add_i32 s17, s8, -3
	;; [unrolled: 4-line block ×4, first 2 shown]
	s_waitcnt lgkmcnt(1)
	v_fmac_f32_e32 v119, v131, v123
	s_set_gpr_idx_on s18, gpr_idx(SRC0)
	v_mov_b32_e32 v123, v34
	s_set_gpr_idx_off
	v_fmac_f32_e32 v119, v120, v124
	s_set_gpr_idx_on s19, gpr_idx(SRC0)
	v_mov_b32_e32 v124, v34
	s_set_gpr_idx_off
	;; [unrolled: 4-line block ×3, first 2 shown]
	v_fmac_f32_e32 v119, v133, v126
	s_add_u32 s8, s8, 8
	s_waitcnt lgkmcnt(0)
	v_fmac_f32_e32 v119, v134, v127
	v_add_u32_e32 v120, s8, v122
	v_fmac_f32_e32 v119, v123, v128
	s_addc_u32 s9, s9, 0
	s_add_i32 s12, s12, 32
	s_add_i32 s13, s8, -7
	v_cmp_eq_u32_e32 vcc, 19, v120
	v_fmac_f32_e32 v119, v124, v129
	v_mov_b32_e32 v120, s13
	s_or_b64 s[10:11], vcc, s[10:11]
	v_fmac_f32_e32 v119, v125, v130
	s_andn2_b64 exec, exec, s[10:11]
	s_cbranch_execnz .LBB89_201
; %bb.202:
	s_or_b64 exec, exec, s[10:11]
.LBB89_203:
	s_or_b64 exec, exec, s[0:1]
	v_and_b32_e32 v60, 7, v121
	v_cmp_ne_u32_e32 vcc, 0, v60
	s_and_saveexec_b64 s[8:9], vcc
	s_cbranch_execz .LBB89_207
; %bb.204:
	v_mov_b32_e32 v61, 0x70
	v_lshl_add_u32 v61, v120, 2, v61
	v_mov_b32_e32 v62, 0
	s_mov_b64 s[10:11], 0
.LBB89_205:                             ; =>This Inner Loop Header: Depth=1
	v_cmp_eq_u32_e32 vcc, 1, v120
	v_cndmask_b32_e32 v63, v34, v35, vcc
	v_add_u32_e32 v60, -1, v60
	v_cmp_eq_u32_e32 vcc, 2, v120
	v_cndmask_b32_e32 v63, v63, v36, vcc
	v_cmp_eq_u32_e32 vcc, 0, v60
	v_cmp_eq_u32_e64 s[0:1], 3, v120
	v_cndmask_b32_e64 v63, v63, v37, s[0:1]
	s_or_b64 s[10:11], vcc, s[10:11]
	v_cmp_eq_u32_e32 vcc, 4, v120
	v_cndmask_b32_e32 v63, v63, v38, vcc
	v_cmp_eq_u32_e32 vcc, 5, v120
	v_cndmask_b32_e32 v63, v63, v39, vcc
	;; [unrolled: 2-line block ×17, first 2 shown]
	v_cmp_eq_u32_e32 vcc, 21, v120
	ds_read_b32 v64, v61
	v_cndmask_b32_e32 v63, v63, v55, vcc
	v_cmp_eq_u32_e32 vcc, 22, v120
	v_cndmask_b32_e32 v63, v63, v56, vcc
	v_cmp_eq_u32_e32 vcc, 23, v120
	;; [unrolled: 2-line block ×4, first 2 shown]
	v_add_co_u32_e64 v120, s[0:1], 1, v120
	v_cndmask_b32_e32 v63, v63, v59, vcc
	v_add_u32_e32 v61, 4, v61
	v_addc_co_u32_e64 v62, s[0:1], 0, v62, s[0:1]
	s_waitcnt lgkmcnt(0)
	v_fmac_f32_e32 v119, v63, v64
	s_andn2_b64 exec, exec, s[10:11]
	s_cbranch_execnz .LBB89_205
; %bb.206:
	s_or_b64 exec, exec, s[10:11]
.LBB89_207:
	s_or_b64 exec, exec, s[8:9]
.LBB89_208:
	s_or_b64 exec, exec, s[6:7]
	v_mov_b32_e32 v45, 0
	ds_read_b32 v45, v45 offset:44
	s_waitcnt lgkmcnt(0)
	v_mul_f32_e32 v45, v119, v45
.LBB89_209:
	s_or_b64 exec, exec, s[4:5]
	v_cmp_lt_u32_e64 s[0:1], 10, v0
	ds_write_b32 v118, v44
	s_waitcnt lgkmcnt(0)
	; wave barrier
	s_and_saveexec_b64 s[4:5], s[0:1]
	s_cbranch_execz .LBB89_225
; %bb.210:
	s_andn2_b64 vcc, exec, s[54:55]
	s_cbranch_vccnz .LBB89_212
; %bb.211:
	v_cmp_eq_u32_e32 vcc, 1, v0
	v_cndmask_b32_e32 v119, v34, v35, vcc
	v_cmp_eq_u32_e32 vcc, 2, v0
	v_cndmask_b32_e32 v119, v119, v36, vcc
	;; [unrolled: 2-line block ×21, first 2 shown]
	v_cmp_eq_u32_e32 vcc, 22, v0
	ds_read_b32 v120, v118
	v_cndmask_b32_e32 v119, v119, v56, vcc
	v_cmp_eq_u32_e32 vcc, 23, v0
	v_cndmask_b32_e32 v119, v119, v57, vcc
	v_cmp_eq_u32_e32 vcc, 24, v0
	;; [unrolled: 2-line block ×3, first 2 shown]
	v_cndmask_b32_e32 v119, v119, v59, vcc
	s_waitcnt lgkmcnt(0)
	v_mul_f32_e32 v119, v119, v120
	s_cbranch_execz .LBB89_213
	s_branch .LBB89_214
.LBB89_212:
                                        ; implicit-def: $vgpr119
.LBB89_213:
	ds_read_b32 v119, v118
.LBB89_214:
	s_and_saveexec_b64 s[6:7], s[2:3]
	s_cbranch_execz .LBB89_224
; %bb.215:
	v_add_u32_e32 v120, -12, v0
	v_add_u32_e32 v121, -11, v0
	v_cmp_lt_u32_e32 vcc, 6, v120
	v_mov_b32_e32 v120, 11
	s_and_saveexec_b64 s[2:3], vcc
	s_cbranch_execz .LBB89_219
; %bb.216:
	v_and_b32_e32 v120, -8, v121
	v_sub_u32_e32 v122, 0, v120
	s_mov_b64 s[8:9], 18
	s_movk_i32 s12, 0x9c
	s_mov_b64 s[10:11], 0
.LBB89_217:                             ; =>This Inner Loop Header: Depth=1
	s_add_i32 s13, s8, -7
	v_mov_b32_e32 v120, s12
	s_add_i32 s14, s8, -6
	s_set_gpr_idx_on s13, gpr_idx(SRC0)
	v_mov_b32_e32 v129, v34
	s_set_gpr_idx_off
	ds_read2_b32 v[123:124], v120 offset1:1
	s_add_i32 s15, s8, -5
	s_set_gpr_idx_on s14, gpr_idx(SRC0)
	v_mov_b32_e32 v130, v34
	s_set_gpr_idx_off
	s_add_i32 s16, s8, -4
	s_set_gpr_idx_on s15, gpr_idx(SRC0)
	v_mov_b32_e32 v131, v34
	s_set_gpr_idx_off
	ds_read2_b32 v[125:126], v120 offset0:2 offset1:3
	s_add_i32 s17, s8, -3
	s_set_gpr_idx_on s16, gpr_idx(SRC0)
	v_mov_b32_e32 v132, v34
	s_set_gpr_idx_off
	s_add_i32 s18, s8, -2
	s_set_gpr_idx_on s17, gpr_idx(SRC0)
	v_mov_b32_e32 v133, v34
	s_set_gpr_idx_off
	ds_read2_b32 v[127:128], v120 offset0:4 offset1:5
	s_add_i32 s19, s8, -1
	s_waitcnt lgkmcnt(2)
	v_fmac_f32_e32 v119, v129, v123
	s_set_gpr_idx_on s18, gpr_idx(SRC0)
	v_mov_b32_e32 v129, v34
	s_set_gpr_idx_off
	v_fmac_f32_e32 v119, v130, v124
	s_set_gpr_idx_on s19, gpr_idx(SRC0)
	v_mov_b32_e32 v130, v34
	s_set_gpr_idx_off
	ds_read2_b32 v[123:124], v120 offset0:6 offset1:7
	s_waitcnt lgkmcnt(2)
	v_fmac_f32_e32 v119, v131, v125
	s_set_gpr_idx_on s8, gpr_idx(SRC0)
	v_mov_b32_e32 v125, v34
	s_set_gpr_idx_off
	v_fmac_f32_e32 v119, v132, v126
	s_add_u32 s8, s8, 8
	s_waitcnt lgkmcnt(1)
	v_fmac_f32_e32 v119, v133, v127
	v_add_u32_e32 v120, s8, v122
	v_fmac_f32_e32 v119, v129, v128
	s_addc_u32 s9, s9, 0
	s_add_i32 s12, s12, 32
	s_add_i32 s13, s8, -7
	v_cmp_eq_u32_e32 vcc, 18, v120
	s_waitcnt lgkmcnt(0)
	v_fmac_f32_e32 v119, v130, v123
	v_mov_b32_e32 v120, s13
	s_or_b64 s[10:11], vcc, s[10:11]
	v_fmac_f32_e32 v119, v125, v124
	s_andn2_b64 exec, exec, s[10:11]
	s_cbranch_execnz .LBB89_217
; %bb.218:
	s_or_b64 exec, exec, s[10:11]
.LBB89_219:
	s_or_b64 exec, exec, s[2:3]
	v_and_b32_e32 v60, 7, v121
	v_cmp_ne_u32_e32 vcc, 0, v60
	s_and_saveexec_b64 s[8:9], vcc
	s_cbranch_execz .LBB89_223
; %bb.220:
	v_mov_b32_e32 v61, 0x70
	v_lshl_add_u32 v61, v120, 2, v61
	v_mov_b32_e32 v62, 0
	s_mov_b64 s[10:11], 0
.LBB89_221:                             ; =>This Inner Loop Header: Depth=1
	v_cmp_eq_u32_e32 vcc, 1, v120
	v_cndmask_b32_e32 v63, v34, v35, vcc
	v_add_u32_e32 v60, -1, v60
	v_cmp_eq_u32_e32 vcc, 2, v120
	v_cndmask_b32_e32 v63, v63, v36, vcc
	v_cmp_eq_u32_e32 vcc, 0, v60
	v_cmp_eq_u32_e64 s[2:3], 3, v120
	v_cndmask_b32_e64 v63, v63, v37, s[2:3]
	s_or_b64 s[10:11], vcc, s[10:11]
	v_cmp_eq_u32_e32 vcc, 4, v120
	v_cndmask_b32_e32 v63, v63, v38, vcc
	v_cmp_eq_u32_e32 vcc, 5, v120
	v_cndmask_b32_e32 v63, v63, v39, vcc
	;; [unrolled: 2-line block ×17, first 2 shown]
	v_cmp_eq_u32_e32 vcc, 21, v120
	ds_read_b32 v64, v61
	v_cndmask_b32_e32 v63, v63, v55, vcc
	v_cmp_eq_u32_e32 vcc, 22, v120
	v_cndmask_b32_e32 v63, v63, v56, vcc
	v_cmp_eq_u32_e32 vcc, 23, v120
	;; [unrolled: 2-line block ×4, first 2 shown]
	v_add_co_u32_e64 v120, s[2:3], 1, v120
	v_cndmask_b32_e32 v63, v63, v59, vcc
	v_add_u32_e32 v61, 4, v61
	v_addc_co_u32_e64 v62, s[2:3], 0, v62, s[2:3]
	s_waitcnt lgkmcnt(0)
	v_fmac_f32_e32 v119, v63, v64
	s_andn2_b64 exec, exec, s[10:11]
	s_cbranch_execnz .LBB89_221
; %bb.222:
	s_or_b64 exec, exec, s[10:11]
.LBB89_223:
	s_or_b64 exec, exec, s[8:9]
.LBB89_224:
	s_or_b64 exec, exec, s[6:7]
	v_mov_b32_e32 v44, 0
	ds_read_b32 v44, v44 offset:40
	s_waitcnt lgkmcnt(0)
	v_mul_f32_e32 v44, v119, v44
.LBB89_225:
	s_or_b64 exec, exec, s[4:5]
	v_cmp_lt_u32_e64 s[2:3], 9, v0
	ds_write_b32 v118, v43
	s_waitcnt lgkmcnt(0)
	; wave barrier
	s_and_saveexec_b64 s[4:5], s[2:3]
	s_cbranch_execz .LBB89_241
; %bb.226:
	s_andn2_b64 vcc, exec, s[54:55]
	s_cbranch_vccnz .LBB89_228
; %bb.227:
	v_cmp_eq_u32_e32 vcc, 1, v0
	v_cndmask_b32_e32 v119, v34, v35, vcc
	v_cmp_eq_u32_e32 vcc, 2, v0
	v_cndmask_b32_e32 v119, v119, v36, vcc
	;; [unrolled: 2-line block ×21, first 2 shown]
	v_cmp_eq_u32_e32 vcc, 22, v0
	ds_read_b32 v120, v118
	v_cndmask_b32_e32 v119, v119, v56, vcc
	v_cmp_eq_u32_e32 vcc, 23, v0
	v_cndmask_b32_e32 v119, v119, v57, vcc
	v_cmp_eq_u32_e32 vcc, 24, v0
	;; [unrolled: 2-line block ×3, first 2 shown]
	v_cndmask_b32_e32 v119, v119, v59, vcc
	s_waitcnt lgkmcnt(0)
	v_mul_f32_e32 v119, v119, v120
	s_cbranch_execz .LBB89_229
	s_branch .LBB89_230
.LBB89_228:
                                        ; implicit-def: $vgpr119
.LBB89_229:
	ds_read_b32 v119, v118
.LBB89_230:
	s_and_saveexec_b64 s[6:7], s[0:1]
	s_cbranch_execz .LBB89_240
; %bb.231:
	v_add_u32_e32 v120, -11, v0
	v_add_u32_e32 v121, -10, v0
	v_cmp_lt_u32_e32 vcc, 6, v120
	v_mov_b32_e32 v120, 10
	s_and_saveexec_b64 s[0:1], vcc
	s_cbranch_execz .LBB89_235
; %bb.232:
	v_and_b32_e32 v120, -8, v121
	v_sub_u32_e32 v122, 0, v120
	s_mov_b64 s[8:9], 17
	s_movk_i32 s12, 0x98
	s_mov_b64 s[10:11], 0
.LBB89_233:                             ; =>This Inner Loop Header: Depth=1
	s_add_i32 s13, s8, -7
	v_mov_b32_e32 v120, s12
	s_add_i32 s14, s8, -6
	s_set_gpr_idx_on s13, gpr_idx(SRC0)
	v_mov_b32_e32 v131, v34
	s_set_gpr_idx_off
	ds_read2_b64 v[123:126], v120 offset1:1
	s_add_i32 s15, s8, -5
	s_set_gpr_idx_on s14, gpr_idx(SRC0)
	v_mov_b32_e32 v132, v34
	s_set_gpr_idx_off
	s_add_i32 s16, s8, -4
	s_set_gpr_idx_on s15, gpr_idx(SRC0)
	v_mov_b32_e32 v133, v34
	s_set_gpr_idx_off
	;; [unrolled: 4-line block ×4, first 2 shown]
	ds_read2_b64 v[127:130], v120 offset0:2 offset1:3
	s_add_i32 s19, s8, -1
	s_waitcnt lgkmcnt(1)
	v_fmac_f32_e32 v119, v131, v123
	s_set_gpr_idx_on s18, gpr_idx(SRC0)
	v_mov_b32_e32 v123, v34
	s_set_gpr_idx_off
	v_fmac_f32_e32 v119, v132, v124
	s_set_gpr_idx_on s19, gpr_idx(SRC0)
	v_mov_b32_e32 v124, v34
	s_set_gpr_idx_off
	;; [unrolled: 4-line block ×3, first 2 shown]
	v_fmac_f32_e32 v119, v134, v126
	s_add_u32 s8, s8, 8
	s_waitcnt lgkmcnt(0)
	v_fmac_f32_e32 v119, v135, v127
	v_add_u32_e32 v120, s8, v122
	v_fmac_f32_e32 v119, v123, v128
	s_addc_u32 s9, s9, 0
	s_add_i32 s12, s12, 32
	s_add_i32 s13, s8, -7
	v_cmp_eq_u32_e32 vcc, 17, v120
	v_fmac_f32_e32 v119, v124, v129
	v_mov_b32_e32 v120, s13
	s_or_b64 s[10:11], vcc, s[10:11]
	v_fmac_f32_e32 v119, v125, v130
	s_andn2_b64 exec, exec, s[10:11]
	s_cbranch_execnz .LBB89_233
; %bb.234:
	s_or_b64 exec, exec, s[10:11]
.LBB89_235:
	s_or_b64 exec, exec, s[0:1]
	v_and_b32_e32 v60, 7, v121
	v_cmp_ne_u32_e32 vcc, 0, v60
	s_and_saveexec_b64 s[8:9], vcc
	s_cbranch_execz .LBB89_239
; %bb.236:
	v_mov_b32_e32 v61, 0x70
	v_lshl_add_u32 v61, v120, 2, v61
	v_mov_b32_e32 v62, 0
	s_mov_b64 s[10:11], 0
.LBB89_237:                             ; =>This Inner Loop Header: Depth=1
	v_cmp_eq_u32_e32 vcc, 1, v120
	v_cndmask_b32_e32 v63, v34, v35, vcc
	v_add_u32_e32 v60, -1, v60
	v_cmp_eq_u32_e32 vcc, 2, v120
	v_cndmask_b32_e32 v63, v63, v36, vcc
	v_cmp_eq_u32_e32 vcc, 0, v60
	v_cmp_eq_u32_e64 s[0:1], 3, v120
	v_cndmask_b32_e64 v63, v63, v37, s[0:1]
	s_or_b64 s[10:11], vcc, s[10:11]
	v_cmp_eq_u32_e32 vcc, 4, v120
	v_cndmask_b32_e32 v63, v63, v38, vcc
	v_cmp_eq_u32_e32 vcc, 5, v120
	v_cndmask_b32_e32 v63, v63, v39, vcc
	;; [unrolled: 2-line block ×17, first 2 shown]
	v_cmp_eq_u32_e32 vcc, 21, v120
	ds_read_b32 v64, v61
	v_cndmask_b32_e32 v63, v63, v55, vcc
	v_cmp_eq_u32_e32 vcc, 22, v120
	v_cndmask_b32_e32 v63, v63, v56, vcc
	v_cmp_eq_u32_e32 vcc, 23, v120
	;; [unrolled: 2-line block ×4, first 2 shown]
	v_add_co_u32_e64 v120, s[0:1], 1, v120
	v_cndmask_b32_e32 v63, v63, v59, vcc
	v_add_u32_e32 v61, 4, v61
	v_addc_co_u32_e64 v62, s[0:1], 0, v62, s[0:1]
	s_waitcnt lgkmcnt(0)
	v_fmac_f32_e32 v119, v63, v64
	s_andn2_b64 exec, exec, s[10:11]
	s_cbranch_execnz .LBB89_237
; %bb.238:
	s_or_b64 exec, exec, s[10:11]
.LBB89_239:
	s_or_b64 exec, exec, s[8:9]
.LBB89_240:
	s_or_b64 exec, exec, s[6:7]
	v_mov_b32_e32 v43, 0
	ds_read_b32 v43, v43 offset:36
	s_waitcnt lgkmcnt(0)
	v_mul_f32_e32 v43, v119, v43
.LBB89_241:
	s_or_b64 exec, exec, s[4:5]
	v_cmp_lt_u32_e64 s[0:1], 8, v0
	ds_write_b32 v118, v42
	s_waitcnt lgkmcnt(0)
	; wave barrier
	s_and_saveexec_b64 s[4:5], s[0:1]
	s_cbranch_execz .LBB89_257
; %bb.242:
	s_andn2_b64 vcc, exec, s[54:55]
	s_cbranch_vccnz .LBB89_244
; %bb.243:
	v_cmp_eq_u32_e32 vcc, 1, v0
	v_cndmask_b32_e32 v119, v34, v35, vcc
	v_cmp_eq_u32_e32 vcc, 2, v0
	v_cndmask_b32_e32 v119, v119, v36, vcc
	;; [unrolled: 2-line block ×21, first 2 shown]
	v_cmp_eq_u32_e32 vcc, 22, v0
	ds_read_b32 v120, v118
	v_cndmask_b32_e32 v119, v119, v56, vcc
	v_cmp_eq_u32_e32 vcc, 23, v0
	v_cndmask_b32_e32 v119, v119, v57, vcc
	v_cmp_eq_u32_e32 vcc, 24, v0
	;; [unrolled: 2-line block ×3, first 2 shown]
	v_cndmask_b32_e32 v119, v119, v59, vcc
	s_waitcnt lgkmcnt(0)
	v_mul_f32_e32 v119, v119, v120
	s_cbranch_execz .LBB89_245
	s_branch .LBB89_246
.LBB89_244:
                                        ; implicit-def: $vgpr119
.LBB89_245:
	ds_read_b32 v119, v118
.LBB89_246:
	s_and_saveexec_b64 s[6:7], s[2:3]
	s_cbranch_execz .LBB89_256
; %bb.247:
	v_add_u32_e32 v120, -10, v0
	v_add_u32_e32 v121, -9, v0
	v_cmp_lt_u32_e32 vcc, 6, v120
	v_mov_b32_e32 v120, 9
	s_and_saveexec_b64 s[2:3], vcc
	s_cbranch_execz .LBB89_251
; %bb.248:
	v_and_b32_e32 v120, -8, v121
	v_sub_u32_e32 v122, 0, v120
	s_mov_b64 s[8:9], 16
	s_movk_i32 s12, 0x94
	s_mov_b64 s[10:11], 0
.LBB89_249:                             ; =>This Inner Loop Header: Depth=1
	s_add_i32 s13, s8, -7
	v_mov_b32_e32 v120, s12
	s_add_i32 s14, s8, -6
	s_set_gpr_idx_on s13, gpr_idx(SRC0)
	v_mov_b32_e32 v129, v34
	s_set_gpr_idx_off
	ds_read2_b32 v[123:124], v120 offset1:1
	s_add_i32 s15, s8, -5
	s_set_gpr_idx_on s14, gpr_idx(SRC0)
	v_mov_b32_e32 v130, v34
	s_set_gpr_idx_off
	s_add_i32 s16, s8, -4
	s_set_gpr_idx_on s15, gpr_idx(SRC0)
	v_mov_b32_e32 v131, v34
	s_set_gpr_idx_off
	ds_read2_b32 v[125:126], v120 offset0:2 offset1:3
	s_add_i32 s17, s8, -3
	s_set_gpr_idx_on s16, gpr_idx(SRC0)
	v_mov_b32_e32 v132, v34
	s_set_gpr_idx_off
	s_add_i32 s18, s8, -2
	s_set_gpr_idx_on s17, gpr_idx(SRC0)
	v_mov_b32_e32 v133, v34
	s_set_gpr_idx_off
	ds_read2_b32 v[127:128], v120 offset0:4 offset1:5
	s_add_i32 s19, s8, -1
	s_waitcnt lgkmcnt(2)
	v_fmac_f32_e32 v119, v129, v123
	s_set_gpr_idx_on s18, gpr_idx(SRC0)
	v_mov_b32_e32 v129, v34
	s_set_gpr_idx_off
	v_fmac_f32_e32 v119, v130, v124
	s_set_gpr_idx_on s19, gpr_idx(SRC0)
	v_mov_b32_e32 v130, v34
	s_set_gpr_idx_off
	ds_read2_b32 v[123:124], v120 offset0:6 offset1:7
	s_waitcnt lgkmcnt(2)
	v_fmac_f32_e32 v119, v131, v125
	s_set_gpr_idx_on s8, gpr_idx(SRC0)
	v_mov_b32_e32 v125, v34
	s_set_gpr_idx_off
	v_fmac_f32_e32 v119, v132, v126
	s_add_u32 s8, s8, 8
	s_waitcnt lgkmcnt(1)
	v_fmac_f32_e32 v119, v133, v127
	v_add_u32_e32 v120, s8, v122
	v_fmac_f32_e32 v119, v129, v128
	s_addc_u32 s9, s9, 0
	s_add_i32 s12, s12, 32
	s_add_i32 s13, s8, -7
	v_cmp_eq_u32_e32 vcc, 16, v120
	s_waitcnt lgkmcnt(0)
	v_fmac_f32_e32 v119, v130, v123
	v_mov_b32_e32 v120, s13
	s_or_b64 s[10:11], vcc, s[10:11]
	v_fmac_f32_e32 v119, v125, v124
	s_andn2_b64 exec, exec, s[10:11]
	s_cbranch_execnz .LBB89_249
; %bb.250:
	s_or_b64 exec, exec, s[10:11]
.LBB89_251:
	s_or_b64 exec, exec, s[2:3]
	v_and_b32_e32 v60, 7, v121
	v_cmp_ne_u32_e32 vcc, 0, v60
	s_and_saveexec_b64 s[8:9], vcc
	s_cbranch_execz .LBB89_255
; %bb.252:
	v_mov_b32_e32 v61, 0x70
	v_lshl_add_u32 v61, v120, 2, v61
	v_mov_b32_e32 v62, 0
	s_mov_b64 s[10:11], 0
.LBB89_253:                             ; =>This Inner Loop Header: Depth=1
	v_cmp_eq_u32_e32 vcc, 1, v120
	v_cndmask_b32_e32 v63, v34, v35, vcc
	v_add_u32_e32 v60, -1, v60
	v_cmp_eq_u32_e32 vcc, 2, v120
	v_cndmask_b32_e32 v63, v63, v36, vcc
	v_cmp_eq_u32_e32 vcc, 0, v60
	v_cmp_eq_u32_e64 s[2:3], 3, v120
	v_cndmask_b32_e64 v63, v63, v37, s[2:3]
	s_or_b64 s[10:11], vcc, s[10:11]
	v_cmp_eq_u32_e32 vcc, 4, v120
	v_cndmask_b32_e32 v63, v63, v38, vcc
	v_cmp_eq_u32_e32 vcc, 5, v120
	v_cndmask_b32_e32 v63, v63, v39, vcc
	;; [unrolled: 2-line block ×17, first 2 shown]
	v_cmp_eq_u32_e32 vcc, 21, v120
	ds_read_b32 v64, v61
	v_cndmask_b32_e32 v63, v63, v55, vcc
	v_cmp_eq_u32_e32 vcc, 22, v120
	v_cndmask_b32_e32 v63, v63, v56, vcc
	v_cmp_eq_u32_e32 vcc, 23, v120
	;; [unrolled: 2-line block ×4, first 2 shown]
	v_add_co_u32_e64 v120, s[2:3], 1, v120
	v_cndmask_b32_e32 v63, v63, v59, vcc
	v_add_u32_e32 v61, 4, v61
	v_addc_co_u32_e64 v62, s[2:3], 0, v62, s[2:3]
	s_waitcnt lgkmcnt(0)
	v_fmac_f32_e32 v119, v63, v64
	s_andn2_b64 exec, exec, s[10:11]
	s_cbranch_execnz .LBB89_253
; %bb.254:
	s_or_b64 exec, exec, s[10:11]
.LBB89_255:
	s_or_b64 exec, exec, s[8:9]
.LBB89_256:
	s_or_b64 exec, exec, s[6:7]
	v_mov_b32_e32 v42, 0
	ds_read_b32 v42, v42 offset:32
	s_waitcnt lgkmcnt(0)
	v_mul_f32_e32 v42, v119, v42
.LBB89_257:
	s_or_b64 exec, exec, s[4:5]
	v_cmp_lt_u32_e64 s[2:3], 7, v0
	ds_write_b32 v118, v41
	s_waitcnt lgkmcnt(0)
	; wave barrier
	s_and_saveexec_b64 s[4:5], s[2:3]
	s_cbranch_execz .LBB89_273
; %bb.258:
	s_andn2_b64 vcc, exec, s[54:55]
	s_cbranch_vccnz .LBB89_260
; %bb.259:
	v_cmp_eq_u32_e32 vcc, 1, v0
	v_cndmask_b32_e32 v119, v34, v35, vcc
	v_cmp_eq_u32_e32 vcc, 2, v0
	v_cndmask_b32_e32 v119, v119, v36, vcc
	;; [unrolled: 2-line block ×21, first 2 shown]
	v_cmp_eq_u32_e32 vcc, 22, v0
	ds_read_b32 v120, v118
	v_cndmask_b32_e32 v119, v119, v56, vcc
	v_cmp_eq_u32_e32 vcc, 23, v0
	v_cndmask_b32_e32 v119, v119, v57, vcc
	v_cmp_eq_u32_e32 vcc, 24, v0
	;; [unrolled: 2-line block ×3, first 2 shown]
	v_cndmask_b32_e32 v119, v119, v59, vcc
	s_waitcnt lgkmcnt(0)
	v_mul_f32_e32 v119, v119, v120
	s_cbranch_execz .LBB89_261
	s_branch .LBB89_262
.LBB89_260:
                                        ; implicit-def: $vgpr119
.LBB89_261:
	ds_read_b32 v119, v118
.LBB89_262:
	s_and_saveexec_b64 s[6:7], s[0:1]
	s_cbranch_execz .LBB89_272
; %bb.263:
	v_add_u32_e32 v120, -9, v0
	v_cmp_lt_u32_e32 vcc, 6, v120
	v_mov_b32_e32 v120, 8
	s_and_saveexec_b64 s[0:1], vcc
	s_cbranch_execz .LBB89_267
; %bb.264:
	v_and_b32_e32 v120, 24, v0
	v_sub_u32_e32 v121, 0, v120
	s_mov_b64 s[8:9], 15
	s_movk_i32 s12, 0x90
	s_mov_b64 s[10:11], 0
.LBB89_265:                             ; =>This Inner Loop Header: Depth=1
	s_add_i32 s13, s8, -7
	v_mov_b32_e32 v120, s12
	s_add_i32 s14, s8, -6
	s_set_gpr_idx_on s13, gpr_idx(SRC0)
	v_mov_b32_e32 v130, v34
	s_set_gpr_idx_off
	s_add_i32 s15, s8, -5
	ds_read_b128 v[122:125], v120
	ds_read_b128 v[126:129], v120 offset:16
	s_set_gpr_idx_on s14, gpr_idx(SRC0)
	v_mov_b32_e32 v120, v34
	s_set_gpr_idx_off
	s_add_i32 s16, s8, -4
	s_set_gpr_idx_on s15, gpr_idx(SRC0)
	v_mov_b32_e32 v131, v34
	s_set_gpr_idx_off
	s_add_i32 s17, s8, -3
	;; [unrolled: 4-line block ×4, first 2 shown]
	s_waitcnt lgkmcnt(1)
	v_fmac_f32_e32 v119, v130, v122
	s_set_gpr_idx_on s18, gpr_idx(SRC0)
	v_mov_b32_e32 v122, v34
	s_set_gpr_idx_off
	v_fmac_f32_e32 v119, v120, v123
	s_set_gpr_idx_on s19, gpr_idx(SRC0)
	v_mov_b32_e32 v123, v34
	s_set_gpr_idx_off
	;; [unrolled: 4-line block ×3, first 2 shown]
	v_fmac_f32_e32 v119, v132, v125
	s_add_u32 s8, s8, 8
	s_waitcnt lgkmcnt(0)
	v_fmac_f32_e32 v119, v133, v126
	v_add_u32_e32 v120, s8, v121
	v_fmac_f32_e32 v119, v122, v127
	s_addc_u32 s9, s9, 0
	s_add_i32 s12, s12, 32
	s_add_i32 s13, s8, -7
	v_cmp_eq_u32_e32 vcc, 7, v120
	v_fmac_f32_e32 v119, v123, v128
	v_mov_b32_e32 v120, s13
	s_or_b64 s[10:11], vcc, s[10:11]
	v_fmac_f32_e32 v119, v124, v129
	s_andn2_b64 exec, exec, s[10:11]
	s_cbranch_execnz .LBB89_265
; %bb.266:
	s_or_b64 exec, exec, s[10:11]
.LBB89_267:
	s_or_b64 exec, exec, s[0:1]
	v_and_b32_e32 v60, 7, v0
	v_cmp_ne_u32_e32 vcc, 0, v60
	s_and_saveexec_b64 s[8:9], vcc
	s_cbranch_execz .LBB89_271
; %bb.268:
	v_mov_b32_e32 v61, 0x70
	v_lshl_add_u32 v61, v120, 2, v61
	v_mov_b32_e32 v62, 0
	s_mov_b64 s[10:11], 0
.LBB89_269:                             ; =>This Inner Loop Header: Depth=1
	v_cmp_eq_u32_e32 vcc, 1, v120
	v_cndmask_b32_e32 v63, v34, v35, vcc
	v_add_u32_e32 v60, -1, v60
	v_cmp_eq_u32_e32 vcc, 2, v120
	v_cndmask_b32_e32 v63, v63, v36, vcc
	v_cmp_eq_u32_e32 vcc, 0, v60
	v_cmp_eq_u32_e64 s[0:1], 3, v120
	v_cndmask_b32_e64 v63, v63, v37, s[0:1]
	s_or_b64 s[10:11], vcc, s[10:11]
	v_cmp_eq_u32_e32 vcc, 4, v120
	v_cndmask_b32_e32 v63, v63, v38, vcc
	v_cmp_eq_u32_e32 vcc, 5, v120
	v_cndmask_b32_e32 v63, v63, v39, vcc
	;; [unrolled: 2-line block ×17, first 2 shown]
	v_cmp_eq_u32_e32 vcc, 21, v120
	ds_read_b32 v64, v61
	v_cndmask_b32_e32 v63, v63, v55, vcc
	v_cmp_eq_u32_e32 vcc, 22, v120
	v_cndmask_b32_e32 v63, v63, v56, vcc
	v_cmp_eq_u32_e32 vcc, 23, v120
	;; [unrolled: 2-line block ×4, first 2 shown]
	v_add_co_u32_e64 v120, s[0:1], 1, v120
	v_cndmask_b32_e32 v63, v63, v59, vcc
	v_add_u32_e32 v61, 4, v61
	v_addc_co_u32_e64 v62, s[0:1], 0, v62, s[0:1]
	s_waitcnt lgkmcnt(0)
	v_fmac_f32_e32 v119, v63, v64
	s_andn2_b64 exec, exec, s[10:11]
	s_cbranch_execnz .LBB89_269
; %bb.270:
	s_or_b64 exec, exec, s[10:11]
.LBB89_271:
	s_or_b64 exec, exec, s[8:9]
.LBB89_272:
	s_or_b64 exec, exec, s[6:7]
	v_mov_b32_e32 v41, 0
	ds_read_b32 v41, v41 offset:28
	s_waitcnt lgkmcnt(0)
	v_mul_f32_e32 v41, v119, v41
.LBB89_273:
	s_or_b64 exec, exec, s[4:5]
	v_cmp_lt_u32_e64 s[0:1], 6, v0
	ds_write_b32 v118, v40
	s_waitcnt lgkmcnt(0)
	; wave barrier
	s_and_saveexec_b64 s[4:5], s[0:1]
	s_cbranch_execz .LBB89_289
; %bb.274:
	s_andn2_b64 vcc, exec, s[54:55]
	s_cbranch_vccnz .LBB89_276
; %bb.275:
	v_cmp_eq_u32_e32 vcc, 1, v0
	v_cndmask_b32_e32 v119, v34, v35, vcc
	v_cmp_eq_u32_e32 vcc, 2, v0
	v_cndmask_b32_e32 v119, v119, v36, vcc
	;; [unrolled: 2-line block ×21, first 2 shown]
	v_cmp_eq_u32_e32 vcc, 22, v0
	ds_read_b32 v120, v118
	v_cndmask_b32_e32 v119, v119, v56, vcc
	v_cmp_eq_u32_e32 vcc, 23, v0
	v_cndmask_b32_e32 v119, v119, v57, vcc
	v_cmp_eq_u32_e32 vcc, 24, v0
	;; [unrolled: 2-line block ×3, first 2 shown]
	v_cndmask_b32_e32 v119, v119, v59, vcc
	s_waitcnt lgkmcnt(0)
	v_mul_f32_e32 v119, v119, v120
	s_cbranch_execz .LBB89_277
	s_branch .LBB89_278
.LBB89_276:
                                        ; implicit-def: $vgpr119
.LBB89_277:
	ds_read_b32 v119, v118
.LBB89_278:
	s_and_saveexec_b64 s[6:7], s[2:3]
	s_cbranch_execz .LBB89_288
; %bb.279:
	v_add_u32_e32 v120, -8, v0
	v_add_u32_e32 v121, -7, v0
	v_cmp_lt_u32_e32 vcc, 6, v120
	v_mov_b32_e32 v120, 7
	s_and_saveexec_b64 s[2:3], vcc
	s_cbranch_execz .LBB89_283
; %bb.280:
	v_and_b32_e32 v120, -8, v121
	v_sub_u32_e32 v122, 0, v120
	s_mov_b64 s[8:9], 14
	s_movk_i32 s12, 0x8c
	s_mov_b64 s[10:11], 0
.LBB89_281:                             ; =>This Inner Loop Header: Depth=1
	s_add_i32 s13, s8, -7
	v_mov_b32_e32 v120, s12
	s_add_i32 s14, s8, -6
	s_set_gpr_idx_on s13, gpr_idx(SRC0)
	v_mov_b32_e32 v129, v34
	s_set_gpr_idx_off
	ds_read2_b32 v[123:124], v120 offset1:1
	s_add_i32 s15, s8, -5
	s_set_gpr_idx_on s14, gpr_idx(SRC0)
	v_mov_b32_e32 v130, v34
	s_set_gpr_idx_off
	s_add_i32 s16, s8, -4
	s_set_gpr_idx_on s15, gpr_idx(SRC0)
	v_mov_b32_e32 v131, v34
	s_set_gpr_idx_off
	ds_read2_b32 v[125:126], v120 offset0:2 offset1:3
	s_add_i32 s17, s8, -3
	s_set_gpr_idx_on s16, gpr_idx(SRC0)
	v_mov_b32_e32 v132, v34
	s_set_gpr_idx_off
	s_add_i32 s18, s8, -2
	s_set_gpr_idx_on s17, gpr_idx(SRC0)
	v_mov_b32_e32 v133, v34
	s_set_gpr_idx_off
	ds_read2_b32 v[127:128], v120 offset0:4 offset1:5
	s_add_i32 s19, s8, -1
	s_waitcnt lgkmcnt(2)
	v_fmac_f32_e32 v119, v129, v123
	s_set_gpr_idx_on s18, gpr_idx(SRC0)
	v_mov_b32_e32 v129, v34
	s_set_gpr_idx_off
	v_fmac_f32_e32 v119, v130, v124
	s_set_gpr_idx_on s19, gpr_idx(SRC0)
	v_mov_b32_e32 v130, v34
	s_set_gpr_idx_off
	ds_read2_b32 v[123:124], v120 offset0:6 offset1:7
	s_waitcnt lgkmcnt(2)
	v_fmac_f32_e32 v119, v131, v125
	s_set_gpr_idx_on s8, gpr_idx(SRC0)
	v_mov_b32_e32 v125, v34
	s_set_gpr_idx_off
	v_fmac_f32_e32 v119, v132, v126
	s_add_u32 s8, s8, 8
	s_waitcnt lgkmcnt(1)
	v_fmac_f32_e32 v119, v133, v127
	v_add_u32_e32 v120, s8, v122
	v_fmac_f32_e32 v119, v129, v128
	s_addc_u32 s9, s9, 0
	s_add_i32 s12, s12, 32
	s_add_i32 s13, s8, -7
	v_cmp_eq_u32_e32 vcc, 14, v120
	s_waitcnt lgkmcnt(0)
	v_fmac_f32_e32 v119, v130, v123
	v_mov_b32_e32 v120, s13
	s_or_b64 s[10:11], vcc, s[10:11]
	v_fmac_f32_e32 v119, v125, v124
	s_andn2_b64 exec, exec, s[10:11]
	s_cbranch_execnz .LBB89_281
; %bb.282:
	s_or_b64 exec, exec, s[10:11]
.LBB89_283:
	s_or_b64 exec, exec, s[2:3]
	v_and_b32_e32 v60, 7, v121
	v_cmp_ne_u32_e32 vcc, 0, v60
	s_and_saveexec_b64 s[8:9], vcc
	s_cbranch_execz .LBB89_287
; %bb.284:
	v_mov_b32_e32 v61, 0x70
	v_lshl_add_u32 v61, v120, 2, v61
	v_mov_b32_e32 v62, 0
	s_mov_b64 s[10:11], 0
.LBB89_285:                             ; =>This Inner Loop Header: Depth=1
	v_cmp_eq_u32_e32 vcc, 1, v120
	v_cndmask_b32_e32 v63, v34, v35, vcc
	v_add_u32_e32 v60, -1, v60
	v_cmp_eq_u32_e32 vcc, 2, v120
	v_cndmask_b32_e32 v63, v63, v36, vcc
	v_cmp_eq_u32_e32 vcc, 0, v60
	v_cmp_eq_u32_e64 s[2:3], 3, v120
	v_cndmask_b32_e64 v63, v63, v37, s[2:3]
	s_or_b64 s[10:11], vcc, s[10:11]
	v_cmp_eq_u32_e32 vcc, 4, v120
	v_cndmask_b32_e32 v63, v63, v38, vcc
	v_cmp_eq_u32_e32 vcc, 5, v120
	v_cndmask_b32_e32 v63, v63, v39, vcc
	;; [unrolled: 2-line block ×17, first 2 shown]
	v_cmp_eq_u32_e32 vcc, 21, v120
	ds_read_b32 v64, v61
	v_cndmask_b32_e32 v63, v63, v55, vcc
	v_cmp_eq_u32_e32 vcc, 22, v120
	v_cndmask_b32_e32 v63, v63, v56, vcc
	v_cmp_eq_u32_e32 vcc, 23, v120
	;; [unrolled: 2-line block ×4, first 2 shown]
	v_add_co_u32_e64 v120, s[2:3], 1, v120
	v_cndmask_b32_e32 v63, v63, v59, vcc
	v_add_u32_e32 v61, 4, v61
	v_addc_co_u32_e64 v62, s[2:3], 0, v62, s[2:3]
	s_waitcnt lgkmcnt(0)
	v_fmac_f32_e32 v119, v63, v64
	s_andn2_b64 exec, exec, s[10:11]
	s_cbranch_execnz .LBB89_285
; %bb.286:
	s_or_b64 exec, exec, s[10:11]
.LBB89_287:
	s_or_b64 exec, exec, s[8:9]
.LBB89_288:
	s_or_b64 exec, exec, s[6:7]
	v_mov_b32_e32 v40, 0
	ds_read_b32 v40, v40 offset:24
	s_waitcnt lgkmcnt(0)
	v_mul_f32_e32 v40, v119, v40
.LBB89_289:
	s_or_b64 exec, exec, s[4:5]
	v_cmp_lt_u32_e64 s[2:3], 5, v0
	ds_write_b32 v118, v39
	s_waitcnt lgkmcnt(0)
	; wave barrier
	s_and_saveexec_b64 s[4:5], s[2:3]
	s_cbranch_execz .LBB89_305
; %bb.290:
	s_andn2_b64 vcc, exec, s[54:55]
	s_cbranch_vccnz .LBB89_292
; %bb.291:
	v_cmp_eq_u32_e32 vcc, 1, v0
	v_cndmask_b32_e32 v119, v34, v35, vcc
	v_cmp_eq_u32_e32 vcc, 2, v0
	v_cndmask_b32_e32 v119, v119, v36, vcc
	v_cmp_eq_u32_e32 vcc, 3, v0
	v_cndmask_b32_e32 v119, v119, v37, vcc
	v_cmp_eq_u32_e32 vcc, 4, v0
	v_cndmask_b32_e32 v119, v119, v38, vcc
	v_cmp_eq_u32_e32 vcc, 5, v0
	v_cndmask_b32_e32 v119, v119, v39, vcc
	v_cmp_eq_u32_e32 vcc, 6, v0
	v_cndmask_b32_e32 v119, v119, v40, vcc
	v_cmp_eq_u32_e32 vcc, 7, v0
	v_cndmask_b32_e32 v119, v119, v41, vcc
	v_cmp_eq_u32_e32 vcc, 8, v0
	v_cndmask_b32_e32 v119, v119, v42, vcc
	v_cmp_eq_u32_e32 vcc, 9, v0
	v_cndmask_b32_e32 v119, v119, v43, vcc
	v_cmp_eq_u32_e32 vcc, 10, v0
	v_cndmask_b32_e32 v119, v119, v44, vcc
	v_cmp_eq_u32_e32 vcc, 11, v0
	v_cndmask_b32_e32 v119, v119, v45, vcc
	v_cmp_eq_u32_e32 vcc, 12, v0
	v_cndmask_b32_e32 v119, v119, v46, vcc
	v_cmp_eq_u32_e32 vcc, 13, v0
	v_cndmask_b32_e32 v119, v119, v47, vcc
	v_cmp_eq_u32_e32 vcc, 14, v0
	v_cndmask_b32_e32 v119, v119, v48, vcc
	v_cmp_eq_u32_e32 vcc, 15, v0
	v_cndmask_b32_e32 v119, v119, v49, vcc
	v_cmp_eq_u32_e32 vcc, 16, v0
	v_cndmask_b32_e32 v119, v119, v50, vcc
	v_cmp_eq_u32_e32 vcc, 17, v0
	v_cndmask_b32_e32 v119, v119, v51, vcc
	v_cmp_eq_u32_e32 vcc, 18, v0
	v_cndmask_b32_e32 v119, v119, v52, vcc
	v_cmp_eq_u32_e32 vcc, 19, v0
	v_cndmask_b32_e32 v119, v119, v53, vcc
	v_cmp_eq_u32_e32 vcc, 20, v0
	v_cndmask_b32_e32 v119, v119, v54, vcc
	v_cmp_eq_u32_e32 vcc, 21, v0
	v_cndmask_b32_e32 v119, v119, v55, vcc
	v_cmp_eq_u32_e32 vcc, 22, v0
	ds_read_b32 v120, v118
	v_cndmask_b32_e32 v119, v119, v56, vcc
	v_cmp_eq_u32_e32 vcc, 23, v0
	v_cndmask_b32_e32 v119, v119, v57, vcc
	v_cmp_eq_u32_e32 vcc, 24, v0
	;; [unrolled: 2-line block ×3, first 2 shown]
	v_cndmask_b32_e32 v119, v119, v59, vcc
	s_waitcnt lgkmcnt(0)
	v_mul_f32_e32 v119, v119, v120
	s_cbranch_execz .LBB89_293
	s_branch .LBB89_294
.LBB89_292:
                                        ; implicit-def: $vgpr119
.LBB89_293:
	ds_read_b32 v119, v118
.LBB89_294:
	s_and_saveexec_b64 s[6:7], s[0:1]
	s_cbranch_execz .LBB89_304
; %bb.295:
	v_add_u32_e32 v122, -7, v0
	v_add_u32_e32 v121, -6, v0
	v_mov_b32_e32 v120, 6
	v_cmp_lt_u32_e32 vcc, 6, v122
	s_and_saveexec_b64 s[0:1], vcc
	s_cbranch_execz .LBB89_299
; %bb.296:
	v_and_b32_e32 v120, -8, v121
	v_sub_u32_e32 v122, 0, v120
	s_mov_b64 s[8:9], 13
	s_movk_i32 s12, 0x88
	s_mov_b64 s[10:11], 0
.LBB89_297:                             ; =>This Inner Loop Header: Depth=1
	s_add_i32 s13, s8, -7
	v_mov_b32_e32 v120, s12
	s_add_i32 s14, s8, -6
	s_set_gpr_idx_on s13, gpr_idx(SRC0)
	v_mov_b32_e32 v131, v34
	s_set_gpr_idx_off
	ds_read2_b64 v[123:126], v120 offset1:1
	s_add_i32 s15, s8, -5
	s_set_gpr_idx_on s14, gpr_idx(SRC0)
	v_mov_b32_e32 v132, v34
	s_set_gpr_idx_off
	s_add_i32 s16, s8, -4
	s_set_gpr_idx_on s15, gpr_idx(SRC0)
	v_mov_b32_e32 v133, v34
	s_set_gpr_idx_off
	;; [unrolled: 4-line block ×4, first 2 shown]
	ds_read2_b64 v[127:130], v120 offset0:2 offset1:3
	s_add_i32 s19, s8, -1
	s_waitcnt lgkmcnt(1)
	v_fmac_f32_e32 v119, v131, v123
	s_set_gpr_idx_on s18, gpr_idx(SRC0)
	v_mov_b32_e32 v123, v34
	s_set_gpr_idx_off
	v_fmac_f32_e32 v119, v132, v124
	s_set_gpr_idx_on s19, gpr_idx(SRC0)
	v_mov_b32_e32 v124, v34
	s_set_gpr_idx_off
	;; [unrolled: 4-line block ×3, first 2 shown]
	v_fmac_f32_e32 v119, v134, v126
	s_add_u32 s8, s8, 8
	s_waitcnt lgkmcnt(0)
	v_fmac_f32_e32 v119, v135, v127
	v_add_u32_e32 v120, s8, v122
	v_fmac_f32_e32 v119, v123, v128
	s_addc_u32 s9, s9, 0
	s_add_i32 s12, s12, 32
	s_add_i32 s13, s8, -7
	v_cmp_eq_u32_e32 vcc, 13, v120
	v_fmac_f32_e32 v119, v124, v129
	v_mov_b32_e32 v120, s13
	s_or_b64 s[10:11], vcc, s[10:11]
	v_fmac_f32_e32 v119, v125, v130
	s_andn2_b64 exec, exec, s[10:11]
	s_cbranch_execnz .LBB89_297
; %bb.298:
	s_or_b64 exec, exec, s[10:11]
.LBB89_299:
	s_or_b64 exec, exec, s[0:1]
	v_and_b32_e32 v60, 7, v121
	v_cmp_ne_u32_e32 vcc, 0, v60
	s_and_saveexec_b64 s[8:9], vcc
	s_cbranch_execz .LBB89_303
; %bb.300:
	v_mov_b32_e32 v61, 0x70
	v_lshl_add_u32 v61, v120, 2, v61
	v_mov_b32_e32 v62, 0
	s_mov_b64 s[10:11], 0
.LBB89_301:                             ; =>This Inner Loop Header: Depth=1
	v_cmp_eq_u32_e32 vcc, 1, v120
	v_cndmask_b32_e32 v63, v34, v35, vcc
	v_add_u32_e32 v60, -1, v60
	v_cmp_eq_u32_e32 vcc, 2, v120
	v_cndmask_b32_e32 v63, v63, v36, vcc
	v_cmp_eq_u32_e32 vcc, 0, v60
	v_cmp_eq_u32_e64 s[0:1], 3, v120
	v_cndmask_b32_e64 v63, v63, v37, s[0:1]
	s_or_b64 s[10:11], vcc, s[10:11]
	v_cmp_eq_u32_e32 vcc, 4, v120
	v_cndmask_b32_e32 v63, v63, v38, vcc
	v_cmp_eq_u32_e32 vcc, 5, v120
	v_cndmask_b32_e32 v63, v63, v39, vcc
	;; [unrolled: 2-line block ×17, first 2 shown]
	v_cmp_eq_u32_e32 vcc, 21, v120
	ds_read_b32 v64, v61
	v_cndmask_b32_e32 v63, v63, v55, vcc
	v_cmp_eq_u32_e32 vcc, 22, v120
	v_cndmask_b32_e32 v63, v63, v56, vcc
	v_cmp_eq_u32_e32 vcc, 23, v120
	;; [unrolled: 2-line block ×4, first 2 shown]
	v_add_co_u32_e64 v120, s[0:1], 1, v120
	v_cndmask_b32_e32 v63, v63, v59, vcc
	v_add_u32_e32 v61, 4, v61
	v_addc_co_u32_e64 v62, s[0:1], 0, v62, s[0:1]
	s_waitcnt lgkmcnt(0)
	v_fmac_f32_e32 v119, v63, v64
	s_andn2_b64 exec, exec, s[10:11]
	s_cbranch_execnz .LBB89_301
; %bb.302:
	s_or_b64 exec, exec, s[10:11]
.LBB89_303:
	s_or_b64 exec, exec, s[8:9]
.LBB89_304:
	s_or_b64 exec, exec, s[6:7]
	v_mov_b32_e32 v39, 0
	ds_read_b32 v39, v39 offset:20
	s_waitcnt lgkmcnt(0)
	v_mul_f32_e32 v39, v119, v39
.LBB89_305:
	s_or_b64 exec, exec, s[4:5]
	v_cmp_lt_u32_e64 s[0:1], 4, v0
	ds_write_b32 v118, v38
	s_waitcnt lgkmcnt(0)
	; wave barrier
	s_and_saveexec_b64 s[4:5], s[0:1]
	s_cbranch_execz .LBB89_321
; %bb.306:
	s_andn2_b64 vcc, exec, s[54:55]
	s_cbranch_vccnz .LBB89_308
; %bb.307:
	v_cmp_eq_u32_e32 vcc, 1, v0
	v_cndmask_b32_e32 v119, v34, v35, vcc
	v_cmp_eq_u32_e32 vcc, 2, v0
	v_cndmask_b32_e32 v119, v119, v36, vcc
	;; [unrolled: 2-line block ×21, first 2 shown]
	v_cmp_eq_u32_e32 vcc, 22, v0
	ds_read_b32 v120, v118
	v_cndmask_b32_e32 v119, v119, v56, vcc
	v_cmp_eq_u32_e32 vcc, 23, v0
	v_cndmask_b32_e32 v119, v119, v57, vcc
	v_cmp_eq_u32_e32 vcc, 24, v0
	;; [unrolled: 2-line block ×3, first 2 shown]
	v_cndmask_b32_e32 v119, v119, v59, vcc
	s_waitcnt lgkmcnt(0)
	v_mul_f32_e32 v119, v119, v120
	s_cbranch_execz .LBB89_309
	s_branch .LBB89_310
.LBB89_308:
                                        ; implicit-def: $vgpr119
.LBB89_309:
	ds_read_b32 v119, v118
.LBB89_310:
	s_and_saveexec_b64 s[6:7], s[2:3]
	s_cbranch_execz .LBB89_320
; %bb.311:
	v_add_u32_e32 v120, -6, v0
	v_add_u32_e32 v121, -5, v0
	v_cmp_lt_u32_e32 vcc, 6, v120
	v_mov_b32_e32 v120, 5
	s_and_saveexec_b64 s[2:3], vcc
	s_cbranch_execz .LBB89_315
; %bb.312:
	v_and_b32_e32 v120, -8, v121
	v_sub_u32_e32 v122, 0, v120
	s_mov_b64 s[8:9], 12
	s_movk_i32 s12, 0x84
	s_mov_b64 s[10:11], 0
.LBB89_313:                             ; =>This Inner Loop Header: Depth=1
	s_add_i32 s13, s8, -7
	v_mov_b32_e32 v120, s12
	s_add_i32 s14, s8, -6
	s_set_gpr_idx_on s13, gpr_idx(SRC0)
	v_mov_b32_e32 v129, v34
	s_set_gpr_idx_off
	ds_read2_b32 v[123:124], v120 offset1:1
	s_add_i32 s15, s8, -5
	s_set_gpr_idx_on s14, gpr_idx(SRC0)
	v_mov_b32_e32 v130, v34
	s_set_gpr_idx_off
	s_add_i32 s16, s8, -4
	s_set_gpr_idx_on s15, gpr_idx(SRC0)
	v_mov_b32_e32 v131, v34
	s_set_gpr_idx_off
	ds_read2_b32 v[125:126], v120 offset0:2 offset1:3
	s_add_i32 s17, s8, -3
	s_set_gpr_idx_on s16, gpr_idx(SRC0)
	v_mov_b32_e32 v132, v34
	s_set_gpr_idx_off
	s_add_i32 s18, s8, -2
	s_set_gpr_idx_on s17, gpr_idx(SRC0)
	v_mov_b32_e32 v133, v34
	s_set_gpr_idx_off
	ds_read2_b32 v[127:128], v120 offset0:4 offset1:5
	s_add_i32 s19, s8, -1
	s_waitcnt lgkmcnt(2)
	v_fmac_f32_e32 v119, v129, v123
	s_set_gpr_idx_on s18, gpr_idx(SRC0)
	v_mov_b32_e32 v129, v34
	s_set_gpr_idx_off
	v_fmac_f32_e32 v119, v130, v124
	s_set_gpr_idx_on s19, gpr_idx(SRC0)
	v_mov_b32_e32 v130, v34
	s_set_gpr_idx_off
	ds_read2_b32 v[123:124], v120 offset0:6 offset1:7
	s_waitcnt lgkmcnt(2)
	v_fmac_f32_e32 v119, v131, v125
	s_set_gpr_idx_on s8, gpr_idx(SRC0)
	v_mov_b32_e32 v125, v34
	s_set_gpr_idx_off
	v_fmac_f32_e32 v119, v132, v126
	s_add_u32 s8, s8, 8
	s_waitcnt lgkmcnt(1)
	v_fmac_f32_e32 v119, v133, v127
	v_add_u32_e32 v120, s8, v122
	v_fmac_f32_e32 v119, v129, v128
	s_addc_u32 s9, s9, 0
	s_add_i32 s12, s12, 32
	s_add_i32 s13, s8, -7
	v_cmp_eq_u32_e32 vcc, 12, v120
	s_waitcnt lgkmcnt(0)
	v_fmac_f32_e32 v119, v130, v123
	v_mov_b32_e32 v120, s13
	s_or_b64 s[10:11], vcc, s[10:11]
	v_fmac_f32_e32 v119, v125, v124
	s_andn2_b64 exec, exec, s[10:11]
	s_cbranch_execnz .LBB89_313
; %bb.314:
	s_or_b64 exec, exec, s[10:11]
.LBB89_315:
	s_or_b64 exec, exec, s[2:3]
	v_and_b32_e32 v60, 7, v121
	v_cmp_ne_u32_e32 vcc, 0, v60
	s_and_saveexec_b64 s[8:9], vcc
	s_cbranch_execz .LBB89_319
; %bb.316:
	v_mov_b32_e32 v61, 0x70
	v_lshl_add_u32 v61, v120, 2, v61
	v_mov_b32_e32 v62, 0
	s_mov_b64 s[10:11], 0
.LBB89_317:                             ; =>This Inner Loop Header: Depth=1
	v_cmp_eq_u32_e32 vcc, 1, v120
	v_cndmask_b32_e32 v63, v34, v35, vcc
	v_add_u32_e32 v60, -1, v60
	v_cmp_eq_u32_e32 vcc, 2, v120
	v_cndmask_b32_e32 v63, v63, v36, vcc
	v_cmp_eq_u32_e32 vcc, 0, v60
	v_cmp_eq_u32_e64 s[2:3], 3, v120
	v_cndmask_b32_e64 v63, v63, v37, s[2:3]
	s_or_b64 s[10:11], vcc, s[10:11]
	v_cmp_eq_u32_e32 vcc, 4, v120
	v_cndmask_b32_e32 v63, v63, v38, vcc
	v_cmp_eq_u32_e32 vcc, 5, v120
	v_cndmask_b32_e32 v63, v63, v39, vcc
	;; [unrolled: 2-line block ×17, first 2 shown]
	v_cmp_eq_u32_e32 vcc, 21, v120
	ds_read_b32 v64, v61
	v_cndmask_b32_e32 v63, v63, v55, vcc
	v_cmp_eq_u32_e32 vcc, 22, v120
	v_cndmask_b32_e32 v63, v63, v56, vcc
	v_cmp_eq_u32_e32 vcc, 23, v120
	;; [unrolled: 2-line block ×4, first 2 shown]
	v_add_co_u32_e64 v120, s[2:3], 1, v120
	v_cndmask_b32_e32 v63, v63, v59, vcc
	v_add_u32_e32 v61, 4, v61
	v_addc_co_u32_e64 v62, s[2:3], 0, v62, s[2:3]
	s_waitcnt lgkmcnt(0)
	v_fmac_f32_e32 v119, v63, v64
	s_andn2_b64 exec, exec, s[10:11]
	s_cbranch_execnz .LBB89_317
; %bb.318:
	s_or_b64 exec, exec, s[10:11]
.LBB89_319:
	s_or_b64 exec, exec, s[8:9]
.LBB89_320:
	s_or_b64 exec, exec, s[6:7]
	v_mov_b32_e32 v38, 0
	ds_read_b32 v38, v38 offset:16
	s_waitcnt lgkmcnt(0)
	v_mul_f32_e32 v38, v119, v38
.LBB89_321:
	s_or_b64 exec, exec, s[4:5]
	v_cmp_lt_u32_e64 s[2:3], 3, v0
	ds_write_b32 v118, v37
	s_waitcnt lgkmcnt(0)
	; wave barrier
	s_and_saveexec_b64 s[4:5], s[2:3]
	s_cbranch_execz .LBB89_337
; %bb.322:
	s_andn2_b64 vcc, exec, s[54:55]
	s_cbranch_vccnz .LBB89_324
; %bb.323:
	v_cmp_eq_u32_e32 vcc, 1, v0
	v_cndmask_b32_e32 v119, v34, v35, vcc
	v_cmp_eq_u32_e32 vcc, 2, v0
	v_cndmask_b32_e32 v119, v119, v36, vcc
	;; [unrolled: 2-line block ×21, first 2 shown]
	v_cmp_eq_u32_e32 vcc, 22, v0
	ds_read_b32 v120, v118
	v_cndmask_b32_e32 v119, v119, v56, vcc
	v_cmp_eq_u32_e32 vcc, 23, v0
	v_cndmask_b32_e32 v119, v119, v57, vcc
	v_cmp_eq_u32_e32 vcc, 24, v0
	;; [unrolled: 2-line block ×3, first 2 shown]
	v_cndmask_b32_e32 v119, v119, v59, vcc
	s_waitcnt lgkmcnt(0)
	v_mul_f32_e32 v119, v119, v120
	s_cbranch_execz .LBB89_325
	s_branch .LBB89_326
.LBB89_324:
                                        ; implicit-def: $vgpr119
.LBB89_325:
	ds_read_b32 v119, v118
.LBB89_326:
	s_and_saveexec_b64 s[6:7], s[0:1]
	s_cbranch_execz .LBB89_336
; %bb.327:
	v_add_u32_e32 v120, -5, v0
	v_add_u32_e32 v121, -4, v0
	v_cmp_lt_u32_e32 vcc, 6, v120
	v_mov_b32_e32 v120, 4
	s_and_saveexec_b64 s[0:1], vcc
	s_cbranch_execz .LBB89_331
; %bb.328:
	v_and_b32_e32 v120, -8, v121
	v_sub_u32_e32 v122, 0, v120
	s_mov_b64 s[8:9], 5
	s_movk_i32 s12, 0x80
	s_mov_b64 s[10:11], 0
.LBB89_329:                             ; =>This Inner Loop Header: Depth=1
	s_add_i32 s13, s8, -1
	v_mov_b32_e32 v120, s12
	s_set_gpr_idx_on s13, gpr_idx(SRC0)
	v_mov_b32_e32 v131, v34
	s_set_gpr_idx_off
	s_add_i32 s14, s8, 1
	ds_read_b128 v[123:126], v120
	ds_read_b128 v[127:130], v120 offset:16
	s_set_gpr_idx_on s8, gpr_idx(SRC0)
	v_mov_b32_e32 v132, v34
	s_set_gpr_idx_off
	s_add_i32 s15, s8, 2
	s_set_gpr_idx_on s14, gpr_idx(SRC0)
	v_mov_b32_e32 v133, v34
	s_set_gpr_idx_off
	s_add_i32 s16, s8, 3
	;; [unrolled: 4-line block ×4, first 2 shown]
	s_waitcnt lgkmcnt(1)
	v_fmac_f32_e32 v119, v131, v123
	s_set_gpr_idx_on s17, gpr_idx(SRC0)
	v_mov_b32_e32 v123, v34
	s_set_gpr_idx_off
	s_add_i32 s19, s8, 6
	v_fmac_f32_e32 v119, v132, v124
	s_set_gpr_idx_on s18, gpr_idx(SRC0)
	v_mov_b32_e32 v124, v34
	s_set_gpr_idx_off
	v_fmac_f32_e32 v119, v133, v125
	s_set_gpr_idx_on s19, gpr_idx(SRC0)
	v_mov_b32_e32 v125, v34
	s_set_gpr_idx_off
	v_fmac_f32_e32 v119, v134, v126
	s_add_u32 s8, s8, 8
	s_waitcnt lgkmcnt(0)
	v_fmac_f32_e32 v119, v135, v127
	v_add_u32_e32 v120, s8, v122
	v_fmac_f32_e32 v119, v123, v128
	s_addc_u32 s9, s9, 0
	s_add_i32 s12, s12, 32
	s_add_i32 s13, s8, -1
	v_cmp_eq_u32_e32 vcc, 5, v120
	v_fmac_f32_e32 v119, v124, v129
	v_mov_b32_e32 v120, s13
	s_or_b64 s[10:11], vcc, s[10:11]
	v_fmac_f32_e32 v119, v125, v130
	s_andn2_b64 exec, exec, s[10:11]
	s_cbranch_execnz .LBB89_329
; %bb.330:
	s_or_b64 exec, exec, s[10:11]
.LBB89_331:
	s_or_b64 exec, exec, s[0:1]
	v_and_b32_e32 v60, 7, v121
	v_cmp_ne_u32_e32 vcc, 0, v60
	s_and_saveexec_b64 s[8:9], vcc
	s_cbranch_execz .LBB89_335
; %bb.332:
	v_mov_b32_e32 v61, 0x70
	v_lshl_add_u32 v61, v120, 2, v61
	v_mov_b32_e32 v62, 0
	s_mov_b64 s[10:11], 0
.LBB89_333:                             ; =>This Inner Loop Header: Depth=1
	v_cmp_eq_u32_e32 vcc, 1, v120
	v_cndmask_b32_e32 v63, v34, v35, vcc
	v_add_u32_e32 v60, -1, v60
	v_cmp_eq_u32_e32 vcc, 2, v120
	v_cndmask_b32_e32 v63, v63, v36, vcc
	v_cmp_eq_u32_e32 vcc, 0, v60
	v_cmp_eq_u32_e64 s[0:1], 3, v120
	v_cndmask_b32_e64 v63, v63, v37, s[0:1]
	s_or_b64 s[10:11], vcc, s[10:11]
	v_cmp_eq_u32_e32 vcc, 4, v120
	v_cndmask_b32_e32 v63, v63, v38, vcc
	v_cmp_eq_u32_e32 vcc, 5, v120
	v_cndmask_b32_e32 v63, v63, v39, vcc
	v_cmp_eq_u32_e32 vcc, 6, v120
	v_cndmask_b32_e32 v63, v63, v40, vcc
	v_cmp_eq_u32_e32 vcc, 7, v120
	v_cndmask_b32_e32 v63, v63, v41, vcc
	v_cmp_eq_u32_e32 vcc, 8, v120
	v_cndmask_b32_e32 v63, v63, v42, vcc
	v_cmp_eq_u32_e32 vcc, 9, v120
	v_cndmask_b32_e32 v63, v63, v43, vcc
	v_cmp_eq_u32_e32 vcc, 10, v120
	v_cndmask_b32_e32 v63, v63, v44, vcc
	v_cmp_eq_u32_e32 vcc, 11, v120
	v_cndmask_b32_e32 v63, v63, v45, vcc
	v_cmp_eq_u32_e32 vcc, 12, v120
	v_cndmask_b32_e32 v63, v63, v46, vcc
	v_cmp_eq_u32_e32 vcc, 13, v120
	v_cndmask_b32_e32 v63, v63, v47, vcc
	v_cmp_eq_u32_e32 vcc, 14, v120
	v_cndmask_b32_e32 v63, v63, v48, vcc
	v_cmp_eq_u32_e32 vcc, 15, v120
	v_cndmask_b32_e32 v63, v63, v49, vcc
	v_cmp_eq_u32_e32 vcc, 16, v120
	v_cndmask_b32_e32 v63, v63, v50, vcc
	v_cmp_eq_u32_e32 vcc, 17, v120
	v_cndmask_b32_e32 v63, v63, v51, vcc
	v_cmp_eq_u32_e32 vcc, 18, v120
	v_cndmask_b32_e32 v63, v63, v52, vcc
	v_cmp_eq_u32_e32 vcc, 19, v120
	v_cndmask_b32_e32 v63, v63, v53, vcc
	v_cmp_eq_u32_e32 vcc, 20, v120
	v_cndmask_b32_e32 v63, v63, v54, vcc
	v_cmp_eq_u32_e32 vcc, 21, v120
	ds_read_b32 v64, v61
	v_cndmask_b32_e32 v63, v63, v55, vcc
	v_cmp_eq_u32_e32 vcc, 22, v120
	v_cndmask_b32_e32 v63, v63, v56, vcc
	v_cmp_eq_u32_e32 vcc, 23, v120
	;; [unrolled: 2-line block ×4, first 2 shown]
	v_add_co_u32_e64 v120, s[0:1], 1, v120
	v_cndmask_b32_e32 v63, v63, v59, vcc
	v_add_u32_e32 v61, 4, v61
	v_addc_co_u32_e64 v62, s[0:1], 0, v62, s[0:1]
	s_waitcnt lgkmcnt(0)
	v_fmac_f32_e32 v119, v63, v64
	s_andn2_b64 exec, exec, s[10:11]
	s_cbranch_execnz .LBB89_333
; %bb.334:
	s_or_b64 exec, exec, s[10:11]
.LBB89_335:
	s_or_b64 exec, exec, s[8:9]
.LBB89_336:
	s_or_b64 exec, exec, s[6:7]
	v_mov_b32_e32 v37, 0
	ds_read_b32 v37, v37 offset:12
	s_waitcnt lgkmcnt(0)
	v_mul_f32_e32 v37, v119, v37
.LBB89_337:
	s_or_b64 exec, exec, s[4:5]
	v_cmp_lt_u32_e64 s[0:1], 2, v0
	ds_write_b32 v118, v36
	s_waitcnt lgkmcnt(0)
	; wave barrier
	s_and_saveexec_b64 s[4:5], s[0:1]
	s_cbranch_execz .LBB89_353
; %bb.338:
	s_andn2_b64 vcc, exec, s[54:55]
	s_cbranch_vccnz .LBB89_340
; %bb.339:
	v_cmp_eq_u32_e32 vcc, 1, v0
	v_cndmask_b32_e32 v119, v34, v35, vcc
	v_cmp_eq_u32_e32 vcc, 2, v0
	v_cndmask_b32_e32 v119, v119, v36, vcc
	;; [unrolled: 2-line block ×21, first 2 shown]
	v_cmp_eq_u32_e32 vcc, 22, v0
	ds_read_b32 v120, v118
	v_cndmask_b32_e32 v119, v119, v56, vcc
	v_cmp_eq_u32_e32 vcc, 23, v0
	v_cndmask_b32_e32 v119, v119, v57, vcc
	v_cmp_eq_u32_e32 vcc, 24, v0
	;; [unrolled: 2-line block ×3, first 2 shown]
	v_cndmask_b32_e32 v119, v119, v59, vcc
	s_waitcnt lgkmcnt(0)
	v_mul_f32_e32 v119, v119, v120
	s_cbranch_execz .LBB89_341
	s_branch .LBB89_342
.LBB89_340:
                                        ; implicit-def: $vgpr119
.LBB89_341:
	ds_read_b32 v119, v118
.LBB89_342:
	s_and_saveexec_b64 s[6:7], s[2:3]
	s_cbranch_execz .LBB89_352
; %bb.343:
	v_add_u32_e32 v120, -4, v0
	v_add_u32_e32 v121, -3, v0
	v_cmp_lt_u32_e32 vcc, 6, v120
	v_mov_b32_e32 v120, 3
	s_and_saveexec_b64 s[2:3], vcc
	s_cbranch_execz .LBB89_347
; %bb.344:
	v_and_b32_e32 v120, -8, v121
	v_sub_u32_e32 v122, 0, v120
	s_mov_b64 s[8:9], 10
	s_movk_i32 s12, 0x7c
	s_mov_b64 s[10:11], 0
.LBB89_345:                             ; =>This Inner Loop Header: Depth=1
	s_add_i32 s13, s8, -7
	v_mov_b32_e32 v120, s12
	s_add_i32 s14, s8, -6
	s_set_gpr_idx_on s13, gpr_idx(SRC0)
	v_mov_b32_e32 v129, v34
	s_set_gpr_idx_off
	ds_read2_b32 v[123:124], v120 offset1:1
	s_add_i32 s15, s8, -5
	s_set_gpr_idx_on s14, gpr_idx(SRC0)
	v_mov_b32_e32 v130, v34
	s_set_gpr_idx_off
	s_add_i32 s16, s8, -4
	s_set_gpr_idx_on s15, gpr_idx(SRC0)
	v_mov_b32_e32 v131, v34
	s_set_gpr_idx_off
	ds_read2_b32 v[125:126], v120 offset0:2 offset1:3
	s_add_i32 s17, s8, -3
	s_set_gpr_idx_on s16, gpr_idx(SRC0)
	v_mov_b32_e32 v132, v34
	s_set_gpr_idx_off
	s_add_i32 s18, s8, -2
	s_set_gpr_idx_on s17, gpr_idx(SRC0)
	v_mov_b32_e32 v133, v34
	s_set_gpr_idx_off
	ds_read2_b32 v[127:128], v120 offset0:4 offset1:5
	s_add_i32 s19, s8, -1
	s_waitcnt lgkmcnt(2)
	v_fmac_f32_e32 v119, v129, v123
	s_set_gpr_idx_on s18, gpr_idx(SRC0)
	v_mov_b32_e32 v129, v34
	s_set_gpr_idx_off
	v_fmac_f32_e32 v119, v130, v124
	s_set_gpr_idx_on s19, gpr_idx(SRC0)
	v_mov_b32_e32 v130, v34
	s_set_gpr_idx_off
	ds_read2_b32 v[123:124], v120 offset0:6 offset1:7
	s_waitcnt lgkmcnt(2)
	v_fmac_f32_e32 v119, v131, v125
	s_set_gpr_idx_on s8, gpr_idx(SRC0)
	v_mov_b32_e32 v125, v34
	s_set_gpr_idx_off
	v_fmac_f32_e32 v119, v132, v126
	s_add_u32 s8, s8, 8
	s_waitcnt lgkmcnt(1)
	v_fmac_f32_e32 v119, v133, v127
	v_add_u32_e32 v120, s8, v122
	v_fmac_f32_e32 v119, v129, v128
	s_addc_u32 s9, s9, 0
	s_add_i32 s12, s12, 32
	s_add_i32 s13, s8, -7
	v_cmp_eq_u32_e32 vcc, 10, v120
	s_waitcnt lgkmcnt(0)
	v_fmac_f32_e32 v119, v130, v123
	v_mov_b32_e32 v120, s13
	s_or_b64 s[10:11], vcc, s[10:11]
	v_fmac_f32_e32 v119, v125, v124
	s_andn2_b64 exec, exec, s[10:11]
	s_cbranch_execnz .LBB89_345
; %bb.346:
	s_or_b64 exec, exec, s[10:11]
.LBB89_347:
	s_or_b64 exec, exec, s[2:3]
	v_and_b32_e32 v60, 7, v121
	v_cmp_ne_u32_e32 vcc, 0, v60
	s_and_saveexec_b64 s[8:9], vcc
	s_cbranch_execz .LBB89_351
; %bb.348:
	v_mov_b32_e32 v61, 0x70
	v_lshl_add_u32 v61, v120, 2, v61
	v_mov_b32_e32 v62, 0
	s_mov_b64 s[10:11], 0
.LBB89_349:                             ; =>This Inner Loop Header: Depth=1
	v_cmp_eq_u32_e32 vcc, 1, v120
	v_cndmask_b32_e32 v63, v34, v35, vcc
	v_add_u32_e32 v60, -1, v60
	v_cmp_eq_u32_e32 vcc, 2, v120
	v_cndmask_b32_e32 v63, v63, v36, vcc
	v_cmp_eq_u32_e32 vcc, 0, v60
	v_cmp_eq_u32_e64 s[2:3], 3, v120
	v_cndmask_b32_e64 v63, v63, v37, s[2:3]
	s_or_b64 s[10:11], vcc, s[10:11]
	v_cmp_eq_u32_e32 vcc, 4, v120
	v_cndmask_b32_e32 v63, v63, v38, vcc
	v_cmp_eq_u32_e32 vcc, 5, v120
	v_cndmask_b32_e32 v63, v63, v39, vcc
	;; [unrolled: 2-line block ×17, first 2 shown]
	v_cmp_eq_u32_e32 vcc, 21, v120
	ds_read_b32 v64, v61
	v_cndmask_b32_e32 v63, v63, v55, vcc
	v_cmp_eq_u32_e32 vcc, 22, v120
	v_cndmask_b32_e32 v63, v63, v56, vcc
	v_cmp_eq_u32_e32 vcc, 23, v120
	;; [unrolled: 2-line block ×4, first 2 shown]
	v_add_co_u32_e64 v120, s[2:3], 1, v120
	v_cndmask_b32_e32 v63, v63, v59, vcc
	v_add_u32_e32 v61, 4, v61
	v_addc_co_u32_e64 v62, s[2:3], 0, v62, s[2:3]
	s_waitcnt lgkmcnt(0)
	v_fmac_f32_e32 v119, v63, v64
	s_andn2_b64 exec, exec, s[10:11]
	s_cbranch_execnz .LBB89_349
; %bb.350:
	s_or_b64 exec, exec, s[10:11]
.LBB89_351:
	s_or_b64 exec, exec, s[8:9]
.LBB89_352:
	s_or_b64 exec, exec, s[6:7]
	v_mov_b32_e32 v36, 0
	ds_read_b32 v36, v36 offset:8
	s_waitcnt lgkmcnt(0)
	v_mul_f32_e32 v36, v119, v36
.LBB89_353:
	s_or_b64 exec, exec, s[4:5]
	v_cmp_lt_u32_e64 s[2:3], 1, v0
	ds_write_b32 v118, v35
	s_waitcnt lgkmcnt(0)
	; wave barrier
	s_and_saveexec_b64 s[4:5], s[2:3]
	s_cbranch_execz .LBB89_369
; %bb.354:
	s_andn2_b64 vcc, exec, s[54:55]
	s_cbranch_vccnz .LBB89_356
; %bb.355:
	v_cmp_eq_u32_e32 vcc, 1, v0
	v_cndmask_b32_e32 v119, v34, v35, vcc
	v_cmp_eq_u32_e32 vcc, 2, v0
	v_cndmask_b32_e32 v119, v119, v36, vcc
	;; [unrolled: 2-line block ×21, first 2 shown]
	v_cmp_eq_u32_e32 vcc, 22, v0
	ds_read_b32 v120, v118
	v_cndmask_b32_e32 v119, v119, v56, vcc
	v_cmp_eq_u32_e32 vcc, 23, v0
	v_cndmask_b32_e32 v119, v119, v57, vcc
	v_cmp_eq_u32_e32 vcc, 24, v0
	;; [unrolled: 2-line block ×3, first 2 shown]
	v_cndmask_b32_e32 v119, v119, v59, vcc
	s_waitcnt lgkmcnt(0)
	v_mul_f32_e32 v119, v119, v120
	s_cbranch_execz .LBB89_357
	s_branch .LBB89_358
.LBB89_356:
                                        ; implicit-def: $vgpr119
.LBB89_357:
	ds_read_b32 v119, v118
.LBB89_358:
	s_and_saveexec_b64 s[6:7], s[0:1]
	s_cbranch_execz .LBB89_368
; %bb.359:
	v_add_u32_e32 v120, -3, v0
	v_add_u32_e32 v121, -2, v0
	v_cmp_lt_u32_e32 vcc, 6, v120
	v_mov_b32_e32 v120, 2
	s_and_saveexec_b64 s[0:1], vcc
	s_cbranch_execz .LBB89_363
; %bb.360:
	v_and_b32_e32 v120, -8, v121
	v_sub_u32_e32 v122, 0, v120
	s_mov_b64 s[8:9], 9
	s_movk_i32 s12, 0x78
	s_mov_b64 s[10:11], 0
.LBB89_361:                             ; =>This Inner Loop Header: Depth=1
	s_add_i32 s13, s8, -7
	v_mov_b32_e32 v120, s12
	s_add_i32 s14, s8, -6
	s_set_gpr_idx_on s13, gpr_idx(SRC0)
	v_mov_b32_e32 v131, v34
	s_set_gpr_idx_off
	ds_read2_b64 v[123:126], v120 offset1:1
	s_add_i32 s15, s8, -5
	s_set_gpr_idx_on s14, gpr_idx(SRC0)
	v_mov_b32_e32 v132, v34
	s_set_gpr_idx_off
	s_add_i32 s16, s8, -4
	s_set_gpr_idx_on s15, gpr_idx(SRC0)
	v_mov_b32_e32 v133, v34
	s_set_gpr_idx_off
	;; [unrolled: 4-line block ×4, first 2 shown]
	ds_read2_b64 v[127:130], v120 offset0:2 offset1:3
	s_add_i32 s19, s8, -1
	s_waitcnt lgkmcnt(1)
	v_fmac_f32_e32 v119, v131, v123
	s_set_gpr_idx_on s18, gpr_idx(SRC0)
	v_mov_b32_e32 v123, v34
	s_set_gpr_idx_off
	v_fmac_f32_e32 v119, v132, v124
	s_set_gpr_idx_on s19, gpr_idx(SRC0)
	v_mov_b32_e32 v124, v34
	s_set_gpr_idx_off
	;; [unrolled: 4-line block ×3, first 2 shown]
	v_fmac_f32_e32 v119, v134, v126
	s_add_u32 s8, s8, 8
	s_waitcnt lgkmcnt(0)
	v_fmac_f32_e32 v119, v135, v127
	v_add_u32_e32 v120, s8, v122
	v_fmac_f32_e32 v119, v123, v128
	s_addc_u32 s9, s9, 0
	s_add_i32 s12, s12, 32
	s_add_i32 s13, s8, -7
	v_cmp_eq_u32_e32 vcc, 9, v120
	v_fmac_f32_e32 v119, v124, v129
	v_mov_b32_e32 v120, s13
	s_or_b64 s[10:11], vcc, s[10:11]
	v_fmac_f32_e32 v119, v125, v130
	s_andn2_b64 exec, exec, s[10:11]
	s_cbranch_execnz .LBB89_361
; %bb.362:
	s_or_b64 exec, exec, s[10:11]
.LBB89_363:
	s_or_b64 exec, exec, s[0:1]
	v_and_b32_e32 v60, 7, v121
	v_cmp_ne_u32_e32 vcc, 0, v60
	s_and_saveexec_b64 s[8:9], vcc
	s_cbranch_execz .LBB89_367
; %bb.364:
	v_mov_b32_e32 v61, 0x70
	v_lshl_add_u32 v61, v120, 2, v61
	v_mov_b32_e32 v62, 0
	s_mov_b64 s[10:11], 0
.LBB89_365:                             ; =>This Inner Loop Header: Depth=1
	v_cmp_eq_u32_e32 vcc, 1, v120
	v_cndmask_b32_e32 v63, v34, v35, vcc
	v_add_u32_e32 v60, -1, v60
	v_cmp_eq_u32_e32 vcc, 2, v120
	v_cndmask_b32_e32 v63, v63, v36, vcc
	v_cmp_eq_u32_e32 vcc, 0, v60
	v_cmp_eq_u32_e64 s[0:1], 3, v120
	v_cndmask_b32_e64 v63, v63, v37, s[0:1]
	s_or_b64 s[10:11], vcc, s[10:11]
	v_cmp_eq_u32_e32 vcc, 4, v120
	v_cndmask_b32_e32 v63, v63, v38, vcc
	v_cmp_eq_u32_e32 vcc, 5, v120
	v_cndmask_b32_e32 v63, v63, v39, vcc
	;; [unrolled: 2-line block ×17, first 2 shown]
	v_cmp_eq_u32_e32 vcc, 21, v120
	ds_read_b32 v64, v61
	v_cndmask_b32_e32 v63, v63, v55, vcc
	v_cmp_eq_u32_e32 vcc, 22, v120
	v_cndmask_b32_e32 v63, v63, v56, vcc
	v_cmp_eq_u32_e32 vcc, 23, v120
	;; [unrolled: 2-line block ×4, first 2 shown]
	v_add_co_u32_e64 v120, s[0:1], 1, v120
	v_cndmask_b32_e32 v63, v63, v59, vcc
	v_add_u32_e32 v61, 4, v61
	v_addc_co_u32_e64 v62, s[0:1], 0, v62, s[0:1]
	s_waitcnt lgkmcnt(0)
	v_fmac_f32_e32 v119, v63, v64
	s_andn2_b64 exec, exec, s[10:11]
	s_cbranch_execnz .LBB89_365
; %bb.366:
	s_or_b64 exec, exec, s[10:11]
.LBB89_367:
	s_or_b64 exec, exec, s[8:9]
.LBB89_368:
	s_or_b64 exec, exec, s[6:7]
	v_mov_b32_e32 v35, 0
	ds_read_b32 v35, v35 offset:4
	s_waitcnt lgkmcnt(0)
	v_mul_f32_e32 v35, v119, v35
.LBB89_369:
	s_or_b64 exec, exec, s[4:5]
	v_cmp_ne_u32_e32 vcc, 0, v0
	ds_write_b32 v118, v34
	s_waitcnt lgkmcnt(0)
	; wave barrier
	s_and_saveexec_b64 s[4:5], vcc
	s_cbranch_execz .LBB89_385
; %bb.370:
	s_andn2_b64 vcc, exec, s[54:55]
	s_cbranch_vccnz .LBB89_372
; %bb.371:
	v_cmp_eq_u32_e32 vcc, 1, v0
	v_cndmask_b32_e32 v119, v34, v35, vcc
	v_cmp_eq_u32_e32 vcc, 2, v0
	v_cndmask_b32_e32 v119, v119, v36, vcc
	;; [unrolled: 2-line block ×21, first 2 shown]
	v_cmp_eq_u32_e32 vcc, 22, v0
	ds_read_b32 v120, v118
	v_cndmask_b32_e32 v119, v119, v56, vcc
	v_cmp_eq_u32_e32 vcc, 23, v0
	v_cndmask_b32_e32 v119, v119, v57, vcc
	v_cmp_eq_u32_e32 vcc, 24, v0
	;; [unrolled: 2-line block ×3, first 2 shown]
	v_cndmask_b32_e32 v119, v119, v59, vcc
	s_waitcnt lgkmcnt(0)
	v_mul_f32_e32 v119, v119, v120
	s_cbranch_execz .LBB89_373
	s_branch .LBB89_374
.LBB89_372:
                                        ; implicit-def: $vgpr119
.LBB89_373:
	ds_read_b32 v119, v118
.LBB89_374:
	s_and_saveexec_b64 s[6:7], s[2:3]
	s_cbranch_execz .LBB89_384
; %bb.375:
	v_add_u32_e32 v120, -2, v0
	v_add_u32_e32 v121, -1, v0
	v_cmp_lt_u32_e32 vcc, 6, v120
	v_mov_b32_e32 v120, 1
	s_and_saveexec_b64 s[0:1], vcc
	s_cbranch_execz .LBB89_379
; %bb.376:
	v_and_b32_e32 v120, -8, v121
	v_sub_u32_e32 v122, 0, v120
	s_mov_b64 s[2:3], 8
	s_movk_i32 s10, 0x74
	s_mov_b64 s[8:9], 0
.LBB89_377:                             ; =>This Inner Loop Header: Depth=1
	s_add_i32 s11, s2, -7
	v_mov_b32_e32 v120, s10
	s_add_i32 s12, s2, -6
	s_set_gpr_idx_on s11, gpr_idx(SRC0)
	v_mov_b32_e32 v129, v34
	s_set_gpr_idx_off
	ds_read2_b32 v[123:124], v120 offset1:1
	s_add_i32 s13, s2, -5
	s_set_gpr_idx_on s12, gpr_idx(SRC0)
	v_mov_b32_e32 v130, v34
	s_set_gpr_idx_off
	s_add_i32 s14, s2, -4
	s_set_gpr_idx_on s13, gpr_idx(SRC0)
	v_mov_b32_e32 v131, v34
	s_set_gpr_idx_off
	ds_read2_b32 v[125:126], v120 offset0:2 offset1:3
	s_add_i32 s15, s2, -3
	s_set_gpr_idx_on s14, gpr_idx(SRC0)
	v_mov_b32_e32 v132, v34
	s_set_gpr_idx_off
	s_add_i32 s16, s2, -2
	s_set_gpr_idx_on s15, gpr_idx(SRC0)
	v_mov_b32_e32 v133, v34
	s_set_gpr_idx_off
	ds_read2_b32 v[127:128], v120 offset0:4 offset1:5
	s_add_i32 s17, s2, -1
	s_waitcnt lgkmcnt(2)
	v_fmac_f32_e32 v119, v129, v123
	s_set_gpr_idx_on s16, gpr_idx(SRC0)
	v_mov_b32_e32 v129, v34
	s_set_gpr_idx_off
	v_fmac_f32_e32 v119, v130, v124
	s_set_gpr_idx_on s17, gpr_idx(SRC0)
	v_mov_b32_e32 v130, v34
	s_set_gpr_idx_off
	ds_read2_b32 v[123:124], v120 offset0:6 offset1:7
	s_waitcnt lgkmcnt(2)
	v_fmac_f32_e32 v119, v131, v125
	s_set_gpr_idx_on s2, gpr_idx(SRC0)
	v_mov_b32_e32 v125, v34
	s_set_gpr_idx_off
	v_fmac_f32_e32 v119, v132, v126
	s_add_u32 s2, s2, 8
	s_waitcnt lgkmcnt(1)
	v_fmac_f32_e32 v119, v133, v127
	v_add_u32_e32 v120, s2, v122
	v_fmac_f32_e32 v119, v129, v128
	s_addc_u32 s3, s3, 0
	s_add_i32 s10, s10, 32
	s_add_i32 s11, s2, -7
	v_cmp_eq_u32_e32 vcc, 8, v120
	s_waitcnt lgkmcnt(0)
	v_fmac_f32_e32 v119, v130, v123
	v_mov_b32_e32 v120, s11
	s_or_b64 s[8:9], vcc, s[8:9]
	v_fmac_f32_e32 v119, v125, v124
	s_andn2_b64 exec, exec, s[8:9]
	s_cbranch_execnz .LBB89_377
; %bb.378:
	s_or_b64 exec, exec, s[8:9]
.LBB89_379:
	s_or_b64 exec, exec, s[0:1]
	v_and_b32_e32 v60, 7, v121
	v_cmp_ne_u32_e32 vcc, 0, v60
	s_and_saveexec_b64 s[2:3], vcc
	s_cbranch_execz .LBB89_383
; %bb.380:
	v_mov_b32_e32 v61, 0x70
	v_lshl_add_u32 v61, v120, 2, v61
	v_mov_b32_e32 v62, 0
	s_mov_b64 s[8:9], 0
.LBB89_381:                             ; =>This Inner Loop Header: Depth=1
	v_cmp_eq_u32_e32 vcc, 1, v120
	v_cndmask_b32_e32 v63, v34, v35, vcc
	v_add_u32_e32 v60, -1, v60
	v_cmp_eq_u32_e32 vcc, 2, v120
	v_cndmask_b32_e32 v63, v63, v36, vcc
	v_cmp_eq_u32_e32 vcc, 0, v60
	v_cmp_eq_u32_e64 s[0:1], 3, v120
	v_cndmask_b32_e64 v63, v63, v37, s[0:1]
	s_or_b64 s[8:9], vcc, s[8:9]
	v_cmp_eq_u32_e32 vcc, 4, v120
	v_cndmask_b32_e32 v63, v63, v38, vcc
	v_cmp_eq_u32_e32 vcc, 5, v120
	v_cndmask_b32_e32 v63, v63, v39, vcc
	;; [unrolled: 2-line block ×17, first 2 shown]
	v_cmp_eq_u32_e32 vcc, 21, v120
	ds_read_b32 v64, v61
	v_cndmask_b32_e32 v63, v63, v55, vcc
	v_cmp_eq_u32_e32 vcc, 22, v120
	v_cndmask_b32_e32 v63, v63, v56, vcc
	v_cmp_eq_u32_e32 vcc, 23, v120
	;; [unrolled: 2-line block ×4, first 2 shown]
	v_add_co_u32_e64 v120, s[0:1], 1, v120
	v_cndmask_b32_e32 v63, v63, v59, vcc
	v_add_u32_e32 v61, 4, v61
	v_addc_co_u32_e64 v62, s[0:1], 0, v62, s[0:1]
	s_waitcnt lgkmcnt(0)
	v_fmac_f32_e32 v119, v63, v64
	s_andn2_b64 exec, exec, s[8:9]
	s_cbranch_execnz .LBB89_381
; %bb.382:
	s_or_b64 exec, exec, s[8:9]
.LBB89_383:
	s_or_b64 exec, exec, s[2:3]
.LBB89_384:
	s_or_b64 exec, exec, s[6:7]
	v_mov_b32_e32 v34, 0
	ds_read_b32 v34, v34
	s_waitcnt lgkmcnt(0)
	v_mul_f32_e32 v34, v119, v34
.LBB89_385:
	s_or_b64 exec, exec, s[4:5]
	s_branch .LBB89_639
.LBB89_386:
	v_cmp_eq_u32_e64 s[2:3], 0, v0
	s_waitcnt vmcnt(0) lgkmcnt(0)
	ds_write_b32 v118, v3
	s_waitcnt lgkmcnt(0)
	; wave barrier
	s_and_saveexec_b64 s[0:1], s[2:3]
	s_cbranch_execz .LBB89_392
; %bb.387:
	s_and_b64 vcc, exec, s[54:55]
	s_cbranch_vccz .LBB89_389
; %bb.388:
	v_cmp_eq_u32_e32 vcc, 1, v0
	v_cndmask_b32_e32 v3, v2, v3, vcc
	v_cmp_eq_u32_e32 vcc, 2, v0
	v_cndmask_b32_e32 v3, v3, v4, vcc
	;; [unrolled: 2-line block ×21, first 2 shown]
	v_cmp_eq_u32_e32 vcc, 22, v0
	ds_read_b32 v28, v118
	v_cndmask_b32_e32 v3, v3, v24, vcc
	v_cmp_eq_u32_e32 vcc, 23, v0
	v_cndmask_b32_e32 v3, v3, v25, vcc
	v_cmp_eq_u32_e32 vcc, 24, v0
	;; [unrolled: 2-line block ×3, first 2 shown]
	v_cndmask_b32_e32 v3, v3, v27, vcc
	s_waitcnt lgkmcnt(0)
	v_mul_f32_e32 v3, v3, v28
	s_cbranch_execz .LBB89_390
	s_branch .LBB89_391
.LBB89_389:
                                        ; implicit-def: $vgpr3
.LBB89_390:
	ds_read_b32 v3, v118
.LBB89_391:
	v_mov_b32_e32 v28, 0
	ds_read_b32 v28, v28 offset:4
	s_waitcnt lgkmcnt(0)
	v_mul_f32_e32 v3, v3, v28
.LBB89_392:
	s_or_b64 exec, exec, s[0:1]
	v_cndmask_b32_e64 v34, 0, 1, s[54:55]
	v_cmp_gt_u32_e32 vcc, 2, v0
	v_cmp_ne_u32_e64 s[0:1], 1, v34
	ds_write_b32 v118, v4
	s_waitcnt lgkmcnt(0)
	; wave barrier
	s_and_saveexec_b64 s[4:5], vcc
	s_cbranch_execz .LBB89_398
; %bb.393:
	s_and_b64 vcc, exec, s[0:1]
	s_cbranch_vccnz .LBB89_395
; %bb.394:
	v_cmp_eq_u32_e32 vcc, 1, v0
	v_cndmask_b32_e32 v28, v2, v3, vcc
	v_cmp_eq_u32_e32 vcc, 2, v0
	v_cndmask_b32_e32 v4, v28, v4, vcc
	;; [unrolled: 2-line block ×21, first 2 shown]
	v_cmp_eq_u32_e32 vcc, 22, v0
	ds_read_b32 v28, v118
	v_cndmask_b32_e32 v4, v4, v24, vcc
	v_cmp_eq_u32_e32 vcc, 23, v0
	v_cndmask_b32_e32 v4, v4, v25, vcc
	v_cmp_eq_u32_e32 vcc, 24, v0
	;; [unrolled: 2-line block ×3, first 2 shown]
	v_cndmask_b32_e32 v4, v4, v27, vcc
	s_waitcnt lgkmcnt(0)
	v_mul_f32_e32 v4, v4, v28
	s_cbranch_execz .LBB89_396
	s_branch .LBB89_397
.LBB89_395:
                                        ; implicit-def: $vgpr4
.LBB89_396:
	ds_read_b32 v4, v118
.LBB89_397:
	v_mov_b32_e32 v28, 0
	ds_read2_b32 v[28:29], v28 offset0:2 offset1:29
	s_waitcnt lgkmcnt(0)
	v_fma_f32 v29, v3, v29, v4
	v_cndmask_b32_e64 v4, v4, v29, s[2:3]
	v_mul_f32_e32 v4, v4, v28
.LBB89_398:
	s_or_b64 exec, exec, s[4:5]
	v_add_u32_e32 v34, 1, v0
	v_cmp_gt_u32_e64 s[4:5], 3, v0
	ds_write_b32 v118, v5
	s_waitcnt lgkmcnt(0)
	; wave barrier
	s_and_saveexec_b64 s[6:7], s[4:5]
	s_cbranch_execz .LBB89_406
; %bb.399:
	s_and_b64 vcc, exec, s[0:1]
	s_cbranch_vccnz .LBB89_401
; %bb.400:
	v_cmp_eq_u32_e32 vcc, 1, v0
	v_cndmask_b32_e32 v28, v2, v3, vcc
	v_cmp_eq_u32_e32 vcc, 2, v0
	v_cndmask_b32_e32 v28, v28, v4, vcc
	;; [unrolled: 2-line block ×21, first 2 shown]
	v_cmp_eq_u32_e32 vcc, 22, v0
	ds_read_b32 v29, v118
	v_cndmask_b32_e32 v28, v28, v24, vcc
	v_cmp_eq_u32_e32 vcc, 23, v0
	v_cndmask_b32_e32 v28, v28, v25, vcc
	v_cmp_eq_u32_e32 vcc, 24, v0
	;; [unrolled: 2-line block ×3, first 2 shown]
	v_cndmask_b32_e32 v28, v28, v27, vcc
	s_waitcnt lgkmcnt(0)
	v_mul_f32_e32 v28, v28, v29
	s_cbranch_execz .LBB89_402
	s_branch .LBB89_403
.LBB89_401:
                                        ; implicit-def: $vgpr28
.LBB89_402:
	ds_read_b32 v28, v118
.LBB89_403:
	v_cmp_ne_u32_e32 vcc, 2, v0
	s_and_saveexec_b64 s[8:9], vcc
	s_cbranch_execz .LBB89_405
; %bb.404:
	v_cmp_eq_u32_e32 vcc, 1, v34
	v_cndmask_b32_e32 v29, v2, v3, vcc
	v_cmp_eq_u32_e32 vcc, 2, v34
	v_cndmask_b32_e32 v29, v29, v4, vcc
	;; [unrolled: 2-line block ×21, first 2 shown]
	v_cmp_eq_u32_e32 vcc, 22, v34
	v_mov_b32_e32 v29, 0
	v_cndmask_b32_e32 v5, v5, v24, vcc
	v_cmp_eq_u32_e32 vcc, 23, v34
	ds_read_b32 v30, v118 offset:4
	ds_read_b32 v29, v29 offset:120
	v_cndmask_b32_e32 v5, v5, v25, vcc
	v_cmp_eq_u32_e32 vcc, 24, v34
	v_cndmask_b32_e32 v5, v5, v26, vcc
	v_cmp_eq_u32_e32 vcc, 25, v34
	v_cndmask_b32_e32 v5, v5, v27, vcc
	s_waitcnt lgkmcnt(1)
	v_fmac_f32_e32 v28, v5, v30
	s_waitcnt lgkmcnt(0)
	v_fma_f32 v5, v4, v29, v28
	v_cndmask_b32_e64 v28, v28, v5, s[2:3]
.LBB89_405:
	s_or_b64 exec, exec, s[8:9]
	v_mov_b32_e32 v5, 0
	ds_read_b32 v5, v5 offset:12
	s_waitcnt lgkmcnt(0)
	v_mul_f32_e32 v5, v28, v5
.LBB89_406:
	s_or_b64 exec, exec, s[6:7]
	v_cmp_gt_u32_e32 vcc, 4, v0
	ds_write_b32 v118, v6
	s_waitcnt lgkmcnt(0)
	; wave barrier
	s_and_saveexec_b64 s[8:9], vcc
	s_cbranch_execz .LBB89_416
; %bb.407:
	s_and_b64 vcc, exec, s[0:1]
	s_cbranch_vccnz .LBB89_409
; %bb.408:
	v_cmp_eq_u32_e32 vcc, 1, v0
	v_cndmask_b32_e32 v28, v2, v3, vcc
	v_cmp_eq_u32_e32 vcc, 2, v0
	v_cndmask_b32_e32 v28, v28, v4, vcc
	;; [unrolled: 2-line block ×21, first 2 shown]
	v_cmp_eq_u32_e32 vcc, 22, v0
	ds_read_b32 v29, v118
	v_cndmask_b32_e32 v28, v28, v24, vcc
	v_cmp_eq_u32_e32 vcc, 23, v0
	v_cndmask_b32_e32 v28, v28, v25, vcc
	v_cmp_eq_u32_e32 vcc, 24, v0
	;; [unrolled: 2-line block ×3, first 2 shown]
	v_cndmask_b32_e32 v28, v28, v27, vcc
	s_waitcnt lgkmcnt(0)
	v_mul_f32_e32 v30, v28, v29
	s_cbranch_execz .LBB89_410
	s_branch .LBB89_411
.LBB89_409:
                                        ; implicit-def: $vgpr30
.LBB89_410:
	ds_read_b32 v30, v118
.LBB89_411:
	v_cmp_ne_u32_e32 vcc, 3, v0
	s_and_saveexec_b64 s[10:11], vcc
	s_cbranch_execz .LBB89_415
; %bb.412:
	v_mov_b32_e32 v28, 0x74
	v_lshl_add_u32 v31, v0, 2, v28
	v_mov_b32_e32 v29, v1
	s_mov_b64 s[12:13], 0
	v_mov_b32_e32 v28, v0
.LBB89_413:                             ; =>This Inner Loop Header: Depth=1
	v_add_co_u32_e32 v28, vcc, 1, v28
	v_addc_co_u32_e32 v29, vcc, 0, v29, vcc
	v_cmp_eq_u32_e32 vcc, 1, v28
	v_cndmask_b32_e32 v33, v2, v3, vcc
	v_cmp_lt_u32_e32 vcc, 2, v28
	v_cmp_eq_u32_e64 s[6:7], 2, v28
	v_cndmask_b32_e64 v33, v33, v4, s[6:7]
	s_or_b64 s[12:13], vcc, s[12:13]
	v_cmp_eq_u32_e32 vcc, 3, v28
	v_cndmask_b32_e32 v33, v33, v5, vcc
	v_cmp_eq_u32_e32 vcc, 4, v28
	v_cndmask_b32_e32 v33, v33, v6, vcc
	;; [unrolled: 2-line block ×18, first 2 shown]
	v_cmp_eq_u32_e32 vcc, 21, v28
	ds_read_b32 v32, v31
	v_cndmask_b32_e32 v33, v33, v23, vcc
	v_cmp_eq_u32_e32 vcc, 22, v28
	v_cndmask_b32_e32 v33, v33, v24, vcc
	v_cmp_eq_u32_e32 vcc, 23, v28
	;; [unrolled: 2-line block ×4, first 2 shown]
	v_cndmask_b32_e32 v33, v33, v27, vcc
	v_add_u32_e32 v31, 4, v31
	s_waitcnt lgkmcnt(0)
	v_fmac_f32_e32 v30, v33, v32
	s_andn2_b64 exec, exec, s[12:13]
	s_cbranch_execnz .LBB89_413
; %bb.414:
	s_or_b64 exec, exec, s[12:13]
.LBB89_415:
	s_or_b64 exec, exec, s[10:11]
	v_mov_b32_e32 v6, 0
	ds_read_b32 v6, v6 offset:16
	s_waitcnt lgkmcnt(0)
	v_mul_f32_e32 v6, v30, v6
.LBB89_416:
	s_or_b64 exec, exec, s[8:9]
	v_cmp_gt_u32_e64 s[6:7], 5, v0
	ds_write_b32 v118, v7
	s_waitcnt lgkmcnt(0)
	; wave barrier
	s_and_saveexec_b64 s[10:11], s[6:7]
	s_cbranch_execz .LBB89_426
; %bb.417:
	s_and_b64 vcc, exec, s[0:1]
	s_cbranch_vccnz .LBB89_419
; %bb.418:
	v_cmp_eq_u32_e32 vcc, 1, v0
	v_cndmask_b32_e32 v28, v2, v3, vcc
	v_cmp_eq_u32_e32 vcc, 2, v0
	v_cndmask_b32_e32 v28, v28, v4, vcc
	v_cmp_eq_u32_e32 vcc, 3, v0
	v_cndmask_b32_e32 v28, v28, v5, vcc
	v_cmp_eq_u32_e32 vcc, 4, v0
	v_cndmask_b32_e32 v28, v28, v6, vcc
	v_cmp_eq_u32_e32 vcc, 5, v0
	v_cndmask_b32_e32 v28, v28, v7, vcc
	v_cmp_eq_u32_e32 vcc, 6, v0
	v_cndmask_b32_e32 v28, v28, v8, vcc
	v_cmp_eq_u32_e32 vcc, 7, v0
	v_cndmask_b32_e32 v28, v28, v9, vcc
	v_cmp_eq_u32_e32 vcc, 8, v0
	v_cndmask_b32_e32 v28, v28, v10, vcc
	v_cmp_eq_u32_e32 vcc, 9, v0
	v_cndmask_b32_e32 v28, v28, v11, vcc
	v_cmp_eq_u32_e32 vcc, 10, v0
	v_cndmask_b32_e32 v28, v28, v12, vcc
	v_cmp_eq_u32_e32 vcc, 11, v0
	v_cndmask_b32_e32 v28, v28, v13, vcc
	v_cmp_eq_u32_e32 vcc, 12, v0
	v_cndmask_b32_e32 v28, v28, v14, vcc
	v_cmp_eq_u32_e32 vcc, 13, v0
	v_cndmask_b32_e32 v28, v28, v15, vcc
	v_cmp_eq_u32_e32 vcc, 14, v0
	v_cndmask_b32_e32 v28, v28, v16, vcc
	v_cmp_eq_u32_e32 vcc, 15, v0
	v_cndmask_b32_e32 v28, v28, v17, vcc
	v_cmp_eq_u32_e32 vcc, 16, v0
	v_cndmask_b32_e32 v28, v28, v18, vcc
	v_cmp_eq_u32_e32 vcc, 17, v0
	v_cndmask_b32_e32 v28, v28, v19, vcc
	v_cmp_eq_u32_e32 vcc, 18, v0
	v_cndmask_b32_e32 v28, v28, v20, vcc
	v_cmp_eq_u32_e32 vcc, 19, v0
	v_cndmask_b32_e32 v28, v28, v21, vcc
	v_cmp_eq_u32_e32 vcc, 20, v0
	v_cndmask_b32_e32 v28, v28, v22, vcc
	v_cmp_eq_u32_e32 vcc, 21, v0
	v_cndmask_b32_e32 v28, v28, v23, vcc
	v_cmp_eq_u32_e32 vcc, 22, v0
	ds_read_b32 v29, v118
	v_cndmask_b32_e32 v28, v28, v24, vcc
	v_cmp_eq_u32_e32 vcc, 23, v0
	v_cndmask_b32_e32 v28, v28, v25, vcc
	v_cmp_eq_u32_e32 vcc, 24, v0
	;; [unrolled: 2-line block ×3, first 2 shown]
	v_cndmask_b32_e32 v28, v28, v27, vcc
	s_waitcnt lgkmcnt(0)
	v_mul_f32_e32 v30, v28, v29
	s_cbranch_execz .LBB89_420
	s_branch .LBB89_421
.LBB89_419:
                                        ; implicit-def: $vgpr30
.LBB89_420:
	ds_read_b32 v30, v118
.LBB89_421:
	v_cmp_ne_u32_e32 vcc, 4, v0
	s_and_saveexec_b64 s[12:13], vcc
	s_cbranch_execz .LBB89_425
; %bb.422:
	v_mov_b32_e32 v28, 0x74
	v_lshl_add_u32 v31, v0, 2, v28
	v_mov_b32_e32 v29, v1
	s_mov_b64 s[14:15], 0
	v_mov_b32_e32 v28, v0
.LBB89_423:                             ; =>This Inner Loop Header: Depth=1
	v_add_co_u32_e32 v28, vcc, 1, v28
	v_addc_co_u32_e32 v29, vcc, 0, v29, vcc
	v_cmp_eq_u32_e32 vcc, 1, v28
	v_cndmask_b32_e32 v33, v2, v3, vcc
	v_cmp_lt_u32_e32 vcc, 3, v28
	v_cmp_eq_u32_e64 s[8:9], 2, v28
	v_cndmask_b32_e64 v33, v33, v4, s[8:9]
	s_or_b64 s[14:15], vcc, s[14:15]
	v_cmp_eq_u32_e32 vcc, 3, v28
	v_cndmask_b32_e32 v33, v33, v5, vcc
	v_cmp_eq_u32_e32 vcc, 4, v28
	v_cndmask_b32_e32 v33, v33, v6, vcc
	;; [unrolled: 2-line block ×18, first 2 shown]
	v_cmp_eq_u32_e32 vcc, 21, v28
	ds_read_b32 v32, v31
	v_cndmask_b32_e32 v33, v33, v23, vcc
	v_cmp_eq_u32_e32 vcc, 22, v28
	v_cndmask_b32_e32 v33, v33, v24, vcc
	v_cmp_eq_u32_e32 vcc, 23, v28
	;; [unrolled: 2-line block ×4, first 2 shown]
	v_cndmask_b32_e32 v33, v33, v27, vcc
	v_add_u32_e32 v31, 4, v31
	s_waitcnt lgkmcnt(0)
	v_fmac_f32_e32 v30, v33, v32
	s_andn2_b64 exec, exec, s[14:15]
	s_cbranch_execnz .LBB89_423
; %bb.424:
	s_or_b64 exec, exec, s[14:15]
.LBB89_425:
	s_or_b64 exec, exec, s[12:13]
	v_mov_b32_e32 v7, 0
	ds_read_b32 v7, v7 offset:20
	s_waitcnt lgkmcnt(0)
	v_mul_f32_e32 v7, v30, v7
.LBB89_426:
	s_or_b64 exec, exec, s[10:11]
	v_cmp_gt_u32_e32 vcc, 6, v0
	ds_write_b32 v118, v8
	s_waitcnt lgkmcnt(0)
	; wave barrier
	s_and_saveexec_b64 s[10:11], vcc
	s_cbranch_execz .LBB89_436
; %bb.427:
	s_and_b64 vcc, exec, s[0:1]
	s_cbranch_vccnz .LBB89_429
; %bb.428:
	v_cmp_eq_u32_e32 vcc, 1, v0
	v_cndmask_b32_e32 v28, v2, v3, vcc
	v_cmp_eq_u32_e32 vcc, 2, v0
	v_cndmask_b32_e32 v28, v28, v4, vcc
	;; [unrolled: 2-line block ×21, first 2 shown]
	v_cmp_eq_u32_e32 vcc, 22, v0
	ds_read_b32 v29, v118
	v_cndmask_b32_e32 v28, v28, v24, vcc
	v_cmp_eq_u32_e32 vcc, 23, v0
	v_cndmask_b32_e32 v28, v28, v25, vcc
	v_cmp_eq_u32_e32 vcc, 24, v0
	;; [unrolled: 2-line block ×3, first 2 shown]
	v_cndmask_b32_e32 v28, v28, v27, vcc
	s_waitcnt lgkmcnt(0)
	v_mul_f32_e32 v30, v28, v29
	s_cbranch_execz .LBB89_430
	s_branch .LBB89_431
.LBB89_429:
                                        ; implicit-def: $vgpr30
.LBB89_430:
	ds_read_b32 v30, v118
.LBB89_431:
	v_cmp_ne_u32_e32 vcc, 5, v0
	s_and_saveexec_b64 s[12:13], vcc
	s_cbranch_execz .LBB89_435
; %bb.432:
	v_mov_b32_e32 v28, 0x74
	v_lshl_add_u32 v31, v0, 2, v28
	v_mov_b32_e32 v29, v1
	s_mov_b64 s[14:15], 0
	v_mov_b32_e32 v28, v0
.LBB89_433:                             ; =>This Inner Loop Header: Depth=1
	v_add_co_u32_e32 v28, vcc, 1, v28
	v_addc_co_u32_e32 v29, vcc, 0, v29, vcc
	v_cmp_eq_u32_e32 vcc, 1, v28
	v_cndmask_b32_e32 v33, v2, v3, vcc
	v_cmp_lt_u32_e32 vcc, 4, v28
	v_cmp_eq_u32_e64 s[8:9], 2, v28
	v_cndmask_b32_e64 v33, v33, v4, s[8:9]
	s_or_b64 s[14:15], vcc, s[14:15]
	v_cmp_eq_u32_e32 vcc, 3, v28
	v_cndmask_b32_e32 v33, v33, v5, vcc
	v_cmp_eq_u32_e32 vcc, 4, v28
	v_cndmask_b32_e32 v33, v33, v6, vcc
	;; [unrolled: 2-line block ×18, first 2 shown]
	v_cmp_eq_u32_e32 vcc, 21, v28
	ds_read_b32 v32, v31
	v_cndmask_b32_e32 v33, v33, v23, vcc
	v_cmp_eq_u32_e32 vcc, 22, v28
	v_cndmask_b32_e32 v33, v33, v24, vcc
	v_cmp_eq_u32_e32 vcc, 23, v28
	;; [unrolled: 2-line block ×4, first 2 shown]
	v_cndmask_b32_e32 v33, v33, v27, vcc
	v_add_u32_e32 v31, 4, v31
	s_waitcnt lgkmcnt(0)
	v_fmac_f32_e32 v30, v33, v32
	s_andn2_b64 exec, exec, s[14:15]
	s_cbranch_execnz .LBB89_433
; %bb.434:
	s_or_b64 exec, exec, s[14:15]
.LBB89_435:
	s_or_b64 exec, exec, s[12:13]
	v_mov_b32_e32 v8, 0
	ds_read_b32 v8, v8 offset:24
	s_waitcnt lgkmcnt(0)
	v_mul_f32_e32 v8, v30, v8
.LBB89_436:
	s_or_b64 exec, exec, s[10:11]
	v_cmp_gt_u32_e64 s[8:9], 7, v0
	ds_write_b32 v118, v9
	s_waitcnt lgkmcnt(0)
	; wave barrier
	s_and_saveexec_b64 s[12:13], s[8:9]
	s_cbranch_execz .LBB89_446
; %bb.437:
	s_and_b64 vcc, exec, s[0:1]
	s_cbranch_vccnz .LBB89_439
; %bb.438:
	v_cmp_eq_u32_e32 vcc, 1, v0
	v_cndmask_b32_e32 v28, v2, v3, vcc
	v_cmp_eq_u32_e32 vcc, 2, v0
	v_cndmask_b32_e32 v28, v28, v4, vcc
	;; [unrolled: 2-line block ×21, first 2 shown]
	v_cmp_eq_u32_e32 vcc, 22, v0
	ds_read_b32 v29, v118
	v_cndmask_b32_e32 v28, v28, v24, vcc
	v_cmp_eq_u32_e32 vcc, 23, v0
	v_cndmask_b32_e32 v28, v28, v25, vcc
	v_cmp_eq_u32_e32 vcc, 24, v0
	;; [unrolled: 2-line block ×3, first 2 shown]
	v_cndmask_b32_e32 v28, v28, v27, vcc
	s_waitcnt lgkmcnt(0)
	v_mul_f32_e32 v30, v28, v29
	s_cbranch_execz .LBB89_440
	s_branch .LBB89_441
.LBB89_439:
                                        ; implicit-def: $vgpr30
.LBB89_440:
	ds_read_b32 v30, v118
.LBB89_441:
	v_cmp_ne_u32_e32 vcc, 6, v0
	s_and_saveexec_b64 s[14:15], vcc
	s_cbranch_execz .LBB89_445
; %bb.442:
	v_mov_b32_e32 v28, 0x74
	v_lshl_add_u32 v31, v0, 2, v28
	v_mov_b32_e32 v29, v1
	s_mov_b64 s[16:17], 0
	v_mov_b32_e32 v28, v0
.LBB89_443:                             ; =>This Inner Loop Header: Depth=1
	v_add_co_u32_e32 v28, vcc, 1, v28
	v_addc_co_u32_e32 v29, vcc, 0, v29, vcc
	v_cmp_eq_u32_e32 vcc, 1, v28
	v_cndmask_b32_e32 v33, v2, v3, vcc
	v_cmp_lt_u32_e32 vcc, 5, v28
	v_cmp_eq_u32_e64 s[10:11], 2, v28
	v_cndmask_b32_e64 v33, v33, v4, s[10:11]
	s_or_b64 s[16:17], vcc, s[16:17]
	v_cmp_eq_u32_e32 vcc, 3, v28
	v_cndmask_b32_e32 v33, v33, v5, vcc
	v_cmp_eq_u32_e32 vcc, 4, v28
	v_cndmask_b32_e32 v33, v33, v6, vcc
	;; [unrolled: 2-line block ×18, first 2 shown]
	v_cmp_eq_u32_e32 vcc, 21, v28
	ds_read_b32 v32, v31
	v_cndmask_b32_e32 v33, v33, v23, vcc
	v_cmp_eq_u32_e32 vcc, 22, v28
	v_cndmask_b32_e32 v33, v33, v24, vcc
	v_cmp_eq_u32_e32 vcc, 23, v28
	;; [unrolled: 2-line block ×4, first 2 shown]
	v_cndmask_b32_e32 v33, v33, v27, vcc
	v_add_u32_e32 v31, 4, v31
	s_waitcnt lgkmcnt(0)
	v_fmac_f32_e32 v30, v33, v32
	s_andn2_b64 exec, exec, s[16:17]
	s_cbranch_execnz .LBB89_443
; %bb.444:
	s_or_b64 exec, exec, s[16:17]
.LBB89_445:
	s_or_b64 exec, exec, s[14:15]
	v_mov_b32_e32 v9, 0
	ds_read_b32 v9, v9 offset:28
	s_waitcnt lgkmcnt(0)
	v_mul_f32_e32 v9, v30, v9
.LBB89_446:
	s_or_b64 exec, exec, s[12:13]
	v_cmp_gt_u32_e32 vcc, 8, v0
	ds_write_b32 v118, v10
	s_waitcnt lgkmcnt(0)
	; wave barrier
	s_and_saveexec_b64 s[12:13], vcc
	s_cbranch_execz .LBB89_456
; %bb.447:
	s_and_b64 vcc, exec, s[0:1]
	s_cbranch_vccnz .LBB89_449
; %bb.448:
	v_cmp_eq_u32_e32 vcc, 1, v0
	v_cndmask_b32_e32 v28, v2, v3, vcc
	v_cmp_eq_u32_e32 vcc, 2, v0
	v_cndmask_b32_e32 v28, v28, v4, vcc
	;; [unrolled: 2-line block ×21, first 2 shown]
	v_cmp_eq_u32_e32 vcc, 22, v0
	ds_read_b32 v29, v118
	v_cndmask_b32_e32 v28, v28, v24, vcc
	v_cmp_eq_u32_e32 vcc, 23, v0
	v_cndmask_b32_e32 v28, v28, v25, vcc
	v_cmp_eq_u32_e32 vcc, 24, v0
	;; [unrolled: 2-line block ×3, first 2 shown]
	v_cndmask_b32_e32 v28, v28, v27, vcc
	s_waitcnt lgkmcnt(0)
	v_mul_f32_e32 v30, v28, v29
	s_cbranch_execz .LBB89_450
	s_branch .LBB89_451
.LBB89_449:
                                        ; implicit-def: $vgpr30
.LBB89_450:
	ds_read_b32 v30, v118
.LBB89_451:
	v_cmp_ne_u32_e32 vcc, 7, v0
	s_and_saveexec_b64 s[14:15], vcc
	s_cbranch_execz .LBB89_455
; %bb.452:
	v_mov_b32_e32 v28, 0x74
	v_lshl_add_u32 v31, v0, 2, v28
	v_mov_b32_e32 v29, v1
	s_mov_b64 s[16:17], 0
	v_mov_b32_e32 v28, v0
.LBB89_453:                             ; =>This Inner Loop Header: Depth=1
	v_add_co_u32_e32 v28, vcc, 1, v28
	v_addc_co_u32_e32 v29, vcc, 0, v29, vcc
	v_cmp_eq_u32_e32 vcc, 1, v28
	v_cndmask_b32_e32 v33, v2, v3, vcc
	v_cmp_lt_u32_e32 vcc, 6, v28
	v_cmp_eq_u32_e64 s[10:11], 2, v28
	v_cndmask_b32_e64 v33, v33, v4, s[10:11]
	s_or_b64 s[16:17], vcc, s[16:17]
	v_cmp_eq_u32_e32 vcc, 3, v28
	v_cndmask_b32_e32 v33, v33, v5, vcc
	v_cmp_eq_u32_e32 vcc, 4, v28
	v_cndmask_b32_e32 v33, v33, v6, vcc
	;; [unrolled: 2-line block ×18, first 2 shown]
	v_cmp_eq_u32_e32 vcc, 21, v28
	ds_read_b32 v32, v31
	v_cndmask_b32_e32 v33, v33, v23, vcc
	v_cmp_eq_u32_e32 vcc, 22, v28
	v_cndmask_b32_e32 v33, v33, v24, vcc
	v_cmp_eq_u32_e32 vcc, 23, v28
	;; [unrolled: 2-line block ×4, first 2 shown]
	v_cndmask_b32_e32 v33, v33, v27, vcc
	v_add_u32_e32 v31, 4, v31
	s_waitcnt lgkmcnt(0)
	v_fmac_f32_e32 v30, v33, v32
	s_andn2_b64 exec, exec, s[16:17]
	s_cbranch_execnz .LBB89_453
; %bb.454:
	s_or_b64 exec, exec, s[16:17]
.LBB89_455:
	s_or_b64 exec, exec, s[14:15]
	v_mov_b32_e32 v10, 0
	ds_read_b32 v10, v10 offset:32
	s_waitcnt lgkmcnt(0)
	v_mul_f32_e32 v10, v30, v10
.LBB89_456:
	s_or_b64 exec, exec, s[12:13]
	v_cmp_gt_u32_e32 vcc, 9, v0
	ds_write_b32 v118, v11
	s_waitcnt lgkmcnt(0)
	; wave barrier
	s_and_saveexec_b64 s[10:11], vcc
	s_cbranch_execz .LBB89_478
; %bb.457:
	s_and_b64 vcc, exec, s[0:1]
	s_cbranch_vccnz .LBB89_459
; %bb.458:
	v_cmp_eq_u32_e32 vcc, 1, v0
	v_cndmask_b32_e32 v28, v2, v3, vcc
	v_cmp_eq_u32_e32 vcc, 2, v0
	v_cndmask_b32_e32 v28, v28, v4, vcc
	;; [unrolled: 2-line block ×21, first 2 shown]
	v_cmp_eq_u32_e32 vcc, 22, v0
	ds_read_b32 v29, v118
	v_cndmask_b32_e32 v28, v28, v24, vcc
	v_cmp_eq_u32_e32 vcc, 23, v0
	v_cndmask_b32_e32 v28, v28, v25, vcc
	v_cmp_eq_u32_e32 vcc, 24, v0
	;; [unrolled: 2-line block ×3, first 2 shown]
	v_cndmask_b32_e32 v28, v28, v27, vcc
	s_waitcnt lgkmcnt(0)
	v_mul_f32_e32 v28, v28, v29
	s_cbranch_execz .LBB89_460
	s_branch .LBB89_461
.LBB89_459:
                                        ; implicit-def: $vgpr28
.LBB89_460:
	ds_read_b32 v28, v118
.LBB89_461:
	v_cmp_ne_u32_e32 vcc, 8, v0
	s_and_saveexec_b64 s[12:13], vcc
	s_cbranch_execz .LBB89_477
; %bb.462:
	v_cmp_eq_u32_e32 vcc, 1, v34
	v_cndmask_b32_e32 v29, v2, v3, vcc
	v_cmp_eq_u32_e32 vcc, 2, v34
	v_cndmask_b32_e32 v29, v29, v4, vcc
	;; [unrolled: 2-line block ×21, first 2 shown]
	v_cmp_eq_u32_e32 vcc, 22, v34
	ds_read_b32 v30, v118 offset:4
	v_cndmask_b32_e32 v29, v29, v24, vcc
	v_cmp_eq_u32_e32 vcc, 23, v34
	v_cndmask_b32_e32 v29, v29, v25, vcc
	v_cmp_eq_u32_e32 vcc, 24, v34
	;; [unrolled: 2-line block ×3, first 2 shown]
	v_cndmask_b32_e32 v29, v29, v27, vcc
	s_waitcnt lgkmcnt(0)
	v_fmac_f32_e32 v28, v29, v30
	s_and_saveexec_b64 s[14:15], s[8:9]
	s_cbranch_execz .LBB89_476
; %bb.463:
	v_add_u32_e32 v29, 2, v0
	v_cmp_eq_u32_e32 vcc, 1, v29
	v_cndmask_b32_e32 v30, v2, v3, vcc
	v_cmp_eq_u32_e32 vcc, 2, v29
	v_cndmask_b32_e32 v30, v30, v4, vcc
	;; [unrolled: 2-line block ×21, first 2 shown]
	v_cmp_eq_u32_e32 vcc, 22, v29
	ds_read_b32 v31, v118 offset:8
	v_cndmask_b32_e32 v30, v30, v24, vcc
	v_cmp_eq_u32_e32 vcc, 23, v29
	v_cndmask_b32_e32 v30, v30, v25, vcc
	v_cmp_eq_u32_e32 vcc, 24, v29
	;; [unrolled: 2-line block ×3, first 2 shown]
	v_cndmask_b32_e32 v29, v30, v27, vcc
	s_waitcnt lgkmcnt(0)
	v_fmac_f32_e32 v28, v29, v31
	v_cmp_ne_u32_e32 vcc, 6, v0
	s_and_saveexec_b64 s[8:9], vcc
	s_cbranch_execz .LBB89_475
; %bb.464:
	v_add_u32_e32 v29, 3, v0
	v_cmp_eq_u32_e32 vcc, 1, v29
	v_cndmask_b32_e32 v30, v2, v3, vcc
	v_cmp_eq_u32_e32 vcc, 2, v29
	v_cndmask_b32_e32 v30, v30, v4, vcc
	;; [unrolled: 2-line block ×21, first 2 shown]
	v_cmp_eq_u32_e32 vcc, 22, v29
	ds_read_b32 v31, v118 offset:12
	v_cndmask_b32_e32 v30, v30, v24, vcc
	v_cmp_eq_u32_e32 vcc, 23, v29
	v_cndmask_b32_e32 v30, v30, v25, vcc
	v_cmp_eq_u32_e32 vcc, 24, v29
	;; [unrolled: 2-line block ×3, first 2 shown]
	v_cndmask_b32_e32 v29, v30, v27, vcc
	s_waitcnt lgkmcnt(0)
	v_fmac_f32_e32 v28, v29, v31
	s_and_saveexec_b64 s[16:17], s[6:7]
	s_cbranch_execz .LBB89_474
; %bb.465:
	v_add_u32_e32 v29, 4, v0
	v_cmp_eq_u32_e32 vcc, 1, v29
	v_cndmask_b32_e32 v30, v2, v3, vcc
	v_cmp_eq_u32_e32 vcc, 2, v29
	v_cndmask_b32_e32 v30, v30, v4, vcc
	;; [unrolled: 2-line block ×21, first 2 shown]
	v_cmp_eq_u32_e32 vcc, 22, v29
	ds_read_b32 v31, v118 offset:16
	v_cndmask_b32_e32 v30, v30, v24, vcc
	v_cmp_eq_u32_e32 vcc, 23, v29
	v_cndmask_b32_e32 v30, v30, v25, vcc
	v_cmp_eq_u32_e32 vcc, 24, v29
	;; [unrolled: 2-line block ×3, first 2 shown]
	v_cndmask_b32_e32 v29, v30, v27, vcc
	s_waitcnt lgkmcnt(0)
	v_fmac_f32_e32 v28, v29, v31
	v_cmp_ne_u32_e32 vcc, 4, v0
	s_and_saveexec_b64 s[6:7], vcc
	s_cbranch_execz .LBB89_473
; %bb.466:
	v_add_u32_e32 v29, 5, v0
	v_cmp_eq_u32_e32 vcc, 1, v29
	v_cndmask_b32_e32 v30, v2, v3, vcc
	v_cmp_eq_u32_e32 vcc, 2, v29
	v_cndmask_b32_e32 v30, v30, v4, vcc
	;; [unrolled: 2-line block ×21, first 2 shown]
	v_cmp_eq_u32_e32 vcc, 22, v29
	ds_read_b32 v31, v118 offset:20
	v_cndmask_b32_e32 v30, v30, v24, vcc
	v_cmp_eq_u32_e32 vcc, 23, v29
	v_cndmask_b32_e32 v30, v30, v25, vcc
	v_cmp_eq_u32_e32 vcc, 24, v29
	;; [unrolled: 2-line block ×3, first 2 shown]
	v_cndmask_b32_e32 v29, v30, v27, vcc
	s_waitcnt lgkmcnt(0)
	v_fmac_f32_e32 v28, v29, v31
	s_and_saveexec_b64 s[18:19], s[4:5]
	s_cbranch_execz .LBB89_472
; %bb.467:
	v_add_u32_e32 v29, 6, v0
	v_cmp_eq_u32_e32 vcc, 1, v29
	v_cndmask_b32_e32 v30, v2, v3, vcc
	v_cmp_eq_u32_e32 vcc, 2, v29
	v_cndmask_b32_e32 v30, v30, v4, vcc
	;; [unrolled: 2-line block ×21, first 2 shown]
	v_cmp_eq_u32_e32 vcc, 22, v29
	ds_read_b32 v31, v118 offset:24
	v_cndmask_b32_e32 v30, v30, v24, vcc
	v_cmp_eq_u32_e32 vcc, 23, v29
	v_cndmask_b32_e32 v30, v30, v25, vcc
	v_cmp_eq_u32_e32 vcc, 24, v29
	;; [unrolled: 2-line block ×3, first 2 shown]
	v_cndmask_b32_e32 v29, v30, v27, vcc
	s_waitcnt lgkmcnt(0)
	v_fmac_f32_e32 v28, v29, v31
	v_cmp_ne_u32_e32 vcc, 2, v0
	s_and_saveexec_b64 s[4:5], vcc
	s_cbranch_execz .LBB89_471
; %bb.468:
	v_add_u32_e32 v29, 7, v0
	v_cmp_eq_u32_e32 vcc, 1, v29
	v_cndmask_b32_e32 v30, v2, v3, vcc
	v_cmp_eq_u32_e32 vcc, 2, v29
	v_cndmask_b32_e32 v30, v30, v4, vcc
	;; [unrolled: 2-line block ×21, first 2 shown]
	v_cmp_eq_u32_e32 vcc, 22, v29
	ds_read_b32 v30, v118 offset:28
	v_cndmask_b32_e32 v11, v11, v24, vcc
	v_cmp_eq_u32_e32 vcc, 23, v29
	v_cndmask_b32_e32 v11, v11, v25, vcc
	v_cmp_eq_u32_e32 vcc, 24, v29
	;; [unrolled: 2-line block ×3, first 2 shown]
	v_cndmask_b32_e32 v11, v11, v27, vcc
	s_waitcnt lgkmcnt(0)
	v_fmac_f32_e32 v28, v11, v30
	s_and_saveexec_b64 s[20:21], s[2:3]
	s_cbranch_execz .LBB89_470
; %bb.469:
	ds_read_b32 v11, v118 offset:32
	s_waitcnt lgkmcnt(0)
	v_fmac_f32_e32 v28, v10, v11
.LBB89_470:
	s_or_b64 exec, exec, s[20:21]
.LBB89_471:
	s_or_b64 exec, exec, s[4:5]
.LBB89_472:
	s_or_b64 exec, exec, s[18:19]
.LBB89_473:
	s_or_b64 exec, exec, s[6:7]
.LBB89_474:
	s_or_b64 exec, exec, s[16:17]
.LBB89_475:
	s_or_b64 exec, exec, s[8:9]
.LBB89_476:
	s_or_b64 exec, exec, s[14:15]
.LBB89_477:
	s_or_b64 exec, exec, s[12:13]
	v_mov_b32_e32 v11, 0
	ds_read_b32 v11, v11 offset:36
	s_waitcnt lgkmcnt(0)
	v_mul_f32_e32 v11, v28, v11
.LBB89_478:
	s_or_b64 exec, exec, s[10:11]
	v_cmp_gt_u32_e32 vcc, 10, v0
	ds_write_b32 v118, v12
	s_waitcnt lgkmcnt(0)
	; wave barrier
	s_and_saveexec_b64 s[4:5], vcc
	s_cbranch_execz .LBB89_488
; %bb.479:
	s_and_b64 vcc, exec, s[0:1]
	s_cbranch_vccnz .LBB89_481
; %bb.480:
	v_cmp_eq_u32_e32 vcc, 1, v0
	v_cndmask_b32_e32 v28, v2, v3, vcc
	v_cmp_eq_u32_e32 vcc, 2, v0
	v_cndmask_b32_e32 v28, v28, v4, vcc
	;; [unrolled: 2-line block ×21, first 2 shown]
	v_cmp_eq_u32_e32 vcc, 22, v0
	ds_read_b32 v29, v118
	v_cndmask_b32_e32 v28, v28, v24, vcc
	v_cmp_eq_u32_e32 vcc, 23, v0
	v_cndmask_b32_e32 v28, v28, v25, vcc
	v_cmp_eq_u32_e32 vcc, 24, v0
	;; [unrolled: 2-line block ×3, first 2 shown]
	v_cndmask_b32_e32 v28, v28, v27, vcc
	s_waitcnt lgkmcnt(0)
	v_mul_f32_e32 v30, v28, v29
	s_cbranch_execz .LBB89_482
	s_branch .LBB89_483
.LBB89_481:
                                        ; implicit-def: $vgpr30
.LBB89_482:
	ds_read_b32 v30, v118
.LBB89_483:
	v_cmp_ne_u32_e32 vcc, 9, v0
	s_and_saveexec_b64 s[6:7], vcc
	s_cbranch_execz .LBB89_487
; %bb.484:
	v_mov_b32_e32 v28, 0x74
	v_lshl_add_u32 v31, v0, 2, v28
	v_mov_b32_e32 v29, v1
	s_mov_b64 s[8:9], 0
	v_mov_b32_e32 v28, v0
.LBB89_485:                             ; =>This Inner Loop Header: Depth=1
	v_add_co_u32_e32 v28, vcc, 1, v28
	v_addc_co_u32_e32 v29, vcc, 0, v29, vcc
	v_cmp_eq_u32_e32 vcc, 1, v28
	v_cndmask_b32_e32 v33, v2, v3, vcc
	v_cmp_lt_u32_e32 vcc, 8, v28
	v_cmp_eq_u32_e64 s[2:3], 2, v28
	v_cndmask_b32_e64 v33, v33, v4, s[2:3]
	s_or_b64 s[8:9], vcc, s[8:9]
	v_cmp_eq_u32_e32 vcc, 3, v28
	v_cndmask_b32_e32 v33, v33, v5, vcc
	v_cmp_eq_u32_e32 vcc, 4, v28
	v_cndmask_b32_e32 v33, v33, v6, vcc
	;; [unrolled: 2-line block ×18, first 2 shown]
	v_cmp_eq_u32_e32 vcc, 21, v28
	ds_read_b32 v32, v31
	v_cndmask_b32_e32 v33, v33, v23, vcc
	v_cmp_eq_u32_e32 vcc, 22, v28
	v_cndmask_b32_e32 v33, v33, v24, vcc
	v_cmp_eq_u32_e32 vcc, 23, v28
	;; [unrolled: 2-line block ×4, first 2 shown]
	v_cndmask_b32_e32 v33, v33, v27, vcc
	v_add_u32_e32 v31, 4, v31
	s_waitcnt lgkmcnt(0)
	v_fmac_f32_e32 v30, v33, v32
	s_andn2_b64 exec, exec, s[8:9]
	s_cbranch_execnz .LBB89_485
; %bb.486:
	s_or_b64 exec, exec, s[8:9]
.LBB89_487:
	s_or_b64 exec, exec, s[6:7]
	v_mov_b32_e32 v12, 0
	ds_read_b32 v12, v12 offset:40
	s_waitcnt lgkmcnt(0)
	v_mul_f32_e32 v12, v30, v12
.LBB89_488:
	s_or_b64 exec, exec, s[4:5]
	v_cmp_gt_u32_e32 vcc, 11, v0
	ds_write_b32 v118, v13
	s_waitcnt lgkmcnt(0)
	; wave barrier
	s_and_saveexec_b64 s[4:5], vcc
	s_cbranch_execz .LBB89_498
; %bb.489:
	s_and_b64 vcc, exec, s[0:1]
	s_cbranch_vccnz .LBB89_491
; %bb.490:
	v_cmp_eq_u32_e32 vcc, 1, v0
	v_cndmask_b32_e32 v28, v2, v3, vcc
	v_cmp_eq_u32_e32 vcc, 2, v0
	v_cndmask_b32_e32 v28, v28, v4, vcc
	;; [unrolled: 2-line block ×21, first 2 shown]
	v_cmp_eq_u32_e32 vcc, 22, v0
	ds_read_b32 v29, v118
	v_cndmask_b32_e32 v28, v28, v24, vcc
	v_cmp_eq_u32_e32 vcc, 23, v0
	v_cndmask_b32_e32 v28, v28, v25, vcc
	v_cmp_eq_u32_e32 vcc, 24, v0
	;; [unrolled: 2-line block ×3, first 2 shown]
	v_cndmask_b32_e32 v28, v28, v27, vcc
	s_waitcnt lgkmcnt(0)
	v_mul_f32_e32 v30, v28, v29
	s_cbranch_execz .LBB89_492
	s_branch .LBB89_493
.LBB89_491:
                                        ; implicit-def: $vgpr30
.LBB89_492:
	ds_read_b32 v30, v118
.LBB89_493:
	v_cmp_ne_u32_e32 vcc, 10, v0
	s_and_saveexec_b64 s[6:7], vcc
	s_cbranch_execz .LBB89_497
; %bb.494:
	v_mov_b32_e32 v28, 0x74
	v_lshl_add_u32 v31, v0, 2, v28
	v_mov_b32_e32 v29, v1
	s_mov_b64 s[8:9], 0
	v_mov_b32_e32 v28, v0
.LBB89_495:                             ; =>This Inner Loop Header: Depth=1
	v_add_co_u32_e32 v28, vcc, 1, v28
	v_addc_co_u32_e32 v29, vcc, 0, v29, vcc
	v_cmp_eq_u32_e32 vcc, 1, v28
	v_cndmask_b32_e32 v33, v2, v3, vcc
	v_cmp_lt_u32_e32 vcc, 9, v28
	v_cmp_eq_u32_e64 s[2:3], 2, v28
	v_cndmask_b32_e64 v33, v33, v4, s[2:3]
	s_or_b64 s[8:9], vcc, s[8:9]
	v_cmp_eq_u32_e32 vcc, 3, v28
	v_cndmask_b32_e32 v33, v33, v5, vcc
	v_cmp_eq_u32_e32 vcc, 4, v28
	v_cndmask_b32_e32 v33, v33, v6, vcc
	;; [unrolled: 2-line block ×18, first 2 shown]
	v_cmp_eq_u32_e32 vcc, 21, v28
	ds_read_b32 v32, v31
	v_cndmask_b32_e32 v33, v33, v23, vcc
	v_cmp_eq_u32_e32 vcc, 22, v28
	v_cndmask_b32_e32 v33, v33, v24, vcc
	v_cmp_eq_u32_e32 vcc, 23, v28
	;; [unrolled: 2-line block ×4, first 2 shown]
	v_cndmask_b32_e32 v33, v33, v27, vcc
	v_add_u32_e32 v31, 4, v31
	s_waitcnt lgkmcnt(0)
	v_fmac_f32_e32 v30, v33, v32
	s_andn2_b64 exec, exec, s[8:9]
	s_cbranch_execnz .LBB89_495
; %bb.496:
	s_or_b64 exec, exec, s[8:9]
.LBB89_497:
	s_or_b64 exec, exec, s[6:7]
	v_mov_b32_e32 v13, 0
	ds_read_b32 v13, v13 offset:44
	s_waitcnt lgkmcnt(0)
	v_mul_f32_e32 v13, v30, v13
.LBB89_498:
	s_or_b64 exec, exec, s[4:5]
	v_cmp_gt_u32_e32 vcc, 12, v0
	ds_write_b32 v118, v14
	s_waitcnt lgkmcnt(0)
	; wave barrier
	s_and_saveexec_b64 s[4:5], vcc
	s_cbranch_execz .LBB89_508
; %bb.499:
	s_and_b64 vcc, exec, s[0:1]
	s_cbranch_vccnz .LBB89_501
; %bb.500:
	v_cmp_eq_u32_e32 vcc, 1, v0
	v_cndmask_b32_e32 v28, v2, v3, vcc
	v_cmp_eq_u32_e32 vcc, 2, v0
	v_cndmask_b32_e32 v28, v28, v4, vcc
	;; [unrolled: 2-line block ×21, first 2 shown]
	v_cmp_eq_u32_e32 vcc, 22, v0
	ds_read_b32 v29, v118
	v_cndmask_b32_e32 v28, v28, v24, vcc
	v_cmp_eq_u32_e32 vcc, 23, v0
	v_cndmask_b32_e32 v28, v28, v25, vcc
	v_cmp_eq_u32_e32 vcc, 24, v0
	;; [unrolled: 2-line block ×3, first 2 shown]
	v_cndmask_b32_e32 v28, v28, v27, vcc
	s_waitcnt lgkmcnt(0)
	v_mul_f32_e32 v30, v28, v29
	s_cbranch_execz .LBB89_502
	s_branch .LBB89_503
.LBB89_501:
                                        ; implicit-def: $vgpr30
.LBB89_502:
	ds_read_b32 v30, v118
.LBB89_503:
	v_cmp_ne_u32_e32 vcc, 11, v0
	s_and_saveexec_b64 s[6:7], vcc
	s_cbranch_execz .LBB89_507
; %bb.504:
	v_mov_b32_e32 v28, 0x74
	v_lshl_add_u32 v31, v0, 2, v28
	v_mov_b32_e32 v29, v1
	s_mov_b64 s[8:9], 0
	v_mov_b32_e32 v28, v0
.LBB89_505:                             ; =>This Inner Loop Header: Depth=1
	v_add_co_u32_e32 v28, vcc, 1, v28
	v_addc_co_u32_e32 v29, vcc, 0, v29, vcc
	v_cmp_eq_u32_e32 vcc, 1, v28
	v_cndmask_b32_e32 v33, v2, v3, vcc
	v_cmp_lt_u32_e32 vcc, 10, v28
	v_cmp_eq_u32_e64 s[2:3], 2, v28
	v_cndmask_b32_e64 v33, v33, v4, s[2:3]
	s_or_b64 s[8:9], vcc, s[8:9]
	v_cmp_eq_u32_e32 vcc, 3, v28
	v_cndmask_b32_e32 v33, v33, v5, vcc
	v_cmp_eq_u32_e32 vcc, 4, v28
	v_cndmask_b32_e32 v33, v33, v6, vcc
	v_cmp_eq_u32_e32 vcc, 5, v28
	v_cndmask_b32_e32 v33, v33, v7, vcc
	v_cmp_eq_u32_e32 vcc, 6, v28
	v_cndmask_b32_e32 v33, v33, v8, vcc
	v_cmp_eq_u32_e32 vcc, 7, v28
	v_cndmask_b32_e32 v33, v33, v9, vcc
	v_cmp_eq_u32_e32 vcc, 8, v28
	v_cndmask_b32_e32 v33, v33, v10, vcc
	v_cmp_eq_u32_e32 vcc, 9, v28
	v_cndmask_b32_e32 v33, v33, v11, vcc
	v_cmp_eq_u32_e32 vcc, 10, v28
	v_cndmask_b32_e32 v33, v33, v12, vcc
	v_cmp_eq_u32_e32 vcc, 11, v28
	v_cndmask_b32_e32 v33, v33, v13, vcc
	v_cmp_eq_u32_e32 vcc, 12, v28
	v_cndmask_b32_e32 v33, v33, v14, vcc
	v_cmp_eq_u32_e32 vcc, 13, v28
	v_cndmask_b32_e32 v33, v33, v15, vcc
	v_cmp_eq_u32_e32 vcc, 14, v28
	v_cndmask_b32_e32 v33, v33, v16, vcc
	v_cmp_eq_u32_e32 vcc, 15, v28
	v_cndmask_b32_e32 v33, v33, v17, vcc
	v_cmp_eq_u32_e32 vcc, 16, v28
	v_cndmask_b32_e32 v33, v33, v18, vcc
	v_cmp_eq_u32_e32 vcc, 17, v28
	v_cndmask_b32_e32 v33, v33, v19, vcc
	v_cmp_eq_u32_e32 vcc, 18, v28
	v_cndmask_b32_e32 v33, v33, v20, vcc
	v_cmp_eq_u32_e32 vcc, 19, v28
	v_cndmask_b32_e32 v33, v33, v21, vcc
	v_cmp_eq_u32_e32 vcc, 20, v28
	v_cndmask_b32_e32 v33, v33, v22, vcc
	v_cmp_eq_u32_e32 vcc, 21, v28
	ds_read_b32 v32, v31
	v_cndmask_b32_e32 v33, v33, v23, vcc
	v_cmp_eq_u32_e32 vcc, 22, v28
	v_cndmask_b32_e32 v33, v33, v24, vcc
	v_cmp_eq_u32_e32 vcc, 23, v28
	;; [unrolled: 2-line block ×4, first 2 shown]
	v_cndmask_b32_e32 v33, v33, v27, vcc
	v_add_u32_e32 v31, 4, v31
	s_waitcnt lgkmcnt(0)
	v_fmac_f32_e32 v30, v33, v32
	s_andn2_b64 exec, exec, s[8:9]
	s_cbranch_execnz .LBB89_505
; %bb.506:
	s_or_b64 exec, exec, s[8:9]
.LBB89_507:
	s_or_b64 exec, exec, s[6:7]
	v_mov_b32_e32 v14, 0
	ds_read_b32 v14, v14 offset:48
	s_waitcnt lgkmcnt(0)
	v_mul_f32_e32 v14, v30, v14
.LBB89_508:
	s_or_b64 exec, exec, s[4:5]
	v_cmp_gt_u32_e32 vcc, 13, v0
	ds_write_b32 v118, v15
	s_waitcnt lgkmcnt(0)
	; wave barrier
	s_and_saveexec_b64 s[4:5], vcc
	s_cbranch_execz .LBB89_518
; %bb.509:
	s_and_b64 vcc, exec, s[0:1]
	s_cbranch_vccnz .LBB89_511
; %bb.510:
	v_cmp_eq_u32_e32 vcc, 1, v0
	v_cndmask_b32_e32 v28, v2, v3, vcc
	v_cmp_eq_u32_e32 vcc, 2, v0
	v_cndmask_b32_e32 v28, v28, v4, vcc
	;; [unrolled: 2-line block ×21, first 2 shown]
	v_cmp_eq_u32_e32 vcc, 22, v0
	ds_read_b32 v29, v118
	v_cndmask_b32_e32 v28, v28, v24, vcc
	v_cmp_eq_u32_e32 vcc, 23, v0
	v_cndmask_b32_e32 v28, v28, v25, vcc
	v_cmp_eq_u32_e32 vcc, 24, v0
	;; [unrolled: 2-line block ×3, first 2 shown]
	v_cndmask_b32_e32 v28, v28, v27, vcc
	s_waitcnt lgkmcnt(0)
	v_mul_f32_e32 v30, v28, v29
	s_cbranch_execz .LBB89_512
	s_branch .LBB89_513
.LBB89_511:
                                        ; implicit-def: $vgpr30
.LBB89_512:
	ds_read_b32 v30, v118
.LBB89_513:
	v_cmp_ne_u32_e32 vcc, 12, v0
	s_and_saveexec_b64 s[6:7], vcc
	s_cbranch_execz .LBB89_517
; %bb.514:
	v_mov_b32_e32 v28, 0x74
	v_lshl_add_u32 v31, v0, 2, v28
	v_mov_b32_e32 v29, v1
	s_mov_b64 s[8:9], 0
	v_mov_b32_e32 v28, v0
.LBB89_515:                             ; =>This Inner Loop Header: Depth=1
	v_add_co_u32_e32 v28, vcc, 1, v28
	v_addc_co_u32_e32 v29, vcc, 0, v29, vcc
	v_cmp_eq_u32_e32 vcc, 1, v28
	v_cndmask_b32_e32 v33, v2, v3, vcc
	v_cmp_lt_u32_e32 vcc, 11, v28
	v_cmp_eq_u32_e64 s[2:3], 2, v28
	v_cndmask_b32_e64 v33, v33, v4, s[2:3]
	s_or_b64 s[8:9], vcc, s[8:9]
	v_cmp_eq_u32_e32 vcc, 3, v28
	v_cndmask_b32_e32 v33, v33, v5, vcc
	v_cmp_eq_u32_e32 vcc, 4, v28
	v_cndmask_b32_e32 v33, v33, v6, vcc
	;; [unrolled: 2-line block ×18, first 2 shown]
	v_cmp_eq_u32_e32 vcc, 21, v28
	ds_read_b32 v32, v31
	v_cndmask_b32_e32 v33, v33, v23, vcc
	v_cmp_eq_u32_e32 vcc, 22, v28
	v_cndmask_b32_e32 v33, v33, v24, vcc
	v_cmp_eq_u32_e32 vcc, 23, v28
	;; [unrolled: 2-line block ×4, first 2 shown]
	v_cndmask_b32_e32 v33, v33, v27, vcc
	v_add_u32_e32 v31, 4, v31
	s_waitcnt lgkmcnt(0)
	v_fmac_f32_e32 v30, v33, v32
	s_andn2_b64 exec, exec, s[8:9]
	s_cbranch_execnz .LBB89_515
; %bb.516:
	s_or_b64 exec, exec, s[8:9]
.LBB89_517:
	s_or_b64 exec, exec, s[6:7]
	v_mov_b32_e32 v15, 0
	ds_read_b32 v15, v15 offset:52
	s_waitcnt lgkmcnt(0)
	v_mul_f32_e32 v15, v30, v15
.LBB89_518:
	s_or_b64 exec, exec, s[4:5]
	v_cmp_gt_u32_e32 vcc, 14, v0
	ds_write_b32 v118, v16
	s_waitcnt lgkmcnt(0)
	; wave barrier
	s_and_saveexec_b64 s[4:5], vcc
	s_cbranch_execz .LBB89_528
; %bb.519:
	s_and_b64 vcc, exec, s[0:1]
	s_cbranch_vccnz .LBB89_521
; %bb.520:
	v_cmp_eq_u32_e32 vcc, 1, v0
	v_cndmask_b32_e32 v28, v2, v3, vcc
	v_cmp_eq_u32_e32 vcc, 2, v0
	v_cndmask_b32_e32 v28, v28, v4, vcc
	;; [unrolled: 2-line block ×21, first 2 shown]
	v_cmp_eq_u32_e32 vcc, 22, v0
	ds_read_b32 v29, v118
	v_cndmask_b32_e32 v28, v28, v24, vcc
	v_cmp_eq_u32_e32 vcc, 23, v0
	v_cndmask_b32_e32 v28, v28, v25, vcc
	v_cmp_eq_u32_e32 vcc, 24, v0
	;; [unrolled: 2-line block ×3, first 2 shown]
	v_cndmask_b32_e32 v28, v28, v27, vcc
	s_waitcnt lgkmcnt(0)
	v_mul_f32_e32 v30, v28, v29
	s_cbranch_execz .LBB89_522
	s_branch .LBB89_523
.LBB89_521:
                                        ; implicit-def: $vgpr30
.LBB89_522:
	ds_read_b32 v30, v118
.LBB89_523:
	v_cmp_ne_u32_e32 vcc, 13, v0
	s_and_saveexec_b64 s[6:7], vcc
	s_cbranch_execz .LBB89_527
; %bb.524:
	v_mov_b32_e32 v28, 0x74
	v_lshl_add_u32 v31, v0, 2, v28
	v_mov_b32_e32 v29, v1
	s_mov_b64 s[8:9], 0
	v_mov_b32_e32 v28, v0
.LBB89_525:                             ; =>This Inner Loop Header: Depth=1
	v_add_co_u32_e32 v28, vcc, 1, v28
	v_addc_co_u32_e32 v29, vcc, 0, v29, vcc
	v_cmp_eq_u32_e32 vcc, 1, v28
	v_cndmask_b32_e32 v33, v2, v3, vcc
	v_cmp_lt_u32_e32 vcc, 12, v28
	v_cmp_eq_u32_e64 s[2:3], 2, v28
	v_cndmask_b32_e64 v33, v33, v4, s[2:3]
	s_or_b64 s[8:9], vcc, s[8:9]
	v_cmp_eq_u32_e32 vcc, 3, v28
	v_cndmask_b32_e32 v33, v33, v5, vcc
	v_cmp_eq_u32_e32 vcc, 4, v28
	v_cndmask_b32_e32 v33, v33, v6, vcc
	;; [unrolled: 2-line block ×18, first 2 shown]
	v_cmp_eq_u32_e32 vcc, 21, v28
	ds_read_b32 v32, v31
	v_cndmask_b32_e32 v33, v33, v23, vcc
	v_cmp_eq_u32_e32 vcc, 22, v28
	v_cndmask_b32_e32 v33, v33, v24, vcc
	v_cmp_eq_u32_e32 vcc, 23, v28
	;; [unrolled: 2-line block ×4, first 2 shown]
	v_cndmask_b32_e32 v33, v33, v27, vcc
	v_add_u32_e32 v31, 4, v31
	s_waitcnt lgkmcnt(0)
	v_fmac_f32_e32 v30, v33, v32
	s_andn2_b64 exec, exec, s[8:9]
	s_cbranch_execnz .LBB89_525
; %bb.526:
	s_or_b64 exec, exec, s[8:9]
.LBB89_527:
	s_or_b64 exec, exec, s[6:7]
	v_mov_b32_e32 v16, 0
	ds_read_b32 v16, v16 offset:56
	s_waitcnt lgkmcnt(0)
	v_mul_f32_e32 v16, v30, v16
.LBB89_528:
	s_or_b64 exec, exec, s[4:5]
	v_cmp_gt_u32_e32 vcc, 15, v0
	ds_write_b32 v118, v17
	s_waitcnt lgkmcnt(0)
	; wave barrier
	s_and_saveexec_b64 s[4:5], vcc
	s_cbranch_execz .LBB89_538
; %bb.529:
	s_and_b64 vcc, exec, s[0:1]
	s_cbranch_vccnz .LBB89_531
; %bb.530:
	v_cmp_eq_u32_e32 vcc, 1, v0
	v_cndmask_b32_e32 v28, v2, v3, vcc
	v_cmp_eq_u32_e32 vcc, 2, v0
	v_cndmask_b32_e32 v28, v28, v4, vcc
	;; [unrolled: 2-line block ×21, first 2 shown]
	v_cmp_eq_u32_e32 vcc, 22, v0
	ds_read_b32 v29, v118
	v_cndmask_b32_e32 v28, v28, v24, vcc
	v_cmp_eq_u32_e32 vcc, 23, v0
	v_cndmask_b32_e32 v28, v28, v25, vcc
	v_cmp_eq_u32_e32 vcc, 24, v0
	;; [unrolled: 2-line block ×3, first 2 shown]
	v_cndmask_b32_e32 v28, v28, v27, vcc
	s_waitcnt lgkmcnt(0)
	v_mul_f32_e32 v30, v28, v29
	s_cbranch_execz .LBB89_532
	s_branch .LBB89_533
.LBB89_531:
                                        ; implicit-def: $vgpr30
.LBB89_532:
	ds_read_b32 v30, v118
.LBB89_533:
	v_cmp_ne_u32_e32 vcc, 14, v0
	s_and_saveexec_b64 s[6:7], vcc
	s_cbranch_execz .LBB89_537
; %bb.534:
	v_mov_b32_e32 v28, 0x74
	v_lshl_add_u32 v31, v0, 2, v28
	v_mov_b32_e32 v29, v1
	s_mov_b64 s[8:9], 0
	v_mov_b32_e32 v28, v0
.LBB89_535:                             ; =>This Inner Loop Header: Depth=1
	v_add_co_u32_e32 v28, vcc, 1, v28
	v_addc_co_u32_e32 v29, vcc, 0, v29, vcc
	v_cmp_eq_u32_e32 vcc, 1, v28
	v_cndmask_b32_e32 v33, v2, v3, vcc
	v_cmp_lt_u32_e32 vcc, 13, v28
	v_cmp_eq_u32_e64 s[2:3], 2, v28
	v_cndmask_b32_e64 v33, v33, v4, s[2:3]
	s_or_b64 s[8:9], vcc, s[8:9]
	v_cmp_eq_u32_e32 vcc, 3, v28
	v_cndmask_b32_e32 v33, v33, v5, vcc
	v_cmp_eq_u32_e32 vcc, 4, v28
	v_cndmask_b32_e32 v33, v33, v6, vcc
	;; [unrolled: 2-line block ×18, first 2 shown]
	v_cmp_eq_u32_e32 vcc, 21, v28
	ds_read_b32 v32, v31
	v_cndmask_b32_e32 v33, v33, v23, vcc
	v_cmp_eq_u32_e32 vcc, 22, v28
	v_cndmask_b32_e32 v33, v33, v24, vcc
	v_cmp_eq_u32_e32 vcc, 23, v28
	;; [unrolled: 2-line block ×4, first 2 shown]
	v_cndmask_b32_e32 v33, v33, v27, vcc
	v_add_u32_e32 v31, 4, v31
	s_waitcnt lgkmcnt(0)
	v_fmac_f32_e32 v30, v33, v32
	s_andn2_b64 exec, exec, s[8:9]
	s_cbranch_execnz .LBB89_535
; %bb.536:
	s_or_b64 exec, exec, s[8:9]
.LBB89_537:
	s_or_b64 exec, exec, s[6:7]
	v_mov_b32_e32 v17, 0
	ds_read_b32 v17, v17 offset:60
	s_waitcnt lgkmcnt(0)
	v_mul_f32_e32 v17, v30, v17
.LBB89_538:
	s_or_b64 exec, exec, s[4:5]
	v_cmp_gt_u32_e32 vcc, 16, v0
	ds_write_b32 v118, v18
	s_waitcnt lgkmcnt(0)
	; wave barrier
	s_and_saveexec_b64 s[4:5], vcc
	s_cbranch_execz .LBB89_548
; %bb.539:
	s_and_b64 vcc, exec, s[0:1]
	s_cbranch_vccnz .LBB89_541
; %bb.540:
	v_cmp_eq_u32_e32 vcc, 1, v0
	v_cndmask_b32_e32 v28, v2, v3, vcc
	v_cmp_eq_u32_e32 vcc, 2, v0
	v_cndmask_b32_e32 v28, v28, v4, vcc
	;; [unrolled: 2-line block ×21, first 2 shown]
	v_cmp_eq_u32_e32 vcc, 22, v0
	ds_read_b32 v29, v118
	v_cndmask_b32_e32 v28, v28, v24, vcc
	v_cmp_eq_u32_e32 vcc, 23, v0
	v_cndmask_b32_e32 v28, v28, v25, vcc
	v_cmp_eq_u32_e32 vcc, 24, v0
	v_cndmask_b32_e32 v28, v28, v26, vcc
	v_cmp_eq_u32_e32 vcc, 25, v0
	v_cndmask_b32_e32 v28, v28, v27, vcc
	s_waitcnt lgkmcnt(0)
	v_mul_f32_e32 v30, v28, v29
	s_cbranch_execz .LBB89_542
	s_branch .LBB89_543
.LBB89_541:
                                        ; implicit-def: $vgpr30
.LBB89_542:
	ds_read_b32 v30, v118
.LBB89_543:
	v_cmp_ne_u32_e32 vcc, 15, v0
	s_and_saveexec_b64 s[6:7], vcc
	s_cbranch_execz .LBB89_547
; %bb.544:
	v_mov_b32_e32 v28, 0x74
	v_lshl_add_u32 v31, v0, 2, v28
	v_mov_b32_e32 v29, v1
	s_mov_b64 s[8:9], 0
	v_mov_b32_e32 v28, v0
.LBB89_545:                             ; =>This Inner Loop Header: Depth=1
	v_add_co_u32_e32 v28, vcc, 1, v28
	v_addc_co_u32_e32 v29, vcc, 0, v29, vcc
	v_cmp_eq_u32_e32 vcc, 1, v28
	v_cndmask_b32_e32 v33, v2, v3, vcc
	v_cmp_lt_u32_e32 vcc, 14, v28
	v_cmp_eq_u32_e64 s[2:3], 2, v28
	v_cndmask_b32_e64 v33, v33, v4, s[2:3]
	s_or_b64 s[8:9], vcc, s[8:9]
	v_cmp_eq_u32_e32 vcc, 3, v28
	v_cndmask_b32_e32 v33, v33, v5, vcc
	v_cmp_eq_u32_e32 vcc, 4, v28
	v_cndmask_b32_e32 v33, v33, v6, vcc
	;; [unrolled: 2-line block ×18, first 2 shown]
	v_cmp_eq_u32_e32 vcc, 21, v28
	ds_read_b32 v32, v31
	v_cndmask_b32_e32 v33, v33, v23, vcc
	v_cmp_eq_u32_e32 vcc, 22, v28
	v_cndmask_b32_e32 v33, v33, v24, vcc
	v_cmp_eq_u32_e32 vcc, 23, v28
	;; [unrolled: 2-line block ×4, first 2 shown]
	v_cndmask_b32_e32 v33, v33, v27, vcc
	v_add_u32_e32 v31, 4, v31
	s_waitcnt lgkmcnt(0)
	v_fmac_f32_e32 v30, v33, v32
	s_andn2_b64 exec, exec, s[8:9]
	s_cbranch_execnz .LBB89_545
; %bb.546:
	s_or_b64 exec, exec, s[8:9]
.LBB89_547:
	s_or_b64 exec, exec, s[6:7]
	v_mov_b32_e32 v18, 0
	ds_read_b32 v18, v18 offset:64
	s_waitcnt lgkmcnt(0)
	v_mul_f32_e32 v18, v30, v18
.LBB89_548:
	s_or_b64 exec, exec, s[4:5]
	v_cmp_gt_u32_e32 vcc, 17, v0
	ds_write_b32 v118, v19
	s_waitcnt lgkmcnt(0)
	; wave barrier
	s_and_saveexec_b64 s[4:5], vcc
	s_cbranch_execz .LBB89_558
; %bb.549:
	s_and_b64 vcc, exec, s[0:1]
	s_cbranch_vccnz .LBB89_551
; %bb.550:
	v_cmp_eq_u32_e32 vcc, 1, v0
	v_cndmask_b32_e32 v28, v2, v3, vcc
	v_cmp_eq_u32_e32 vcc, 2, v0
	v_cndmask_b32_e32 v28, v28, v4, vcc
	;; [unrolled: 2-line block ×21, first 2 shown]
	v_cmp_eq_u32_e32 vcc, 22, v0
	ds_read_b32 v29, v118
	v_cndmask_b32_e32 v28, v28, v24, vcc
	v_cmp_eq_u32_e32 vcc, 23, v0
	v_cndmask_b32_e32 v28, v28, v25, vcc
	v_cmp_eq_u32_e32 vcc, 24, v0
	;; [unrolled: 2-line block ×3, first 2 shown]
	v_cndmask_b32_e32 v28, v28, v27, vcc
	s_waitcnt lgkmcnt(0)
	v_mul_f32_e32 v30, v28, v29
	s_cbranch_execz .LBB89_552
	s_branch .LBB89_553
.LBB89_551:
                                        ; implicit-def: $vgpr30
.LBB89_552:
	ds_read_b32 v30, v118
.LBB89_553:
	v_cmp_ne_u32_e32 vcc, 16, v0
	s_and_saveexec_b64 s[6:7], vcc
	s_cbranch_execz .LBB89_557
; %bb.554:
	v_mov_b32_e32 v28, 0x74
	v_lshl_add_u32 v31, v0, 2, v28
	v_mov_b32_e32 v29, v1
	s_mov_b64 s[8:9], 0
	v_mov_b32_e32 v28, v0
.LBB89_555:                             ; =>This Inner Loop Header: Depth=1
	v_add_co_u32_e32 v28, vcc, 1, v28
	v_addc_co_u32_e32 v29, vcc, 0, v29, vcc
	v_cmp_eq_u32_e32 vcc, 1, v28
	v_cndmask_b32_e32 v33, v2, v3, vcc
	v_cmp_lt_u32_e32 vcc, 15, v28
	v_cmp_eq_u32_e64 s[2:3], 2, v28
	v_cndmask_b32_e64 v33, v33, v4, s[2:3]
	s_or_b64 s[8:9], vcc, s[8:9]
	v_cmp_eq_u32_e32 vcc, 3, v28
	v_cndmask_b32_e32 v33, v33, v5, vcc
	v_cmp_eq_u32_e32 vcc, 4, v28
	v_cndmask_b32_e32 v33, v33, v6, vcc
	;; [unrolled: 2-line block ×18, first 2 shown]
	v_cmp_eq_u32_e32 vcc, 21, v28
	ds_read_b32 v32, v31
	v_cndmask_b32_e32 v33, v33, v23, vcc
	v_cmp_eq_u32_e32 vcc, 22, v28
	v_cndmask_b32_e32 v33, v33, v24, vcc
	v_cmp_eq_u32_e32 vcc, 23, v28
	;; [unrolled: 2-line block ×4, first 2 shown]
	v_cndmask_b32_e32 v33, v33, v27, vcc
	v_add_u32_e32 v31, 4, v31
	s_waitcnt lgkmcnt(0)
	v_fmac_f32_e32 v30, v33, v32
	s_andn2_b64 exec, exec, s[8:9]
	s_cbranch_execnz .LBB89_555
; %bb.556:
	s_or_b64 exec, exec, s[8:9]
.LBB89_557:
	s_or_b64 exec, exec, s[6:7]
	v_mov_b32_e32 v19, 0
	ds_read_b32 v19, v19 offset:68
	s_waitcnt lgkmcnt(0)
	v_mul_f32_e32 v19, v30, v19
.LBB89_558:
	s_or_b64 exec, exec, s[4:5]
	v_cmp_gt_u32_e32 vcc, 18, v0
	ds_write_b32 v118, v20
	s_waitcnt lgkmcnt(0)
	; wave barrier
	s_and_saveexec_b64 s[4:5], vcc
	s_cbranch_execz .LBB89_568
; %bb.559:
	s_and_b64 vcc, exec, s[0:1]
	s_cbranch_vccnz .LBB89_561
; %bb.560:
	v_cmp_eq_u32_e32 vcc, 1, v0
	v_cndmask_b32_e32 v28, v2, v3, vcc
	v_cmp_eq_u32_e32 vcc, 2, v0
	v_cndmask_b32_e32 v28, v28, v4, vcc
	;; [unrolled: 2-line block ×21, first 2 shown]
	v_cmp_eq_u32_e32 vcc, 22, v0
	ds_read_b32 v29, v118
	v_cndmask_b32_e32 v28, v28, v24, vcc
	v_cmp_eq_u32_e32 vcc, 23, v0
	v_cndmask_b32_e32 v28, v28, v25, vcc
	v_cmp_eq_u32_e32 vcc, 24, v0
	;; [unrolled: 2-line block ×3, first 2 shown]
	v_cndmask_b32_e32 v28, v28, v27, vcc
	s_waitcnt lgkmcnt(0)
	v_mul_f32_e32 v30, v28, v29
	s_cbranch_execz .LBB89_562
	s_branch .LBB89_563
.LBB89_561:
                                        ; implicit-def: $vgpr30
.LBB89_562:
	ds_read_b32 v30, v118
.LBB89_563:
	v_cmp_ne_u32_e32 vcc, 17, v0
	s_and_saveexec_b64 s[6:7], vcc
	s_cbranch_execz .LBB89_567
; %bb.564:
	v_mov_b32_e32 v28, 0x74
	v_lshl_add_u32 v31, v0, 2, v28
	v_mov_b32_e32 v29, v1
	s_mov_b64 s[8:9], 0
	v_mov_b32_e32 v28, v0
.LBB89_565:                             ; =>This Inner Loop Header: Depth=1
	v_add_co_u32_e32 v28, vcc, 1, v28
	v_addc_co_u32_e32 v29, vcc, 0, v29, vcc
	v_cmp_eq_u32_e32 vcc, 1, v28
	v_cndmask_b32_e32 v33, v2, v3, vcc
	v_cmp_lt_u32_e32 vcc, 16, v28
	v_cmp_eq_u32_e64 s[2:3], 2, v28
	v_cndmask_b32_e64 v33, v33, v4, s[2:3]
	s_or_b64 s[8:9], vcc, s[8:9]
	v_cmp_eq_u32_e32 vcc, 3, v28
	v_cndmask_b32_e32 v33, v33, v5, vcc
	v_cmp_eq_u32_e32 vcc, 4, v28
	v_cndmask_b32_e32 v33, v33, v6, vcc
	;; [unrolled: 2-line block ×18, first 2 shown]
	v_cmp_eq_u32_e32 vcc, 21, v28
	ds_read_b32 v32, v31
	v_cndmask_b32_e32 v33, v33, v23, vcc
	v_cmp_eq_u32_e32 vcc, 22, v28
	v_cndmask_b32_e32 v33, v33, v24, vcc
	v_cmp_eq_u32_e32 vcc, 23, v28
	;; [unrolled: 2-line block ×4, first 2 shown]
	v_cndmask_b32_e32 v33, v33, v27, vcc
	v_add_u32_e32 v31, 4, v31
	s_waitcnt lgkmcnt(0)
	v_fmac_f32_e32 v30, v33, v32
	s_andn2_b64 exec, exec, s[8:9]
	s_cbranch_execnz .LBB89_565
; %bb.566:
	s_or_b64 exec, exec, s[8:9]
.LBB89_567:
	s_or_b64 exec, exec, s[6:7]
	v_mov_b32_e32 v20, 0
	ds_read_b32 v20, v20 offset:72
	s_waitcnt lgkmcnt(0)
	v_mul_f32_e32 v20, v30, v20
.LBB89_568:
	s_or_b64 exec, exec, s[4:5]
	v_cmp_gt_u32_e32 vcc, 19, v0
	ds_write_b32 v118, v21
	s_waitcnt lgkmcnt(0)
	; wave barrier
	s_and_saveexec_b64 s[4:5], vcc
	s_cbranch_execz .LBB89_578
; %bb.569:
	s_and_b64 vcc, exec, s[0:1]
	s_cbranch_vccnz .LBB89_571
; %bb.570:
	v_cmp_eq_u32_e32 vcc, 1, v0
	v_cndmask_b32_e32 v28, v2, v3, vcc
	v_cmp_eq_u32_e32 vcc, 2, v0
	v_cndmask_b32_e32 v28, v28, v4, vcc
	;; [unrolled: 2-line block ×21, first 2 shown]
	v_cmp_eq_u32_e32 vcc, 22, v0
	ds_read_b32 v29, v118
	v_cndmask_b32_e32 v28, v28, v24, vcc
	v_cmp_eq_u32_e32 vcc, 23, v0
	v_cndmask_b32_e32 v28, v28, v25, vcc
	v_cmp_eq_u32_e32 vcc, 24, v0
	;; [unrolled: 2-line block ×3, first 2 shown]
	v_cndmask_b32_e32 v28, v28, v27, vcc
	s_waitcnt lgkmcnt(0)
	v_mul_f32_e32 v30, v28, v29
	s_cbranch_execz .LBB89_572
	s_branch .LBB89_573
.LBB89_571:
                                        ; implicit-def: $vgpr30
.LBB89_572:
	ds_read_b32 v30, v118
.LBB89_573:
	v_cmp_ne_u32_e32 vcc, 18, v0
	s_and_saveexec_b64 s[6:7], vcc
	s_cbranch_execz .LBB89_577
; %bb.574:
	v_mov_b32_e32 v28, 0x74
	v_lshl_add_u32 v31, v0, 2, v28
	v_mov_b32_e32 v29, v1
	s_mov_b64 s[8:9], 0
	v_mov_b32_e32 v28, v0
.LBB89_575:                             ; =>This Inner Loop Header: Depth=1
	v_add_co_u32_e32 v28, vcc, 1, v28
	v_addc_co_u32_e32 v29, vcc, 0, v29, vcc
	v_cmp_eq_u32_e32 vcc, 1, v28
	v_cndmask_b32_e32 v33, v2, v3, vcc
	v_cmp_lt_u32_e32 vcc, 17, v28
	v_cmp_eq_u32_e64 s[2:3], 2, v28
	v_cndmask_b32_e64 v33, v33, v4, s[2:3]
	s_or_b64 s[8:9], vcc, s[8:9]
	v_cmp_eq_u32_e32 vcc, 3, v28
	v_cndmask_b32_e32 v33, v33, v5, vcc
	v_cmp_eq_u32_e32 vcc, 4, v28
	v_cndmask_b32_e32 v33, v33, v6, vcc
	;; [unrolled: 2-line block ×18, first 2 shown]
	v_cmp_eq_u32_e32 vcc, 21, v28
	ds_read_b32 v32, v31
	v_cndmask_b32_e32 v33, v33, v23, vcc
	v_cmp_eq_u32_e32 vcc, 22, v28
	v_cndmask_b32_e32 v33, v33, v24, vcc
	v_cmp_eq_u32_e32 vcc, 23, v28
	;; [unrolled: 2-line block ×4, first 2 shown]
	v_cndmask_b32_e32 v33, v33, v27, vcc
	v_add_u32_e32 v31, 4, v31
	s_waitcnt lgkmcnt(0)
	v_fmac_f32_e32 v30, v33, v32
	s_andn2_b64 exec, exec, s[8:9]
	s_cbranch_execnz .LBB89_575
; %bb.576:
	s_or_b64 exec, exec, s[8:9]
.LBB89_577:
	s_or_b64 exec, exec, s[6:7]
	v_mov_b32_e32 v21, 0
	ds_read_b32 v21, v21 offset:76
	s_waitcnt lgkmcnt(0)
	v_mul_f32_e32 v21, v30, v21
.LBB89_578:
	s_or_b64 exec, exec, s[4:5]
	v_cmp_gt_u32_e32 vcc, 20, v0
	ds_write_b32 v118, v22
	s_waitcnt lgkmcnt(0)
	; wave barrier
	s_and_saveexec_b64 s[4:5], vcc
	s_cbranch_execz .LBB89_588
; %bb.579:
	s_and_b64 vcc, exec, s[0:1]
	s_cbranch_vccnz .LBB89_581
; %bb.580:
	v_cmp_eq_u32_e32 vcc, 1, v0
	v_cndmask_b32_e32 v28, v2, v3, vcc
	v_cmp_eq_u32_e32 vcc, 2, v0
	v_cndmask_b32_e32 v28, v28, v4, vcc
	;; [unrolled: 2-line block ×21, first 2 shown]
	v_cmp_eq_u32_e32 vcc, 22, v0
	ds_read_b32 v29, v118
	v_cndmask_b32_e32 v28, v28, v24, vcc
	v_cmp_eq_u32_e32 vcc, 23, v0
	v_cndmask_b32_e32 v28, v28, v25, vcc
	v_cmp_eq_u32_e32 vcc, 24, v0
	;; [unrolled: 2-line block ×3, first 2 shown]
	v_cndmask_b32_e32 v28, v28, v27, vcc
	s_waitcnt lgkmcnt(0)
	v_mul_f32_e32 v30, v28, v29
	s_cbranch_execz .LBB89_582
	s_branch .LBB89_583
.LBB89_581:
                                        ; implicit-def: $vgpr30
.LBB89_582:
	ds_read_b32 v30, v118
.LBB89_583:
	v_cmp_ne_u32_e32 vcc, 19, v0
	s_and_saveexec_b64 s[6:7], vcc
	s_cbranch_execz .LBB89_587
; %bb.584:
	v_mov_b32_e32 v28, 0x74
	v_lshl_add_u32 v31, v0, 2, v28
	v_mov_b32_e32 v29, v1
	s_mov_b64 s[8:9], 0
	v_mov_b32_e32 v28, v0
.LBB89_585:                             ; =>This Inner Loop Header: Depth=1
	v_add_co_u32_e32 v28, vcc, 1, v28
	v_addc_co_u32_e32 v29, vcc, 0, v29, vcc
	v_cmp_eq_u32_e32 vcc, 1, v28
	v_cndmask_b32_e32 v33, v2, v3, vcc
	v_cmp_lt_u32_e32 vcc, 18, v28
	v_cmp_eq_u32_e64 s[2:3], 2, v28
	v_cndmask_b32_e64 v33, v33, v4, s[2:3]
	s_or_b64 s[8:9], vcc, s[8:9]
	v_cmp_eq_u32_e32 vcc, 3, v28
	v_cndmask_b32_e32 v33, v33, v5, vcc
	v_cmp_eq_u32_e32 vcc, 4, v28
	v_cndmask_b32_e32 v33, v33, v6, vcc
	;; [unrolled: 2-line block ×18, first 2 shown]
	v_cmp_eq_u32_e32 vcc, 21, v28
	ds_read_b32 v32, v31
	v_cndmask_b32_e32 v33, v33, v23, vcc
	v_cmp_eq_u32_e32 vcc, 22, v28
	v_cndmask_b32_e32 v33, v33, v24, vcc
	v_cmp_eq_u32_e32 vcc, 23, v28
	;; [unrolled: 2-line block ×4, first 2 shown]
	v_cndmask_b32_e32 v33, v33, v27, vcc
	v_add_u32_e32 v31, 4, v31
	s_waitcnt lgkmcnt(0)
	v_fmac_f32_e32 v30, v33, v32
	s_andn2_b64 exec, exec, s[8:9]
	s_cbranch_execnz .LBB89_585
; %bb.586:
	s_or_b64 exec, exec, s[8:9]
.LBB89_587:
	s_or_b64 exec, exec, s[6:7]
	v_mov_b32_e32 v22, 0
	ds_read_b32 v22, v22 offset:80
	s_waitcnt lgkmcnt(0)
	v_mul_f32_e32 v22, v30, v22
.LBB89_588:
	s_or_b64 exec, exec, s[4:5]
	v_cmp_gt_u32_e32 vcc, 21, v0
	ds_write_b32 v118, v23
	s_waitcnt lgkmcnt(0)
	; wave barrier
	s_and_saveexec_b64 s[4:5], vcc
	s_cbranch_execz .LBB89_598
; %bb.589:
	s_and_b64 vcc, exec, s[0:1]
	s_cbranch_vccnz .LBB89_591
; %bb.590:
	v_cmp_eq_u32_e32 vcc, 1, v0
	v_cndmask_b32_e32 v28, v2, v3, vcc
	v_cmp_eq_u32_e32 vcc, 2, v0
	v_cndmask_b32_e32 v28, v28, v4, vcc
	v_cmp_eq_u32_e32 vcc, 3, v0
	v_cndmask_b32_e32 v28, v28, v5, vcc
	v_cmp_eq_u32_e32 vcc, 4, v0
	v_cndmask_b32_e32 v28, v28, v6, vcc
	v_cmp_eq_u32_e32 vcc, 5, v0
	v_cndmask_b32_e32 v28, v28, v7, vcc
	v_cmp_eq_u32_e32 vcc, 6, v0
	v_cndmask_b32_e32 v28, v28, v8, vcc
	v_cmp_eq_u32_e32 vcc, 7, v0
	v_cndmask_b32_e32 v28, v28, v9, vcc
	v_cmp_eq_u32_e32 vcc, 8, v0
	v_cndmask_b32_e32 v28, v28, v10, vcc
	v_cmp_eq_u32_e32 vcc, 9, v0
	v_cndmask_b32_e32 v28, v28, v11, vcc
	v_cmp_eq_u32_e32 vcc, 10, v0
	v_cndmask_b32_e32 v28, v28, v12, vcc
	v_cmp_eq_u32_e32 vcc, 11, v0
	v_cndmask_b32_e32 v28, v28, v13, vcc
	v_cmp_eq_u32_e32 vcc, 12, v0
	v_cndmask_b32_e32 v28, v28, v14, vcc
	v_cmp_eq_u32_e32 vcc, 13, v0
	v_cndmask_b32_e32 v28, v28, v15, vcc
	v_cmp_eq_u32_e32 vcc, 14, v0
	v_cndmask_b32_e32 v28, v28, v16, vcc
	v_cmp_eq_u32_e32 vcc, 15, v0
	v_cndmask_b32_e32 v28, v28, v17, vcc
	v_cmp_eq_u32_e32 vcc, 16, v0
	v_cndmask_b32_e32 v28, v28, v18, vcc
	v_cmp_eq_u32_e32 vcc, 17, v0
	v_cndmask_b32_e32 v28, v28, v19, vcc
	v_cmp_eq_u32_e32 vcc, 18, v0
	v_cndmask_b32_e32 v28, v28, v20, vcc
	v_cmp_eq_u32_e32 vcc, 19, v0
	v_cndmask_b32_e32 v28, v28, v21, vcc
	v_cmp_eq_u32_e32 vcc, 20, v0
	v_cndmask_b32_e32 v28, v28, v22, vcc
	v_cmp_eq_u32_e32 vcc, 21, v0
	v_cndmask_b32_e32 v28, v28, v23, vcc
	v_cmp_eq_u32_e32 vcc, 22, v0
	ds_read_b32 v29, v118
	v_cndmask_b32_e32 v28, v28, v24, vcc
	v_cmp_eq_u32_e32 vcc, 23, v0
	v_cndmask_b32_e32 v28, v28, v25, vcc
	v_cmp_eq_u32_e32 vcc, 24, v0
	;; [unrolled: 2-line block ×3, first 2 shown]
	v_cndmask_b32_e32 v28, v28, v27, vcc
	s_waitcnt lgkmcnt(0)
	v_mul_f32_e32 v30, v28, v29
	s_cbranch_execz .LBB89_592
	s_branch .LBB89_593
.LBB89_591:
                                        ; implicit-def: $vgpr30
.LBB89_592:
	ds_read_b32 v30, v118
.LBB89_593:
	v_cmp_ne_u32_e32 vcc, 20, v0
	s_and_saveexec_b64 s[6:7], vcc
	s_cbranch_execz .LBB89_597
; %bb.594:
	v_mov_b32_e32 v28, 0x74
	v_lshl_add_u32 v31, v0, 2, v28
	v_mov_b32_e32 v29, v1
	s_mov_b64 s[8:9], 0
	v_mov_b32_e32 v28, v0
.LBB89_595:                             ; =>This Inner Loop Header: Depth=1
	v_add_co_u32_e32 v28, vcc, 1, v28
	v_addc_co_u32_e32 v29, vcc, 0, v29, vcc
	v_cmp_eq_u32_e32 vcc, 1, v28
	v_cndmask_b32_e32 v33, v2, v3, vcc
	v_cmp_lt_u32_e32 vcc, 19, v28
	v_cmp_eq_u32_e64 s[2:3], 2, v28
	v_cndmask_b32_e64 v33, v33, v4, s[2:3]
	s_or_b64 s[8:9], vcc, s[8:9]
	v_cmp_eq_u32_e32 vcc, 3, v28
	v_cndmask_b32_e32 v33, v33, v5, vcc
	v_cmp_eq_u32_e32 vcc, 4, v28
	v_cndmask_b32_e32 v33, v33, v6, vcc
	;; [unrolled: 2-line block ×18, first 2 shown]
	v_cmp_eq_u32_e32 vcc, 21, v28
	ds_read_b32 v32, v31
	v_cndmask_b32_e32 v33, v33, v23, vcc
	v_cmp_eq_u32_e32 vcc, 22, v28
	v_cndmask_b32_e32 v33, v33, v24, vcc
	v_cmp_eq_u32_e32 vcc, 23, v28
	;; [unrolled: 2-line block ×4, first 2 shown]
	v_cndmask_b32_e32 v33, v33, v27, vcc
	v_add_u32_e32 v31, 4, v31
	s_waitcnt lgkmcnt(0)
	v_fmac_f32_e32 v30, v33, v32
	s_andn2_b64 exec, exec, s[8:9]
	s_cbranch_execnz .LBB89_595
; %bb.596:
	s_or_b64 exec, exec, s[8:9]
.LBB89_597:
	s_or_b64 exec, exec, s[6:7]
	v_mov_b32_e32 v23, 0
	ds_read_b32 v23, v23 offset:84
	s_waitcnt lgkmcnt(0)
	v_mul_f32_e32 v23, v30, v23
.LBB89_598:
	s_or_b64 exec, exec, s[4:5]
	v_cmp_gt_u32_e32 vcc, 22, v0
	ds_write_b32 v118, v24
	s_waitcnt lgkmcnt(0)
	; wave barrier
	s_and_saveexec_b64 s[4:5], vcc
	s_cbranch_execz .LBB89_608
; %bb.599:
	s_and_b64 vcc, exec, s[0:1]
	s_cbranch_vccnz .LBB89_601
; %bb.600:
	v_cmp_eq_u32_e32 vcc, 1, v0
	v_cndmask_b32_e32 v28, v2, v3, vcc
	v_cmp_eq_u32_e32 vcc, 2, v0
	v_cndmask_b32_e32 v28, v28, v4, vcc
	;; [unrolled: 2-line block ×21, first 2 shown]
	v_cmp_eq_u32_e32 vcc, 22, v0
	ds_read_b32 v29, v118
	v_cndmask_b32_e32 v28, v28, v24, vcc
	v_cmp_eq_u32_e32 vcc, 23, v0
	v_cndmask_b32_e32 v28, v28, v25, vcc
	v_cmp_eq_u32_e32 vcc, 24, v0
	;; [unrolled: 2-line block ×3, first 2 shown]
	v_cndmask_b32_e32 v28, v28, v27, vcc
	s_waitcnt lgkmcnt(0)
	v_mul_f32_e32 v30, v28, v29
	s_cbranch_execz .LBB89_602
	s_branch .LBB89_603
.LBB89_601:
                                        ; implicit-def: $vgpr30
.LBB89_602:
	ds_read_b32 v30, v118
.LBB89_603:
	v_cmp_ne_u32_e32 vcc, 21, v0
	s_and_saveexec_b64 s[6:7], vcc
	s_cbranch_execz .LBB89_607
; %bb.604:
	v_mov_b32_e32 v28, 0x74
	v_lshl_add_u32 v31, v0, 2, v28
	v_mov_b32_e32 v29, v1
	s_mov_b64 s[8:9], 0
	v_mov_b32_e32 v28, v0
.LBB89_605:                             ; =>This Inner Loop Header: Depth=1
	v_add_co_u32_e32 v28, vcc, 1, v28
	v_addc_co_u32_e32 v29, vcc, 0, v29, vcc
	v_cmp_eq_u32_e32 vcc, 1, v28
	v_cndmask_b32_e32 v33, v2, v3, vcc
	v_cmp_lt_u32_e32 vcc, 20, v28
	v_cmp_eq_u32_e64 s[2:3], 2, v28
	v_cndmask_b32_e64 v33, v33, v4, s[2:3]
	s_or_b64 s[8:9], vcc, s[8:9]
	v_cmp_eq_u32_e32 vcc, 3, v28
	v_cndmask_b32_e32 v33, v33, v5, vcc
	v_cmp_eq_u32_e32 vcc, 4, v28
	v_cndmask_b32_e32 v33, v33, v6, vcc
	;; [unrolled: 2-line block ×18, first 2 shown]
	v_cmp_eq_u32_e32 vcc, 21, v28
	ds_read_b32 v32, v31
	v_cndmask_b32_e32 v33, v33, v23, vcc
	v_cmp_eq_u32_e32 vcc, 22, v28
	v_cndmask_b32_e32 v33, v33, v24, vcc
	v_cmp_eq_u32_e32 vcc, 23, v28
	;; [unrolled: 2-line block ×4, first 2 shown]
	v_cndmask_b32_e32 v33, v33, v27, vcc
	v_add_u32_e32 v31, 4, v31
	s_waitcnt lgkmcnt(0)
	v_fmac_f32_e32 v30, v33, v32
	s_andn2_b64 exec, exec, s[8:9]
	s_cbranch_execnz .LBB89_605
; %bb.606:
	s_or_b64 exec, exec, s[8:9]
.LBB89_607:
	s_or_b64 exec, exec, s[6:7]
	v_mov_b32_e32 v24, 0
	ds_read_b32 v24, v24 offset:88
	s_waitcnt lgkmcnt(0)
	v_mul_f32_e32 v24, v30, v24
.LBB89_608:
	s_or_b64 exec, exec, s[4:5]
	v_cmp_gt_u32_e32 vcc, 23, v0
	ds_write_b32 v118, v25
	s_waitcnt lgkmcnt(0)
	; wave barrier
	s_and_saveexec_b64 s[4:5], vcc
	s_cbranch_execz .LBB89_618
; %bb.609:
	s_and_b64 vcc, exec, s[0:1]
	s_cbranch_vccnz .LBB89_611
; %bb.610:
	v_cmp_eq_u32_e32 vcc, 1, v0
	v_cndmask_b32_e32 v28, v2, v3, vcc
	v_cmp_eq_u32_e32 vcc, 2, v0
	v_cndmask_b32_e32 v28, v28, v4, vcc
	v_cmp_eq_u32_e32 vcc, 3, v0
	v_cndmask_b32_e32 v28, v28, v5, vcc
	v_cmp_eq_u32_e32 vcc, 4, v0
	v_cndmask_b32_e32 v28, v28, v6, vcc
	v_cmp_eq_u32_e32 vcc, 5, v0
	v_cndmask_b32_e32 v28, v28, v7, vcc
	v_cmp_eq_u32_e32 vcc, 6, v0
	v_cndmask_b32_e32 v28, v28, v8, vcc
	v_cmp_eq_u32_e32 vcc, 7, v0
	v_cndmask_b32_e32 v28, v28, v9, vcc
	v_cmp_eq_u32_e32 vcc, 8, v0
	v_cndmask_b32_e32 v28, v28, v10, vcc
	v_cmp_eq_u32_e32 vcc, 9, v0
	v_cndmask_b32_e32 v28, v28, v11, vcc
	v_cmp_eq_u32_e32 vcc, 10, v0
	v_cndmask_b32_e32 v28, v28, v12, vcc
	v_cmp_eq_u32_e32 vcc, 11, v0
	v_cndmask_b32_e32 v28, v28, v13, vcc
	v_cmp_eq_u32_e32 vcc, 12, v0
	v_cndmask_b32_e32 v28, v28, v14, vcc
	v_cmp_eq_u32_e32 vcc, 13, v0
	v_cndmask_b32_e32 v28, v28, v15, vcc
	v_cmp_eq_u32_e32 vcc, 14, v0
	v_cndmask_b32_e32 v28, v28, v16, vcc
	v_cmp_eq_u32_e32 vcc, 15, v0
	v_cndmask_b32_e32 v28, v28, v17, vcc
	v_cmp_eq_u32_e32 vcc, 16, v0
	v_cndmask_b32_e32 v28, v28, v18, vcc
	v_cmp_eq_u32_e32 vcc, 17, v0
	v_cndmask_b32_e32 v28, v28, v19, vcc
	v_cmp_eq_u32_e32 vcc, 18, v0
	v_cndmask_b32_e32 v28, v28, v20, vcc
	v_cmp_eq_u32_e32 vcc, 19, v0
	v_cndmask_b32_e32 v28, v28, v21, vcc
	v_cmp_eq_u32_e32 vcc, 20, v0
	v_cndmask_b32_e32 v28, v28, v22, vcc
	v_cmp_eq_u32_e32 vcc, 21, v0
	v_cndmask_b32_e32 v28, v28, v23, vcc
	v_cmp_eq_u32_e32 vcc, 22, v0
	ds_read_b32 v29, v118
	v_cndmask_b32_e32 v28, v28, v24, vcc
	v_cmp_eq_u32_e32 vcc, 23, v0
	v_cndmask_b32_e32 v28, v28, v25, vcc
	v_cmp_eq_u32_e32 vcc, 24, v0
	;; [unrolled: 2-line block ×3, first 2 shown]
	v_cndmask_b32_e32 v28, v28, v27, vcc
	s_waitcnt lgkmcnt(0)
	v_mul_f32_e32 v30, v28, v29
	s_cbranch_execz .LBB89_612
	s_branch .LBB89_613
.LBB89_611:
                                        ; implicit-def: $vgpr30
.LBB89_612:
	ds_read_b32 v30, v118
.LBB89_613:
	v_cmp_ne_u32_e32 vcc, 22, v0
	s_and_saveexec_b64 s[6:7], vcc
	s_cbranch_execz .LBB89_617
; %bb.614:
	v_mov_b32_e32 v28, 0x74
	v_lshl_add_u32 v31, v0, 2, v28
	v_mov_b32_e32 v29, v1
	s_mov_b64 s[8:9], 0
	v_mov_b32_e32 v28, v0
.LBB89_615:                             ; =>This Inner Loop Header: Depth=1
	v_add_co_u32_e32 v28, vcc, 1, v28
	v_addc_co_u32_e32 v29, vcc, 0, v29, vcc
	v_cmp_eq_u32_e32 vcc, 1, v28
	v_cndmask_b32_e32 v33, v2, v3, vcc
	v_cmp_lt_u32_e32 vcc, 21, v28
	v_cmp_eq_u32_e64 s[2:3], 2, v28
	v_cndmask_b32_e64 v33, v33, v4, s[2:3]
	s_or_b64 s[8:9], vcc, s[8:9]
	v_cmp_eq_u32_e32 vcc, 3, v28
	v_cndmask_b32_e32 v33, v33, v5, vcc
	v_cmp_eq_u32_e32 vcc, 4, v28
	v_cndmask_b32_e32 v33, v33, v6, vcc
	;; [unrolled: 2-line block ×18, first 2 shown]
	v_cmp_eq_u32_e32 vcc, 21, v28
	ds_read_b32 v32, v31
	v_cndmask_b32_e32 v33, v33, v23, vcc
	v_cmp_eq_u32_e32 vcc, 22, v28
	v_cndmask_b32_e32 v33, v33, v24, vcc
	v_cmp_eq_u32_e32 vcc, 23, v28
	;; [unrolled: 2-line block ×4, first 2 shown]
	v_cndmask_b32_e32 v33, v33, v27, vcc
	v_add_u32_e32 v31, 4, v31
	s_waitcnt lgkmcnt(0)
	v_fmac_f32_e32 v30, v33, v32
	s_andn2_b64 exec, exec, s[8:9]
	s_cbranch_execnz .LBB89_615
; %bb.616:
	s_or_b64 exec, exec, s[8:9]
.LBB89_617:
	s_or_b64 exec, exec, s[6:7]
	v_mov_b32_e32 v25, 0
	ds_read_b32 v25, v25 offset:92
	s_waitcnt lgkmcnt(0)
	v_mul_f32_e32 v25, v30, v25
.LBB89_618:
	s_or_b64 exec, exec, s[4:5]
	v_cmp_gt_u32_e64 s[2:3], 24, v0
	ds_write_b32 v118, v26
	s_waitcnt lgkmcnt(0)
	; wave barrier
	s_and_saveexec_b64 s[6:7], s[2:3]
	s_cbranch_execz .LBB89_628
; %bb.619:
	s_and_b64 vcc, exec, s[0:1]
	s_cbranch_vccnz .LBB89_621
; %bb.620:
	v_cmp_eq_u32_e32 vcc, 1, v0
	v_cndmask_b32_e32 v28, v2, v3, vcc
	v_cmp_eq_u32_e32 vcc, 2, v0
	v_cndmask_b32_e32 v28, v28, v4, vcc
	;; [unrolled: 2-line block ×21, first 2 shown]
	v_cmp_eq_u32_e32 vcc, 22, v0
	ds_read_b32 v29, v118
	v_cndmask_b32_e32 v28, v28, v24, vcc
	v_cmp_eq_u32_e32 vcc, 23, v0
	v_cndmask_b32_e32 v28, v28, v25, vcc
	v_cmp_eq_u32_e32 vcc, 24, v0
	v_cndmask_b32_e32 v28, v28, v26, vcc
	v_cmp_eq_u32_e32 vcc, 25, v0
	v_cndmask_b32_e32 v28, v28, v27, vcc
	s_waitcnt lgkmcnt(0)
	v_mul_f32_e32 v30, v28, v29
	s_cbranch_execz .LBB89_622
	s_branch .LBB89_623
.LBB89_621:
                                        ; implicit-def: $vgpr30
.LBB89_622:
	ds_read_b32 v30, v118
.LBB89_623:
	v_cmp_ne_u32_e32 vcc, 23, v0
	s_and_saveexec_b64 s[8:9], vcc
	s_cbranch_execz .LBB89_627
; %bb.624:
	v_mov_b32_e32 v28, 0x74
	v_lshl_add_u32 v31, v0, 2, v28
	v_mov_b32_e32 v29, v1
	s_mov_b64 s[10:11], 0
	v_mov_b32_e32 v28, v0
.LBB89_625:                             ; =>This Inner Loop Header: Depth=1
	v_add_co_u32_e32 v28, vcc, 1, v28
	v_addc_co_u32_e32 v29, vcc, 0, v29, vcc
	v_cmp_eq_u32_e32 vcc, 1, v28
	v_cndmask_b32_e32 v33, v2, v3, vcc
	v_cmp_lt_u32_e32 vcc, 22, v28
	v_cmp_eq_u32_e64 s[4:5], 2, v28
	v_cndmask_b32_e64 v33, v33, v4, s[4:5]
	s_or_b64 s[10:11], vcc, s[10:11]
	v_cmp_eq_u32_e32 vcc, 3, v28
	v_cndmask_b32_e32 v33, v33, v5, vcc
	v_cmp_eq_u32_e32 vcc, 4, v28
	v_cndmask_b32_e32 v33, v33, v6, vcc
	;; [unrolled: 2-line block ×18, first 2 shown]
	v_cmp_eq_u32_e32 vcc, 21, v28
	ds_read_b32 v32, v31
	v_cndmask_b32_e32 v33, v33, v23, vcc
	v_cmp_eq_u32_e32 vcc, 22, v28
	v_cndmask_b32_e32 v33, v33, v24, vcc
	v_cmp_eq_u32_e32 vcc, 23, v28
	;; [unrolled: 2-line block ×4, first 2 shown]
	v_cndmask_b32_e32 v33, v33, v27, vcc
	v_add_u32_e32 v31, 4, v31
	s_waitcnt lgkmcnt(0)
	v_fmac_f32_e32 v30, v33, v32
	s_andn2_b64 exec, exec, s[10:11]
	s_cbranch_execnz .LBB89_625
; %bb.626:
	s_or_b64 exec, exec, s[10:11]
.LBB89_627:
	s_or_b64 exec, exec, s[8:9]
	v_mov_b32_e32 v26, 0
	ds_read_b32 v26, v26 offset:96
	s_waitcnt lgkmcnt(0)
	v_mul_f32_e32 v26, v30, v26
.LBB89_628:
	s_or_b64 exec, exec, s[6:7]
	v_cmp_ne_u32_e32 vcc, 25, v0
	ds_write_b32 v118, v27
	s_waitcnt lgkmcnt(0)
	; wave barrier
	s_and_saveexec_b64 s[4:5], vcc
	s_cbranch_execz .LBB89_638
; %bb.629:
	s_and_b64 vcc, exec, s[0:1]
	s_cbranch_vccnz .LBB89_631
; %bb.630:
	v_cmp_eq_u32_e32 vcc, 1, v0
	v_cndmask_b32_e32 v28, v2, v3, vcc
	v_cmp_eq_u32_e32 vcc, 2, v0
	v_cndmask_b32_e32 v28, v28, v4, vcc
	;; [unrolled: 2-line block ×21, first 2 shown]
	v_cmp_eq_u32_e32 vcc, 22, v0
	ds_read_b32 v29, v118
	v_cndmask_b32_e32 v28, v28, v24, vcc
	v_cmp_eq_u32_e32 vcc, 23, v0
	v_cndmask_b32_e32 v28, v28, v25, vcc
	v_cmp_eq_u32_e32 vcc, 24, v0
	;; [unrolled: 2-line block ×3, first 2 shown]
	v_cndmask_b32_e32 v28, v28, v27, vcc
	s_waitcnt lgkmcnt(0)
	v_mul_f32_e32 v28, v28, v29
	s_cbranch_execz .LBB89_632
	s_branch .LBB89_633
.LBB89_631:
                                        ; implicit-def: $vgpr28
.LBB89_632:
	ds_read_b32 v28, v118
.LBB89_633:
	s_and_saveexec_b64 s[6:7], s[2:3]
	s_cbranch_execz .LBB89_637
; %bb.634:
	v_mov_b32_e32 v29, 0x74
	v_lshl_add_u32 v29, v0, 2, v29
	s_mov_b64 s[2:3], 0
.LBB89_635:                             ; =>This Inner Loop Header: Depth=1
	v_add_co_u32_e32 v0, vcc, 1, v0
	v_addc_co_u32_e32 v1, vcc, 0, v1, vcc
	v_cmp_eq_u32_e32 vcc, 1, v0
	v_cndmask_b32_e32 v31, v2, v3, vcc
	v_cmp_lt_u32_e32 vcc, 23, v0
	v_cmp_eq_u32_e64 s[0:1], 2, v0
	v_cndmask_b32_e64 v31, v31, v4, s[0:1]
	s_or_b64 s[2:3], vcc, s[2:3]
	v_cmp_eq_u32_e32 vcc, 3, v0
	v_cndmask_b32_e32 v31, v31, v5, vcc
	v_cmp_eq_u32_e32 vcc, 4, v0
	v_cndmask_b32_e32 v31, v31, v6, vcc
	;; [unrolled: 2-line block ×18, first 2 shown]
	v_cmp_eq_u32_e32 vcc, 21, v0
	ds_read_b32 v30, v29
	v_cndmask_b32_e32 v31, v31, v23, vcc
	v_cmp_eq_u32_e32 vcc, 22, v0
	v_cndmask_b32_e32 v31, v31, v24, vcc
	v_cmp_eq_u32_e32 vcc, 23, v0
	;; [unrolled: 2-line block ×4, first 2 shown]
	v_cndmask_b32_e32 v31, v31, v27, vcc
	v_add_u32_e32 v29, 4, v29
	s_waitcnt lgkmcnt(0)
	v_fmac_f32_e32 v28, v31, v30
	s_andn2_b64 exec, exec, s[2:3]
	s_cbranch_execnz .LBB89_635
; %bb.636:
	s_or_b64 exec, exec, s[2:3]
.LBB89_637:
	s_or_b64 exec, exec, s[6:7]
	v_mov_b32_e32 v0, 0
	ds_read_b32 v0, v0 offset:100
	s_waitcnt lgkmcnt(0)
	v_mul_f32_e32 v27, v28, v0
.LBB89_638:
	s_or_b64 exec, exec, s[4:5]
	v_mov_b32_e32 v65, v33
	v_mov_b32_e32 v64, v32
	;; [unrolled: 1-line block ×32, first 2 shown]
.LBB89_639:
	flat_store_dword v[114:115], v34
	flat_store_dword v[116:117], v35
	;; [unrolled: 1-line block ×26, first 2 shown]
.LBB89_640:
	s_endpgm
	.section	.rodata,"a",@progbits
	.p2align	6, 0x0
	.amdhsa_kernel _ZN9rocsolver6v33100L18trti2_kernel_smallILi26EfPKPfEEv13rocblas_fill_17rocblas_diagonal_T1_iil
		.amdhsa_group_segment_fixed_size 216
		.amdhsa_private_segment_fixed_size 0
		.amdhsa_kernarg_size 32
		.amdhsa_user_sgpr_count 6
		.amdhsa_user_sgpr_private_segment_buffer 1
		.amdhsa_user_sgpr_dispatch_ptr 0
		.amdhsa_user_sgpr_queue_ptr 0
		.amdhsa_user_sgpr_kernarg_segment_ptr 1
		.amdhsa_user_sgpr_dispatch_id 0
		.amdhsa_user_sgpr_flat_scratch_init 0
		.amdhsa_user_sgpr_private_segment_size 0
		.amdhsa_uses_dynamic_stack 0
		.amdhsa_system_sgpr_private_segment_wavefront_offset 0
		.amdhsa_system_sgpr_workgroup_id_x 1
		.amdhsa_system_sgpr_workgroup_id_y 0
		.amdhsa_system_sgpr_workgroup_id_z 0
		.amdhsa_system_sgpr_workgroup_info 0
		.amdhsa_system_vgpr_workitem_id 0
		.amdhsa_next_free_vgpr 136
		.amdhsa_next_free_sgpr 60
		.amdhsa_reserve_vcc 1
		.amdhsa_reserve_flat_scratch 0
		.amdhsa_float_round_mode_32 0
		.amdhsa_float_round_mode_16_64 0
		.amdhsa_float_denorm_mode_32 3
		.amdhsa_float_denorm_mode_16_64 3
		.amdhsa_dx10_clamp 1
		.amdhsa_ieee_mode 1
		.amdhsa_fp16_overflow 0
		.amdhsa_exception_fp_ieee_invalid_op 0
		.amdhsa_exception_fp_denorm_src 0
		.amdhsa_exception_fp_ieee_div_zero 0
		.amdhsa_exception_fp_ieee_overflow 0
		.amdhsa_exception_fp_ieee_underflow 0
		.amdhsa_exception_fp_ieee_inexact 0
		.amdhsa_exception_int_div_zero 0
	.end_amdhsa_kernel
	.section	.text._ZN9rocsolver6v33100L18trti2_kernel_smallILi26EfPKPfEEv13rocblas_fill_17rocblas_diagonal_T1_iil,"axG",@progbits,_ZN9rocsolver6v33100L18trti2_kernel_smallILi26EfPKPfEEv13rocblas_fill_17rocblas_diagonal_T1_iil,comdat
.Lfunc_end89:
	.size	_ZN9rocsolver6v33100L18trti2_kernel_smallILi26EfPKPfEEv13rocblas_fill_17rocblas_diagonal_T1_iil, .Lfunc_end89-_ZN9rocsolver6v33100L18trti2_kernel_smallILi26EfPKPfEEv13rocblas_fill_17rocblas_diagonal_T1_iil
                                        ; -- End function
	.set _ZN9rocsolver6v33100L18trti2_kernel_smallILi26EfPKPfEEv13rocblas_fill_17rocblas_diagonal_T1_iil.num_vgpr, 136
	.set _ZN9rocsolver6v33100L18trti2_kernel_smallILi26EfPKPfEEv13rocblas_fill_17rocblas_diagonal_T1_iil.num_agpr, 0
	.set _ZN9rocsolver6v33100L18trti2_kernel_smallILi26EfPKPfEEv13rocblas_fill_17rocblas_diagonal_T1_iil.numbered_sgpr, 60
	.set _ZN9rocsolver6v33100L18trti2_kernel_smallILi26EfPKPfEEv13rocblas_fill_17rocblas_diagonal_T1_iil.num_named_barrier, 0
	.set _ZN9rocsolver6v33100L18trti2_kernel_smallILi26EfPKPfEEv13rocblas_fill_17rocblas_diagonal_T1_iil.private_seg_size, 0
	.set _ZN9rocsolver6v33100L18trti2_kernel_smallILi26EfPKPfEEv13rocblas_fill_17rocblas_diagonal_T1_iil.uses_vcc, 1
	.set _ZN9rocsolver6v33100L18trti2_kernel_smallILi26EfPKPfEEv13rocblas_fill_17rocblas_diagonal_T1_iil.uses_flat_scratch, 0
	.set _ZN9rocsolver6v33100L18trti2_kernel_smallILi26EfPKPfEEv13rocblas_fill_17rocblas_diagonal_T1_iil.has_dyn_sized_stack, 0
	.set _ZN9rocsolver6v33100L18trti2_kernel_smallILi26EfPKPfEEv13rocblas_fill_17rocblas_diagonal_T1_iil.has_recursion, 0
	.set _ZN9rocsolver6v33100L18trti2_kernel_smallILi26EfPKPfEEv13rocblas_fill_17rocblas_diagonal_T1_iil.has_indirect_call, 0
	.section	.AMDGPU.csdata,"",@progbits
; Kernel info:
; codeLenInByte = 39116
; TotalNumSgprs: 64
; NumVgprs: 136
; ScratchSize: 0
; MemoryBound: 0
; FloatMode: 240
; IeeeMode: 1
; LDSByteSize: 216 bytes/workgroup (compile time only)
; SGPRBlocks: 7
; VGPRBlocks: 33
; NumSGPRsForWavesPerEU: 64
; NumVGPRsForWavesPerEU: 136
; Occupancy: 1
; WaveLimiterHint : 1
; COMPUTE_PGM_RSRC2:SCRATCH_EN: 0
; COMPUTE_PGM_RSRC2:USER_SGPR: 6
; COMPUTE_PGM_RSRC2:TRAP_HANDLER: 0
; COMPUTE_PGM_RSRC2:TGID_X_EN: 1
; COMPUTE_PGM_RSRC2:TGID_Y_EN: 0
; COMPUTE_PGM_RSRC2:TGID_Z_EN: 0
; COMPUTE_PGM_RSRC2:TIDIG_COMP_CNT: 0
	.section	.text._ZN9rocsolver6v33100L18trti2_kernel_smallILi27EfPKPfEEv13rocblas_fill_17rocblas_diagonal_T1_iil,"axG",@progbits,_ZN9rocsolver6v33100L18trti2_kernel_smallILi27EfPKPfEEv13rocblas_fill_17rocblas_diagonal_T1_iil,comdat
	.globl	_ZN9rocsolver6v33100L18trti2_kernel_smallILi27EfPKPfEEv13rocblas_fill_17rocblas_diagonal_T1_iil ; -- Begin function _ZN9rocsolver6v33100L18trti2_kernel_smallILi27EfPKPfEEv13rocblas_fill_17rocblas_diagonal_T1_iil
	.p2align	8
	.type	_ZN9rocsolver6v33100L18trti2_kernel_smallILi27EfPKPfEEv13rocblas_fill_17rocblas_diagonal_T1_iil,@function
_ZN9rocsolver6v33100L18trti2_kernel_smallILi27EfPKPfEEv13rocblas_fill_17rocblas_diagonal_T1_iil: ; @_ZN9rocsolver6v33100L18trti2_kernel_smallILi27EfPKPfEEv13rocblas_fill_17rocblas_diagonal_T1_iil
; %bb.0:
	v_cmp_gt_u32_e32 vcc, 27, v0
	s_and_saveexec_b64 s[0:1], vcc
	s_cbranch_execz .LBB90_666
; %bb.1:
	s_load_dwordx2 s[0:1], s[4:5], 0x10
	s_load_dwordx4 s[56:59], s[4:5], 0x0
	s_ashr_i32 s7, s6, 31
	s_lshl_b64 s[2:3], s[6:7], 3
	v_lshlrev_b32_e32 v34, 2, v0
	s_waitcnt lgkmcnt(0)
	s_ashr_i32 s5, s0, 31
	s_add_u32 s2, s58, s2
	s_addc_u32 s3, s59, s3
	s_load_dwordx2 s[2:3], s[2:3], 0x0
	s_mov_b32 s4, s0
	s_lshl_b64 s[4:5], s[4:5], 2
	v_mov_b32_e32 v35, -1.0
	s_waitcnt lgkmcnt(0)
	s_add_u32 s0, s2, s4
	s_addc_u32 s2, s3, s5
	s_add_i32 s3, s1, s1
	v_add_u32_e32 v1, s3, v0
	v_ashrrev_i32_e32 v2, 31, v1
	v_lshlrev_b64 v[2:3], 2, v[1:2]
	v_add_u32_e32 v1, s1, v1
	v_mov_b32_e32 v4, s2
	v_add_co_u32_e32 v66, vcc, s0, v2
	v_ashrrev_i32_e32 v2, 31, v1
	v_addc_co_u32_e32 v67, vcc, v4, v3, vcc
	v_lshlrev_b64 v[2:3], 2, v[1:2]
	v_add_u32_e32 v1, s1, v1
	v_add_co_u32_e32 v68, vcc, s0, v2
	v_ashrrev_i32_e32 v2, 31, v1
	v_addc_co_u32_e32 v69, vcc, v4, v3, vcc
	v_lshlrev_b64 v[2:3], 2, v[1:2]
	v_add_u32_e32 v1, s1, v1
	;; [unrolled: 5-line block ×23, first 2 shown]
	v_add_co_u32_e32 v112, vcc, s0, v2
	v_ashrrev_i32_e32 v2, 31, v1
	v_lshlrev_b64 v[1:2], 2, v[1:2]
	v_addc_co_u32_e32 v113, vcc, v4, v3, vcc
	v_mov_b32_e32 v3, s2
	v_add_co_u32_e32 v114, vcc, s0, v1
	v_addc_co_u32_e32 v115, vcc, v3, v2, vcc
	v_mov_b32_e32 v1, s2
	v_add_co_u32_e32 v116, vcc, s0, v34
	s_ashr_i32 s3, s1, 31
	s_mov_b32 s2, s1
	v_addc_co_u32_e32 v117, vcc, 0, v1, vcc
	s_lshl_b64 s[0:1], s[2:3], 2
	v_mov_b32_e32 v1, s1
	v_add_co_u32_e32 v118, vcc, s0, v116
	v_addc_co_u32_e32 v119, vcc, v117, v1, vcc
	flat_load_dword v2, v[116:117]
	flat_load_dword v3, v[118:119]
	;; [unrolled: 1-line block ×27, first 2 shown]
	s_cmpk_lg_i32 s57, 0x84
	v_mov_b32_e32 v1, 0
	s_cselect_b64 s[58:59], -1, 0
	s_cmpk_eq_i32 s57, 0x84
	v_cmp_eq_u32_e64 s[0:1], 0, v0
	s_cbranch_scc1 .LBB90_3
; %bb.2:
	v_cmp_eq_u32_e64 s[2:3], 1, v0
	s_waitcnt vmcnt(0) lgkmcnt(0)
	v_cndmask_b32_e64 v29, v2, v3, s[2:3]
	v_cmp_eq_u32_e64 s[4:5], 2, v0
	v_cndmask_b32_e64 v29, v29, v4, s[4:5]
	v_cmp_eq_u32_e64 s[6:7], 3, v0
	;; [unrolled: 2-line block ×25, first 2 shown]
	v_cndmask_b32_e64 v29, v29, v28, s[54:55]
	v_div_scale_f32 v30, s[60:61], v29, v29, 1.0
	v_div_scale_f32 v31, vcc, 1.0, v29, 1.0
	v_rcp_f32_e32 v32, v30
	v_fma_f32 v33, -v30, v32, 1.0
	v_fmac_f32_e32 v32, v33, v32
	v_mul_f32_e32 v33, v31, v32
	v_fma_f32 v35, -v30, v33, v31
	v_fmac_f32_e32 v33, v35, v32
	v_fma_f32 v30, -v30, v33, v31
	v_div_fmas_f32 v30, v30, v32, v33
	v_div_fixup_f32 v29, v30, v29, 1.0
	v_cndmask_b32_e64 v28, v28, v29, s[54:55]
	v_cndmask_b32_e64 v27, v27, v29, s[52:53]
	;; [unrolled: 1-line block ×27, first 2 shown]
	v_xor_b32_e32 v35, 0x80000000, v29
.LBB90_3:
	s_cmpk_eq_i32 s56, 0x79
	v_add_u32_e32 v120, 0x70, v34
	ds_write_b32 v34, v35
	s_cbranch_scc1 .LBB90_7
; %bb.4:
	s_waitcnt vmcnt(0) lgkmcnt(0)
	v_mov_b32_e32 v65, v33
	v_mov_b32_e32 v64, v32
	;; [unrolled: 1-line block ×32, first 2 shown]
	v_cmp_eq_u32_e64 s[2:3], 26, v0
	ds_write_b32 v120, v27
	s_waitcnt lgkmcnt(0)
	; wave barrier
	s_and_saveexec_b64 s[0:1], s[2:3]
	s_cbranch_execz .LBB90_11
; %bb.5:
	s_and_b64 vcc, exec, s[58:59]
	s_cbranch_vccz .LBB90_8
; %bb.6:
	v_cmp_eq_u32_e32 vcc, 1, v0
	v_cndmask_b32_e32 v34, v2, v3, vcc
	v_cmp_eq_u32_e32 vcc, 2, v0
	v_cndmask_b32_e32 v34, v34, v4, vcc
	;; [unrolled: 2-line block ×22, first 2 shown]
	v_cmp_eq_u32_e32 vcc, 23, v0
	ds_read_b32 v35, v120
	v_cndmask_b32_e32 v34, v34, v25, vcc
	v_cmp_eq_u32_e32 vcc, 24, v0
	v_cndmask_b32_e32 v34, v34, v26, vcc
	v_cmp_eq_u32_e32 vcc, 25, v0
	;; [unrolled: 2-line block ×3, first 2 shown]
	v_cndmask_b32_e32 v34, v34, v28, vcc
	s_waitcnt lgkmcnt(0)
	v_mul_f32_e32 v38, v34, v35
	s_cbranch_execz .LBB90_9
	s_branch .LBB90_10
.LBB90_7:
                                        ; implicit-def: $vgpr34_vgpr35_vgpr36_vgpr37_vgpr38_vgpr39_vgpr40_vgpr41_vgpr42_vgpr43_vgpr44_vgpr45_vgpr46_vgpr47_vgpr48_vgpr49_vgpr50_vgpr51_vgpr52_vgpr53_vgpr54_vgpr55_vgpr56_vgpr57_vgpr58_vgpr59_vgpr60_vgpr61_vgpr62_vgpr63_vgpr64_vgpr65
	s_cbranch_execnz .LBB90_402
	s_branch .LBB90_665
.LBB90_8:
                                        ; implicit-def: $vgpr38
.LBB90_9:
	ds_read_b32 v38, v120
.LBB90_10:
	v_mov_b32_e32 v34, 0
	ds_read_b32 v39, v34 offset:100
	v_mov_b32_e32 v34, v2
	v_mov_b32_e32 v35, v3
	v_mov_b32_e32 v36, v4
	v_mov_b32_e32 v37, v5
	s_waitcnt lgkmcnt(0)
	v_mul_f32_e32 v59, v38, v39
	v_mov_b32_e32 v38, v6
	v_mov_b32_e32 v39, v7
	v_mov_b32_e32 v40, v8
	v_mov_b32_e32 v41, v9
	v_mov_b32_e32 v42, v10
	v_mov_b32_e32 v43, v11
	v_mov_b32_e32 v44, v12
	v_mov_b32_e32 v45, v13
	v_mov_b32_e32 v46, v14
	v_mov_b32_e32 v47, v15
	v_mov_b32_e32 v48, v16
	v_mov_b32_e32 v49, v17
	v_mov_b32_e32 v50, v18
	v_mov_b32_e32 v51, v19
	v_mov_b32_e32 v52, v20
	v_mov_b32_e32 v53, v21
	v_mov_b32_e32 v54, v22
	v_mov_b32_e32 v55, v23
	v_mov_b32_e32 v56, v24
	v_mov_b32_e32 v57, v25
	v_mov_b32_e32 v58, v26
	v_mov_b32_e32 v60, v28
.LBB90_11:
	s_or_b64 exec, exec, s[0:1]
	v_cmp_lt_u32_e64 s[0:1], 24, v0
	ds_write_b32 v120, v58
	s_waitcnt lgkmcnt(0)
	; wave barrier
	s_and_saveexec_b64 s[4:5], s[0:1]
	s_cbranch_execz .LBB90_17
; %bb.12:
	s_andn2_b64 vcc, exec, s[58:59]
	s_cbranch_vccnz .LBB90_14
; %bb.13:
	v_cmp_eq_u32_e32 vcc, 1, v0
	v_cndmask_b32_e32 v61, v34, v35, vcc
	v_cmp_eq_u32_e32 vcc, 2, v0
	v_cndmask_b32_e32 v61, v61, v36, vcc
	;; [unrolled: 2-line block ×24, first 2 shown]
	ds_read_b32 v61, v120
	v_cmp_eq_u32_e32 vcc, 25, v0
	v_cndmask_b32_e32 v58, v58, v59, vcc
	v_cmp_eq_u32_e32 vcc, 26, v0
	v_cndmask_b32_e32 v58, v58, v60, vcc
	s_waitcnt lgkmcnt(0)
	v_mul_f32_e32 v58, v58, v61
	s_cbranch_execz .LBB90_15
	s_branch .LBB90_16
.LBB90_14:
                                        ; implicit-def: $vgpr58
.LBB90_15:
	ds_read_b32 v58, v120
.LBB90_16:
	v_mov_b32_e32 v61, 0
	ds_read2_b32 v[61:62], v61 offset0:24 offset1:53
	s_waitcnt lgkmcnt(0)
	v_fma_f32 v62, v59, v62, v58
	v_cndmask_b32_e64 v58, v58, v62, s[2:3]
	v_mul_f32_e32 v58, v58, v61
.LBB90_17:
	s_or_b64 exec, exec, s[4:5]
	v_cmp_lt_u32_e64 s[2:3], 23, v0
	ds_write_b32 v120, v57
	s_waitcnt lgkmcnt(0)
	; wave barrier
	s_and_saveexec_b64 s[4:5], s[2:3]
	s_cbranch_execz .LBB90_33
; %bb.18:
	s_andn2_b64 vcc, exec, s[58:59]
	s_cbranch_vccnz .LBB90_20
; %bb.19:
	v_cmp_eq_u32_e32 vcc, 1, v0
	v_cndmask_b32_e32 v121, v34, v35, vcc
	v_cmp_eq_u32_e32 vcc, 2, v0
	v_cndmask_b32_e32 v121, v121, v36, vcc
	;; [unrolled: 2-line block ×22, first 2 shown]
	v_cmp_eq_u32_e32 vcc, 23, v0
	ds_read_b32 v122, v120
	v_cndmask_b32_e32 v121, v121, v57, vcc
	v_cmp_eq_u32_e32 vcc, 24, v0
	v_cndmask_b32_e32 v121, v121, v58, vcc
	v_cmp_eq_u32_e32 vcc, 25, v0
	;; [unrolled: 2-line block ×3, first 2 shown]
	v_cndmask_b32_e32 v121, v121, v60, vcc
	s_waitcnt lgkmcnt(0)
	v_mul_f32_e32 v121, v121, v122
	s_cbranch_execz .LBB90_21
	s_branch .LBB90_22
.LBB90_20:
                                        ; implicit-def: $vgpr121
.LBB90_21:
	ds_read_b32 v121, v120
.LBB90_22:
	s_and_saveexec_b64 s[6:7], s[0:1]
	s_cbranch_execz .LBB90_32
; %bb.23:
	v_subrev_u32_e32 v122, 25, v0
	v_cmp_lt_u32_e32 vcc, 6, v122
	v_mov_b32_e32 v122, 24
	s_and_saveexec_b64 s[0:1], vcc
	s_cbranch_execz .LBB90_27
; %bb.24:
	v_and_b32_e32 v122, 24, v0
	v_sub_u32_e32 v123, 0, v122
	s_mov_b64 s[8:9], 31
	s_movk_i32 s12, 0xd0
	s_mov_b64 s[10:11], 0
.LBB90_25:                              ; =>This Inner Loop Header: Depth=1
	s_add_i32 s13, s8, -7
	v_mov_b32_e32 v122, s12
	s_add_i32 s14, s8, -6
	s_set_gpr_idx_on s13, gpr_idx(SRC0)
	v_mov_b32_e32 v132, v34
	s_set_gpr_idx_off
	s_add_i32 s15, s8, -5
	ds_read_b128 v[124:127], v122
	ds_read_b128 v[128:131], v122 offset:16
	s_set_gpr_idx_on s14, gpr_idx(SRC0)
	v_mov_b32_e32 v122, v34
	s_set_gpr_idx_off
	s_add_i32 s16, s8, -4
	s_set_gpr_idx_on s15, gpr_idx(SRC0)
	v_mov_b32_e32 v133, v34
	s_set_gpr_idx_off
	s_add_i32 s17, s8, -3
	;; [unrolled: 4-line block ×4, first 2 shown]
	s_waitcnt lgkmcnt(1)
	v_fmac_f32_e32 v121, v132, v124
	s_set_gpr_idx_on s18, gpr_idx(SRC0)
	v_mov_b32_e32 v124, v34
	s_set_gpr_idx_off
	v_fmac_f32_e32 v121, v122, v125
	s_set_gpr_idx_on s19, gpr_idx(SRC0)
	v_mov_b32_e32 v125, v34
	s_set_gpr_idx_off
	;; [unrolled: 4-line block ×3, first 2 shown]
	v_fmac_f32_e32 v121, v134, v127
	s_add_u32 s8, s8, 8
	s_waitcnt lgkmcnt(0)
	v_fmac_f32_e32 v121, v135, v128
	v_add_u32_e32 v122, s8, v123
	v_fmac_f32_e32 v121, v124, v129
	s_addc_u32 s9, s9, 0
	s_add_i32 s12, s12, 32
	s_add_i32 s13, s8, -7
	v_cmp_eq_u32_e32 vcc, 7, v122
	v_fmac_f32_e32 v121, v125, v130
	v_mov_b32_e32 v122, s13
	s_or_b64 s[10:11], vcc, s[10:11]
	v_fmac_f32_e32 v121, v126, v131
	s_andn2_b64 exec, exec, s[10:11]
	s_cbranch_execnz .LBB90_25
; %bb.26:
	s_or_b64 exec, exec, s[10:11]
.LBB90_27:
	s_or_b64 exec, exec, s[0:1]
	v_and_b32_e32 v61, 7, v0
	v_cmp_ne_u32_e32 vcc, 0, v61
	s_and_saveexec_b64 s[8:9], vcc
	s_cbranch_execz .LBB90_31
; %bb.28:
	v_mov_b32_e32 v62, 0x70
	v_lshl_add_u32 v62, v122, 2, v62
	v_mov_b32_e32 v63, 0
	s_mov_b64 s[10:11], 0
.LBB90_29:                              ; =>This Inner Loop Header: Depth=1
	v_cmp_eq_u32_e32 vcc, 1, v122
	v_cndmask_b32_e32 v64, v34, v35, vcc
	v_add_u32_e32 v61, -1, v61
	v_cmp_eq_u32_e32 vcc, 2, v122
	v_cndmask_b32_e32 v64, v64, v36, vcc
	v_cmp_eq_u32_e32 vcc, 0, v61
	v_cmp_eq_u32_e64 s[0:1], 3, v122
	v_cndmask_b32_e64 v64, v64, v37, s[0:1]
	s_or_b64 s[10:11], vcc, s[10:11]
	v_cmp_eq_u32_e32 vcc, 4, v122
	v_cndmask_b32_e32 v64, v64, v38, vcc
	v_cmp_eq_u32_e32 vcc, 5, v122
	v_cndmask_b32_e32 v64, v64, v39, vcc
	;; [unrolled: 2-line block ×18, first 2 shown]
	v_cmp_eq_u32_e32 vcc, 22, v122
	ds_read_b32 v65, v62
	v_cndmask_b32_e32 v64, v64, v56, vcc
	v_cmp_eq_u32_e32 vcc, 23, v122
	v_cndmask_b32_e32 v64, v64, v57, vcc
	v_cmp_eq_u32_e32 vcc, 24, v122
	;; [unrolled: 2-line block ×4, first 2 shown]
	v_add_co_u32_e64 v122, s[0:1], 1, v122
	v_cndmask_b32_e32 v64, v64, v60, vcc
	v_add_u32_e32 v62, 4, v62
	v_addc_co_u32_e64 v63, s[0:1], 0, v63, s[0:1]
	s_waitcnt lgkmcnt(0)
	v_fmac_f32_e32 v121, v64, v65
	s_andn2_b64 exec, exec, s[10:11]
	s_cbranch_execnz .LBB90_29
; %bb.30:
	s_or_b64 exec, exec, s[10:11]
.LBB90_31:
	s_or_b64 exec, exec, s[8:9]
.LBB90_32:
	s_or_b64 exec, exec, s[6:7]
	v_mov_b32_e32 v57, 0
	ds_read_b32 v57, v57 offset:92
	s_waitcnt lgkmcnt(0)
	v_mul_f32_e32 v57, v121, v57
.LBB90_33:
	s_or_b64 exec, exec, s[4:5]
	v_cmp_lt_u32_e64 s[0:1], 22, v0
	ds_write_b32 v120, v56
	s_waitcnt lgkmcnt(0)
	; wave barrier
	s_and_saveexec_b64 s[4:5], s[0:1]
	s_cbranch_execz .LBB90_49
; %bb.34:
	s_andn2_b64 vcc, exec, s[58:59]
	s_cbranch_vccnz .LBB90_36
; %bb.35:
	v_cmp_eq_u32_e32 vcc, 1, v0
	v_cndmask_b32_e32 v121, v34, v35, vcc
	v_cmp_eq_u32_e32 vcc, 2, v0
	v_cndmask_b32_e32 v121, v121, v36, vcc
	v_cmp_eq_u32_e32 vcc, 3, v0
	v_cndmask_b32_e32 v121, v121, v37, vcc
	v_cmp_eq_u32_e32 vcc, 4, v0
	v_cndmask_b32_e32 v121, v121, v38, vcc
	v_cmp_eq_u32_e32 vcc, 5, v0
	v_cndmask_b32_e32 v121, v121, v39, vcc
	v_cmp_eq_u32_e32 vcc, 6, v0
	v_cndmask_b32_e32 v121, v121, v40, vcc
	v_cmp_eq_u32_e32 vcc, 7, v0
	v_cndmask_b32_e32 v121, v121, v41, vcc
	v_cmp_eq_u32_e32 vcc, 8, v0
	v_cndmask_b32_e32 v121, v121, v42, vcc
	v_cmp_eq_u32_e32 vcc, 9, v0
	v_cndmask_b32_e32 v121, v121, v43, vcc
	v_cmp_eq_u32_e32 vcc, 10, v0
	v_cndmask_b32_e32 v121, v121, v44, vcc
	v_cmp_eq_u32_e32 vcc, 11, v0
	v_cndmask_b32_e32 v121, v121, v45, vcc
	v_cmp_eq_u32_e32 vcc, 12, v0
	v_cndmask_b32_e32 v121, v121, v46, vcc
	v_cmp_eq_u32_e32 vcc, 13, v0
	v_cndmask_b32_e32 v121, v121, v47, vcc
	v_cmp_eq_u32_e32 vcc, 14, v0
	v_cndmask_b32_e32 v121, v121, v48, vcc
	v_cmp_eq_u32_e32 vcc, 15, v0
	v_cndmask_b32_e32 v121, v121, v49, vcc
	v_cmp_eq_u32_e32 vcc, 16, v0
	v_cndmask_b32_e32 v121, v121, v50, vcc
	v_cmp_eq_u32_e32 vcc, 17, v0
	v_cndmask_b32_e32 v121, v121, v51, vcc
	v_cmp_eq_u32_e32 vcc, 18, v0
	v_cndmask_b32_e32 v121, v121, v52, vcc
	v_cmp_eq_u32_e32 vcc, 19, v0
	v_cndmask_b32_e32 v121, v121, v53, vcc
	v_cmp_eq_u32_e32 vcc, 20, v0
	v_cndmask_b32_e32 v121, v121, v54, vcc
	v_cmp_eq_u32_e32 vcc, 21, v0
	v_cndmask_b32_e32 v121, v121, v55, vcc
	v_cmp_eq_u32_e32 vcc, 22, v0
	v_cndmask_b32_e32 v121, v121, v56, vcc
	v_cmp_eq_u32_e32 vcc, 23, v0
	ds_read_b32 v122, v120
	v_cndmask_b32_e32 v121, v121, v57, vcc
	v_cmp_eq_u32_e32 vcc, 24, v0
	v_cndmask_b32_e32 v121, v121, v58, vcc
	v_cmp_eq_u32_e32 vcc, 25, v0
	;; [unrolled: 2-line block ×3, first 2 shown]
	v_cndmask_b32_e32 v121, v121, v60, vcc
	s_waitcnt lgkmcnt(0)
	v_mul_f32_e32 v121, v121, v122
	s_cbranch_execz .LBB90_37
	s_branch .LBB90_38
.LBB90_36:
                                        ; implicit-def: $vgpr121
.LBB90_37:
	ds_read_b32 v121, v120
.LBB90_38:
	s_and_saveexec_b64 s[6:7], s[2:3]
	s_cbranch_execz .LBB90_48
; %bb.39:
	v_subrev_u32_e32 v124, 24, v0
	v_mov_b32_e32 v122, 23
	v_subrev_u32_e32 v123, 23, v0
	v_cmp_lt_u32_e32 vcc, 6, v124
	s_and_saveexec_b64 s[2:3], vcc
	s_cbranch_execz .LBB90_43
; %bb.40:
	v_and_b32_e32 v122, -8, v123
	v_sub_u32_e32 v124, 0, v122
	s_mov_b64 s[8:9], 30
	s_movk_i32 s12, 0xcc
	s_mov_b64 s[10:11], 0
.LBB90_41:                              ; =>This Inner Loop Header: Depth=1
	s_add_i32 s13, s8, -7
	v_mov_b32_e32 v122, s12
	s_add_i32 s14, s8, -6
	s_set_gpr_idx_on s13, gpr_idx(SRC0)
	v_mov_b32_e32 v131, v34
	s_set_gpr_idx_off
	ds_read2_b32 v[125:126], v122 offset1:1
	s_add_i32 s15, s8, -5
	s_set_gpr_idx_on s14, gpr_idx(SRC0)
	v_mov_b32_e32 v132, v34
	s_set_gpr_idx_off
	s_add_i32 s16, s8, -4
	s_set_gpr_idx_on s15, gpr_idx(SRC0)
	v_mov_b32_e32 v133, v34
	s_set_gpr_idx_off
	ds_read2_b32 v[127:128], v122 offset0:2 offset1:3
	s_add_i32 s17, s8, -3
	s_set_gpr_idx_on s16, gpr_idx(SRC0)
	v_mov_b32_e32 v134, v34
	s_set_gpr_idx_off
	s_add_i32 s18, s8, -2
	s_set_gpr_idx_on s17, gpr_idx(SRC0)
	v_mov_b32_e32 v135, v34
	s_set_gpr_idx_off
	ds_read2_b32 v[129:130], v122 offset0:4 offset1:5
	s_add_i32 s19, s8, -1
	s_waitcnt lgkmcnt(2)
	v_fmac_f32_e32 v121, v131, v125
	s_set_gpr_idx_on s18, gpr_idx(SRC0)
	v_mov_b32_e32 v131, v34
	s_set_gpr_idx_off
	v_fmac_f32_e32 v121, v132, v126
	s_set_gpr_idx_on s19, gpr_idx(SRC0)
	v_mov_b32_e32 v132, v34
	s_set_gpr_idx_off
	ds_read2_b32 v[125:126], v122 offset0:6 offset1:7
	s_waitcnt lgkmcnt(2)
	v_fmac_f32_e32 v121, v133, v127
	s_set_gpr_idx_on s8, gpr_idx(SRC0)
	v_mov_b32_e32 v127, v34
	s_set_gpr_idx_off
	v_fmac_f32_e32 v121, v134, v128
	s_add_u32 s8, s8, 8
	s_waitcnt lgkmcnt(1)
	v_fmac_f32_e32 v121, v135, v129
	v_add_u32_e32 v122, s8, v124
	v_fmac_f32_e32 v121, v131, v130
	s_addc_u32 s9, s9, 0
	s_add_i32 s12, s12, 32
	s_add_i32 s13, s8, -7
	v_cmp_eq_u32_e32 vcc, 30, v122
	s_waitcnt lgkmcnt(0)
	v_fmac_f32_e32 v121, v132, v125
	v_mov_b32_e32 v122, s13
	s_or_b64 s[10:11], vcc, s[10:11]
	v_fmac_f32_e32 v121, v127, v126
	s_andn2_b64 exec, exec, s[10:11]
	s_cbranch_execnz .LBB90_41
; %bb.42:
	s_or_b64 exec, exec, s[10:11]
.LBB90_43:
	s_or_b64 exec, exec, s[2:3]
	v_and_b32_e32 v61, 7, v123
	v_cmp_ne_u32_e32 vcc, 0, v61
	s_and_saveexec_b64 s[8:9], vcc
	s_cbranch_execz .LBB90_47
; %bb.44:
	v_mov_b32_e32 v62, 0x70
	v_lshl_add_u32 v62, v122, 2, v62
	v_mov_b32_e32 v63, 0
	s_mov_b64 s[10:11], 0
.LBB90_45:                              ; =>This Inner Loop Header: Depth=1
	v_cmp_eq_u32_e32 vcc, 1, v122
	v_cndmask_b32_e32 v64, v34, v35, vcc
	v_add_u32_e32 v61, -1, v61
	v_cmp_eq_u32_e32 vcc, 2, v122
	v_cndmask_b32_e32 v64, v64, v36, vcc
	v_cmp_eq_u32_e32 vcc, 0, v61
	v_cmp_eq_u32_e64 s[2:3], 3, v122
	v_cndmask_b32_e64 v64, v64, v37, s[2:3]
	s_or_b64 s[10:11], vcc, s[10:11]
	v_cmp_eq_u32_e32 vcc, 4, v122
	v_cndmask_b32_e32 v64, v64, v38, vcc
	v_cmp_eq_u32_e32 vcc, 5, v122
	v_cndmask_b32_e32 v64, v64, v39, vcc
	;; [unrolled: 2-line block ×18, first 2 shown]
	v_cmp_eq_u32_e32 vcc, 22, v122
	ds_read_b32 v65, v62
	v_cndmask_b32_e32 v64, v64, v56, vcc
	v_cmp_eq_u32_e32 vcc, 23, v122
	v_cndmask_b32_e32 v64, v64, v57, vcc
	v_cmp_eq_u32_e32 vcc, 24, v122
	;; [unrolled: 2-line block ×4, first 2 shown]
	v_add_co_u32_e64 v122, s[2:3], 1, v122
	v_cndmask_b32_e32 v64, v64, v60, vcc
	v_add_u32_e32 v62, 4, v62
	v_addc_co_u32_e64 v63, s[2:3], 0, v63, s[2:3]
	s_waitcnt lgkmcnt(0)
	v_fmac_f32_e32 v121, v64, v65
	s_andn2_b64 exec, exec, s[10:11]
	s_cbranch_execnz .LBB90_45
; %bb.46:
	s_or_b64 exec, exec, s[10:11]
.LBB90_47:
	s_or_b64 exec, exec, s[8:9]
.LBB90_48:
	s_or_b64 exec, exec, s[6:7]
	v_mov_b32_e32 v56, 0
	ds_read_b32 v56, v56 offset:88
	s_waitcnt lgkmcnt(0)
	v_mul_f32_e32 v56, v121, v56
.LBB90_49:
	s_or_b64 exec, exec, s[4:5]
	v_cmp_lt_u32_e64 s[2:3], 21, v0
	ds_write_b32 v120, v55
	s_waitcnt lgkmcnt(0)
	; wave barrier
	s_and_saveexec_b64 s[4:5], s[2:3]
	s_cbranch_execz .LBB90_65
; %bb.50:
	s_andn2_b64 vcc, exec, s[58:59]
	s_cbranch_vccnz .LBB90_52
; %bb.51:
	v_cmp_eq_u32_e32 vcc, 1, v0
	v_cndmask_b32_e32 v121, v34, v35, vcc
	v_cmp_eq_u32_e32 vcc, 2, v0
	v_cndmask_b32_e32 v121, v121, v36, vcc
	;; [unrolled: 2-line block ×22, first 2 shown]
	v_cmp_eq_u32_e32 vcc, 23, v0
	ds_read_b32 v122, v120
	v_cndmask_b32_e32 v121, v121, v57, vcc
	v_cmp_eq_u32_e32 vcc, 24, v0
	v_cndmask_b32_e32 v121, v121, v58, vcc
	v_cmp_eq_u32_e32 vcc, 25, v0
	;; [unrolled: 2-line block ×3, first 2 shown]
	v_cndmask_b32_e32 v121, v121, v60, vcc
	s_waitcnt lgkmcnt(0)
	v_mul_f32_e32 v121, v121, v122
	s_cbranch_execz .LBB90_53
	s_branch .LBB90_54
.LBB90_52:
                                        ; implicit-def: $vgpr121
.LBB90_53:
	ds_read_b32 v121, v120
.LBB90_54:
	s_and_saveexec_b64 s[6:7], s[0:1]
	s_cbranch_execz .LBB90_64
; %bb.55:
	v_subrev_u32_e32 v124, 23, v0
	v_mov_b32_e32 v122, 22
	v_subrev_u32_e32 v123, 22, v0
	v_cmp_lt_u32_e32 vcc, 6, v124
	s_and_saveexec_b64 s[0:1], vcc
	s_cbranch_execz .LBB90_59
; %bb.56:
	v_and_b32_e32 v122, -8, v123
	v_sub_u32_e32 v124, 0, v122
	s_mov_b64 s[8:9], 29
	s_movk_i32 s12, 0xc8
	s_mov_b64 s[10:11], 0
.LBB90_57:                              ; =>This Inner Loop Header: Depth=1
	s_add_i32 s13, s8, -7
	v_mov_b32_e32 v122, s12
	s_add_i32 s14, s8, -6
	s_set_gpr_idx_on s13, gpr_idx(SRC0)
	v_mov_b32_e32 v133, v34
	s_set_gpr_idx_off
	ds_read2_b64 v[125:128], v122 offset1:1
	s_add_i32 s15, s8, -5
	s_set_gpr_idx_on s14, gpr_idx(SRC0)
	v_mov_b32_e32 v134, v34
	s_set_gpr_idx_off
	s_add_i32 s16, s8, -4
	s_set_gpr_idx_on s15, gpr_idx(SRC0)
	v_mov_b32_e32 v135, v34
	s_set_gpr_idx_off
	;; [unrolled: 4-line block ×4, first 2 shown]
	ds_read2_b64 v[129:132], v122 offset0:2 offset1:3
	s_add_i32 s19, s8, -1
	s_waitcnt lgkmcnt(1)
	v_fmac_f32_e32 v121, v133, v125
	s_set_gpr_idx_on s18, gpr_idx(SRC0)
	v_mov_b32_e32 v125, v34
	s_set_gpr_idx_off
	v_fmac_f32_e32 v121, v134, v126
	s_set_gpr_idx_on s19, gpr_idx(SRC0)
	v_mov_b32_e32 v126, v34
	s_set_gpr_idx_off
	;; [unrolled: 4-line block ×3, first 2 shown]
	v_fmac_f32_e32 v121, v136, v128
	s_add_u32 s8, s8, 8
	s_waitcnt lgkmcnt(0)
	v_fmac_f32_e32 v121, v137, v129
	v_add_u32_e32 v122, s8, v124
	v_fmac_f32_e32 v121, v125, v130
	s_addc_u32 s9, s9, 0
	s_add_i32 s12, s12, 32
	s_add_i32 s13, s8, -7
	v_cmp_eq_u32_e32 vcc, 29, v122
	v_fmac_f32_e32 v121, v126, v131
	v_mov_b32_e32 v122, s13
	s_or_b64 s[10:11], vcc, s[10:11]
	v_fmac_f32_e32 v121, v127, v132
	s_andn2_b64 exec, exec, s[10:11]
	s_cbranch_execnz .LBB90_57
; %bb.58:
	s_or_b64 exec, exec, s[10:11]
.LBB90_59:
	s_or_b64 exec, exec, s[0:1]
	v_and_b32_e32 v61, 7, v123
	v_cmp_ne_u32_e32 vcc, 0, v61
	s_and_saveexec_b64 s[8:9], vcc
	s_cbranch_execz .LBB90_63
; %bb.60:
	v_mov_b32_e32 v62, 0x70
	v_lshl_add_u32 v62, v122, 2, v62
	v_mov_b32_e32 v63, 0
	s_mov_b64 s[10:11], 0
.LBB90_61:                              ; =>This Inner Loop Header: Depth=1
	v_cmp_eq_u32_e32 vcc, 1, v122
	v_cndmask_b32_e32 v64, v34, v35, vcc
	v_add_u32_e32 v61, -1, v61
	v_cmp_eq_u32_e32 vcc, 2, v122
	v_cndmask_b32_e32 v64, v64, v36, vcc
	v_cmp_eq_u32_e32 vcc, 0, v61
	v_cmp_eq_u32_e64 s[0:1], 3, v122
	v_cndmask_b32_e64 v64, v64, v37, s[0:1]
	s_or_b64 s[10:11], vcc, s[10:11]
	v_cmp_eq_u32_e32 vcc, 4, v122
	v_cndmask_b32_e32 v64, v64, v38, vcc
	v_cmp_eq_u32_e32 vcc, 5, v122
	v_cndmask_b32_e32 v64, v64, v39, vcc
	v_cmp_eq_u32_e32 vcc, 6, v122
	v_cndmask_b32_e32 v64, v64, v40, vcc
	v_cmp_eq_u32_e32 vcc, 7, v122
	v_cndmask_b32_e32 v64, v64, v41, vcc
	v_cmp_eq_u32_e32 vcc, 8, v122
	v_cndmask_b32_e32 v64, v64, v42, vcc
	v_cmp_eq_u32_e32 vcc, 9, v122
	v_cndmask_b32_e32 v64, v64, v43, vcc
	v_cmp_eq_u32_e32 vcc, 10, v122
	v_cndmask_b32_e32 v64, v64, v44, vcc
	v_cmp_eq_u32_e32 vcc, 11, v122
	v_cndmask_b32_e32 v64, v64, v45, vcc
	v_cmp_eq_u32_e32 vcc, 12, v122
	v_cndmask_b32_e32 v64, v64, v46, vcc
	v_cmp_eq_u32_e32 vcc, 13, v122
	v_cndmask_b32_e32 v64, v64, v47, vcc
	v_cmp_eq_u32_e32 vcc, 14, v122
	v_cndmask_b32_e32 v64, v64, v48, vcc
	v_cmp_eq_u32_e32 vcc, 15, v122
	v_cndmask_b32_e32 v64, v64, v49, vcc
	v_cmp_eq_u32_e32 vcc, 16, v122
	v_cndmask_b32_e32 v64, v64, v50, vcc
	v_cmp_eq_u32_e32 vcc, 17, v122
	v_cndmask_b32_e32 v64, v64, v51, vcc
	v_cmp_eq_u32_e32 vcc, 18, v122
	v_cndmask_b32_e32 v64, v64, v52, vcc
	v_cmp_eq_u32_e32 vcc, 19, v122
	v_cndmask_b32_e32 v64, v64, v53, vcc
	v_cmp_eq_u32_e32 vcc, 20, v122
	v_cndmask_b32_e32 v64, v64, v54, vcc
	v_cmp_eq_u32_e32 vcc, 21, v122
	v_cndmask_b32_e32 v64, v64, v55, vcc
	v_cmp_eq_u32_e32 vcc, 22, v122
	ds_read_b32 v65, v62
	v_cndmask_b32_e32 v64, v64, v56, vcc
	v_cmp_eq_u32_e32 vcc, 23, v122
	v_cndmask_b32_e32 v64, v64, v57, vcc
	v_cmp_eq_u32_e32 vcc, 24, v122
	;; [unrolled: 2-line block ×4, first 2 shown]
	v_add_co_u32_e64 v122, s[0:1], 1, v122
	v_cndmask_b32_e32 v64, v64, v60, vcc
	v_add_u32_e32 v62, 4, v62
	v_addc_co_u32_e64 v63, s[0:1], 0, v63, s[0:1]
	s_waitcnt lgkmcnt(0)
	v_fmac_f32_e32 v121, v64, v65
	s_andn2_b64 exec, exec, s[10:11]
	s_cbranch_execnz .LBB90_61
; %bb.62:
	s_or_b64 exec, exec, s[10:11]
.LBB90_63:
	s_or_b64 exec, exec, s[8:9]
.LBB90_64:
	s_or_b64 exec, exec, s[6:7]
	v_mov_b32_e32 v55, 0
	ds_read_b32 v55, v55 offset:84
	s_waitcnt lgkmcnt(0)
	v_mul_f32_e32 v55, v121, v55
.LBB90_65:
	s_or_b64 exec, exec, s[4:5]
	v_cmp_lt_u32_e64 s[0:1], 20, v0
	ds_write_b32 v120, v54
	s_waitcnt lgkmcnt(0)
	; wave barrier
	s_and_saveexec_b64 s[4:5], s[0:1]
	s_cbranch_execz .LBB90_81
; %bb.66:
	s_andn2_b64 vcc, exec, s[58:59]
	s_cbranch_vccnz .LBB90_68
; %bb.67:
	v_cmp_eq_u32_e32 vcc, 1, v0
	v_cndmask_b32_e32 v121, v34, v35, vcc
	v_cmp_eq_u32_e32 vcc, 2, v0
	v_cndmask_b32_e32 v121, v121, v36, vcc
	;; [unrolled: 2-line block ×22, first 2 shown]
	v_cmp_eq_u32_e32 vcc, 23, v0
	ds_read_b32 v122, v120
	v_cndmask_b32_e32 v121, v121, v57, vcc
	v_cmp_eq_u32_e32 vcc, 24, v0
	v_cndmask_b32_e32 v121, v121, v58, vcc
	v_cmp_eq_u32_e32 vcc, 25, v0
	;; [unrolled: 2-line block ×3, first 2 shown]
	v_cndmask_b32_e32 v121, v121, v60, vcc
	s_waitcnt lgkmcnt(0)
	v_mul_f32_e32 v121, v121, v122
	s_cbranch_execz .LBB90_69
	s_branch .LBB90_70
.LBB90_68:
                                        ; implicit-def: $vgpr121
.LBB90_69:
	ds_read_b32 v121, v120
.LBB90_70:
	s_and_saveexec_b64 s[6:7], s[2:3]
	s_cbranch_execz .LBB90_80
; %bb.71:
	v_subrev_u32_e32 v124, 22, v0
	v_mov_b32_e32 v122, 21
	v_subrev_u32_e32 v123, 21, v0
	v_cmp_lt_u32_e32 vcc, 6, v124
	s_and_saveexec_b64 s[2:3], vcc
	s_cbranch_execz .LBB90_75
; %bb.72:
	v_and_b32_e32 v122, -8, v123
	v_sub_u32_e32 v124, 0, v122
	s_mov_b64 s[8:9], 28
	s_movk_i32 s12, 0xc4
	s_mov_b64 s[10:11], 0
.LBB90_73:                              ; =>This Inner Loop Header: Depth=1
	s_add_i32 s13, s8, -7
	v_mov_b32_e32 v122, s12
	s_add_i32 s14, s8, -6
	s_set_gpr_idx_on s13, gpr_idx(SRC0)
	v_mov_b32_e32 v131, v34
	s_set_gpr_idx_off
	ds_read2_b32 v[125:126], v122 offset1:1
	s_add_i32 s15, s8, -5
	s_set_gpr_idx_on s14, gpr_idx(SRC0)
	v_mov_b32_e32 v132, v34
	s_set_gpr_idx_off
	s_add_i32 s16, s8, -4
	s_set_gpr_idx_on s15, gpr_idx(SRC0)
	v_mov_b32_e32 v133, v34
	s_set_gpr_idx_off
	ds_read2_b32 v[127:128], v122 offset0:2 offset1:3
	s_add_i32 s17, s8, -3
	s_set_gpr_idx_on s16, gpr_idx(SRC0)
	v_mov_b32_e32 v134, v34
	s_set_gpr_idx_off
	s_add_i32 s18, s8, -2
	s_set_gpr_idx_on s17, gpr_idx(SRC0)
	v_mov_b32_e32 v135, v34
	s_set_gpr_idx_off
	ds_read2_b32 v[129:130], v122 offset0:4 offset1:5
	s_add_i32 s19, s8, -1
	s_waitcnt lgkmcnt(2)
	v_fmac_f32_e32 v121, v131, v125
	s_set_gpr_idx_on s18, gpr_idx(SRC0)
	v_mov_b32_e32 v131, v34
	s_set_gpr_idx_off
	v_fmac_f32_e32 v121, v132, v126
	s_set_gpr_idx_on s19, gpr_idx(SRC0)
	v_mov_b32_e32 v132, v34
	s_set_gpr_idx_off
	ds_read2_b32 v[125:126], v122 offset0:6 offset1:7
	s_waitcnt lgkmcnt(2)
	v_fmac_f32_e32 v121, v133, v127
	s_set_gpr_idx_on s8, gpr_idx(SRC0)
	v_mov_b32_e32 v127, v34
	s_set_gpr_idx_off
	v_fmac_f32_e32 v121, v134, v128
	s_add_u32 s8, s8, 8
	s_waitcnt lgkmcnt(1)
	v_fmac_f32_e32 v121, v135, v129
	v_add_u32_e32 v122, s8, v124
	v_fmac_f32_e32 v121, v131, v130
	s_addc_u32 s9, s9, 0
	s_add_i32 s12, s12, 32
	s_add_i32 s13, s8, -7
	v_cmp_eq_u32_e32 vcc, 28, v122
	s_waitcnt lgkmcnt(0)
	v_fmac_f32_e32 v121, v132, v125
	v_mov_b32_e32 v122, s13
	s_or_b64 s[10:11], vcc, s[10:11]
	v_fmac_f32_e32 v121, v127, v126
	s_andn2_b64 exec, exec, s[10:11]
	s_cbranch_execnz .LBB90_73
; %bb.74:
	s_or_b64 exec, exec, s[10:11]
.LBB90_75:
	s_or_b64 exec, exec, s[2:3]
	v_and_b32_e32 v61, 7, v123
	v_cmp_ne_u32_e32 vcc, 0, v61
	s_and_saveexec_b64 s[8:9], vcc
	s_cbranch_execz .LBB90_79
; %bb.76:
	v_mov_b32_e32 v62, 0x70
	v_lshl_add_u32 v62, v122, 2, v62
	v_mov_b32_e32 v63, 0
	s_mov_b64 s[10:11], 0
.LBB90_77:                              ; =>This Inner Loop Header: Depth=1
	v_cmp_eq_u32_e32 vcc, 1, v122
	v_cndmask_b32_e32 v64, v34, v35, vcc
	v_add_u32_e32 v61, -1, v61
	v_cmp_eq_u32_e32 vcc, 2, v122
	v_cndmask_b32_e32 v64, v64, v36, vcc
	v_cmp_eq_u32_e32 vcc, 0, v61
	v_cmp_eq_u32_e64 s[2:3], 3, v122
	v_cndmask_b32_e64 v64, v64, v37, s[2:3]
	s_or_b64 s[10:11], vcc, s[10:11]
	v_cmp_eq_u32_e32 vcc, 4, v122
	v_cndmask_b32_e32 v64, v64, v38, vcc
	v_cmp_eq_u32_e32 vcc, 5, v122
	v_cndmask_b32_e32 v64, v64, v39, vcc
	;; [unrolled: 2-line block ×18, first 2 shown]
	v_cmp_eq_u32_e32 vcc, 22, v122
	ds_read_b32 v65, v62
	v_cndmask_b32_e32 v64, v64, v56, vcc
	v_cmp_eq_u32_e32 vcc, 23, v122
	v_cndmask_b32_e32 v64, v64, v57, vcc
	v_cmp_eq_u32_e32 vcc, 24, v122
	;; [unrolled: 2-line block ×4, first 2 shown]
	v_add_co_u32_e64 v122, s[2:3], 1, v122
	v_cndmask_b32_e32 v64, v64, v60, vcc
	v_add_u32_e32 v62, 4, v62
	v_addc_co_u32_e64 v63, s[2:3], 0, v63, s[2:3]
	s_waitcnt lgkmcnt(0)
	v_fmac_f32_e32 v121, v64, v65
	s_andn2_b64 exec, exec, s[10:11]
	s_cbranch_execnz .LBB90_77
; %bb.78:
	s_or_b64 exec, exec, s[10:11]
.LBB90_79:
	s_or_b64 exec, exec, s[8:9]
.LBB90_80:
	s_or_b64 exec, exec, s[6:7]
	v_mov_b32_e32 v54, 0
	ds_read_b32 v54, v54 offset:80
	s_waitcnt lgkmcnt(0)
	v_mul_f32_e32 v54, v121, v54
.LBB90_81:
	s_or_b64 exec, exec, s[4:5]
	v_cmp_lt_u32_e64 s[2:3], 19, v0
	ds_write_b32 v120, v53
	s_waitcnt lgkmcnt(0)
	; wave barrier
	s_and_saveexec_b64 s[4:5], s[2:3]
	s_cbranch_execz .LBB90_97
; %bb.82:
	s_andn2_b64 vcc, exec, s[58:59]
	s_cbranch_vccnz .LBB90_84
; %bb.83:
	v_cmp_eq_u32_e32 vcc, 1, v0
	v_cndmask_b32_e32 v121, v34, v35, vcc
	v_cmp_eq_u32_e32 vcc, 2, v0
	v_cndmask_b32_e32 v121, v121, v36, vcc
	;; [unrolled: 2-line block ×22, first 2 shown]
	v_cmp_eq_u32_e32 vcc, 23, v0
	ds_read_b32 v122, v120
	v_cndmask_b32_e32 v121, v121, v57, vcc
	v_cmp_eq_u32_e32 vcc, 24, v0
	v_cndmask_b32_e32 v121, v121, v58, vcc
	v_cmp_eq_u32_e32 vcc, 25, v0
	v_cndmask_b32_e32 v121, v121, v59, vcc
	v_cmp_eq_u32_e32 vcc, 26, v0
	v_cndmask_b32_e32 v121, v121, v60, vcc
	s_waitcnt lgkmcnt(0)
	v_mul_f32_e32 v121, v121, v122
	s_cbranch_execz .LBB90_85
	s_branch .LBB90_86
.LBB90_84:
                                        ; implicit-def: $vgpr121
.LBB90_85:
	ds_read_b32 v121, v120
.LBB90_86:
	s_and_saveexec_b64 s[6:7], s[0:1]
	s_cbranch_execz .LBB90_96
; %bb.87:
	v_subrev_u32_e32 v124, 21, v0
	v_mov_b32_e32 v122, 20
	v_subrev_u32_e32 v123, 20, v0
	v_cmp_lt_u32_e32 vcc, 6, v124
	s_and_saveexec_b64 s[0:1], vcc
	s_cbranch_execz .LBB90_91
; %bb.88:
	v_and_b32_e32 v122, -8, v123
	v_sub_u32_e32 v124, 0, v122
	s_mov_b64 s[8:9], 27
	s_movk_i32 s12, 0xc0
	s_mov_b64 s[10:11], 0
.LBB90_89:                              ; =>This Inner Loop Header: Depth=1
	s_add_i32 s13, s8, -7
	v_mov_b32_e32 v122, s12
	s_add_i32 s14, s8, -6
	s_set_gpr_idx_on s13, gpr_idx(SRC0)
	v_mov_b32_e32 v133, v34
	s_set_gpr_idx_off
	s_add_i32 s15, s8, -5
	ds_read_b128 v[125:128], v122
	ds_read_b128 v[129:132], v122 offset:16
	s_set_gpr_idx_on s14, gpr_idx(SRC0)
	v_mov_b32_e32 v122, v34
	s_set_gpr_idx_off
	s_add_i32 s16, s8, -4
	s_set_gpr_idx_on s15, gpr_idx(SRC0)
	v_mov_b32_e32 v134, v34
	s_set_gpr_idx_off
	s_add_i32 s17, s8, -3
	;; [unrolled: 4-line block ×4, first 2 shown]
	s_waitcnt lgkmcnt(1)
	v_fmac_f32_e32 v121, v133, v125
	s_set_gpr_idx_on s18, gpr_idx(SRC0)
	v_mov_b32_e32 v125, v34
	s_set_gpr_idx_off
	v_fmac_f32_e32 v121, v122, v126
	s_set_gpr_idx_on s19, gpr_idx(SRC0)
	v_mov_b32_e32 v126, v34
	s_set_gpr_idx_off
	;; [unrolled: 4-line block ×3, first 2 shown]
	v_fmac_f32_e32 v121, v135, v128
	s_add_u32 s8, s8, 8
	s_waitcnt lgkmcnt(0)
	v_fmac_f32_e32 v121, v136, v129
	v_add_u32_e32 v122, s8, v124
	v_fmac_f32_e32 v121, v125, v130
	s_addc_u32 s9, s9, 0
	s_add_i32 s12, s12, 32
	s_add_i32 s13, s8, -7
	v_cmp_eq_u32_e32 vcc, 27, v122
	v_fmac_f32_e32 v121, v126, v131
	v_mov_b32_e32 v122, s13
	s_or_b64 s[10:11], vcc, s[10:11]
	v_fmac_f32_e32 v121, v127, v132
	s_andn2_b64 exec, exec, s[10:11]
	s_cbranch_execnz .LBB90_89
; %bb.90:
	s_or_b64 exec, exec, s[10:11]
.LBB90_91:
	s_or_b64 exec, exec, s[0:1]
	v_and_b32_e32 v61, 7, v123
	v_cmp_ne_u32_e32 vcc, 0, v61
	s_and_saveexec_b64 s[8:9], vcc
	s_cbranch_execz .LBB90_95
; %bb.92:
	v_mov_b32_e32 v62, 0x70
	v_lshl_add_u32 v62, v122, 2, v62
	v_mov_b32_e32 v63, 0
	s_mov_b64 s[10:11], 0
.LBB90_93:                              ; =>This Inner Loop Header: Depth=1
	v_cmp_eq_u32_e32 vcc, 1, v122
	v_cndmask_b32_e32 v64, v34, v35, vcc
	v_add_u32_e32 v61, -1, v61
	v_cmp_eq_u32_e32 vcc, 2, v122
	v_cndmask_b32_e32 v64, v64, v36, vcc
	v_cmp_eq_u32_e32 vcc, 0, v61
	v_cmp_eq_u32_e64 s[0:1], 3, v122
	v_cndmask_b32_e64 v64, v64, v37, s[0:1]
	s_or_b64 s[10:11], vcc, s[10:11]
	v_cmp_eq_u32_e32 vcc, 4, v122
	v_cndmask_b32_e32 v64, v64, v38, vcc
	v_cmp_eq_u32_e32 vcc, 5, v122
	v_cndmask_b32_e32 v64, v64, v39, vcc
	;; [unrolled: 2-line block ×18, first 2 shown]
	v_cmp_eq_u32_e32 vcc, 22, v122
	ds_read_b32 v65, v62
	v_cndmask_b32_e32 v64, v64, v56, vcc
	v_cmp_eq_u32_e32 vcc, 23, v122
	v_cndmask_b32_e32 v64, v64, v57, vcc
	v_cmp_eq_u32_e32 vcc, 24, v122
	;; [unrolled: 2-line block ×4, first 2 shown]
	v_add_co_u32_e64 v122, s[0:1], 1, v122
	v_cndmask_b32_e32 v64, v64, v60, vcc
	v_add_u32_e32 v62, 4, v62
	v_addc_co_u32_e64 v63, s[0:1], 0, v63, s[0:1]
	s_waitcnt lgkmcnt(0)
	v_fmac_f32_e32 v121, v64, v65
	s_andn2_b64 exec, exec, s[10:11]
	s_cbranch_execnz .LBB90_93
; %bb.94:
	s_or_b64 exec, exec, s[10:11]
.LBB90_95:
	s_or_b64 exec, exec, s[8:9]
.LBB90_96:
	s_or_b64 exec, exec, s[6:7]
	v_mov_b32_e32 v53, 0
	ds_read_b32 v53, v53 offset:76
	s_waitcnt lgkmcnt(0)
	v_mul_f32_e32 v53, v121, v53
.LBB90_97:
	s_or_b64 exec, exec, s[4:5]
	v_cmp_lt_u32_e64 s[0:1], 18, v0
	ds_write_b32 v120, v52
	s_waitcnt lgkmcnt(0)
	; wave barrier
	s_and_saveexec_b64 s[4:5], s[0:1]
	s_cbranch_execz .LBB90_113
; %bb.98:
	s_andn2_b64 vcc, exec, s[58:59]
	s_cbranch_vccnz .LBB90_100
; %bb.99:
	v_cmp_eq_u32_e32 vcc, 1, v0
	v_cndmask_b32_e32 v121, v34, v35, vcc
	v_cmp_eq_u32_e32 vcc, 2, v0
	v_cndmask_b32_e32 v121, v121, v36, vcc
	;; [unrolled: 2-line block ×22, first 2 shown]
	v_cmp_eq_u32_e32 vcc, 23, v0
	ds_read_b32 v122, v120
	v_cndmask_b32_e32 v121, v121, v57, vcc
	v_cmp_eq_u32_e32 vcc, 24, v0
	v_cndmask_b32_e32 v121, v121, v58, vcc
	v_cmp_eq_u32_e32 vcc, 25, v0
	v_cndmask_b32_e32 v121, v121, v59, vcc
	v_cmp_eq_u32_e32 vcc, 26, v0
	v_cndmask_b32_e32 v121, v121, v60, vcc
	s_waitcnt lgkmcnt(0)
	v_mul_f32_e32 v121, v121, v122
	s_cbranch_execz .LBB90_101
	s_branch .LBB90_102
.LBB90_100:
                                        ; implicit-def: $vgpr121
.LBB90_101:
	ds_read_b32 v121, v120
.LBB90_102:
	s_and_saveexec_b64 s[6:7], s[2:3]
	s_cbranch_execz .LBB90_112
; %bb.103:
	v_subrev_u32_e32 v124, 20, v0
	v_mov_b32_e32 v122, 19
	v_subrev_u32_e32 v123, 19, v0
	v_cmp_lt_u32_e32 vcc, 6, v124
	s_and_saveexec_b64 s[2:3], vcc
	s_cbranch_execz .LBB90_107
; %bb.104:
	v_and_b32_e32 v122, -8, v123
	v_sub_u32_e32 v124, 0, v122
	s_mov_b64 s[8:9], 26
	s_movk_i32 s12, 0xbc
	s_mov_b64 s[10:11], 0
.LBB90_105:                             ; =>This Inner Loop Header: Depth=1
	s_add_i32 s13, s8, -7
	v_mov_b32_e32 v122, s12
	s_add_i32 s14, s8, -6
	s_set_gpr_idx_on s13, gpr_idx(SRC0)
	v_mov_b32_e32 v131, v34
	s_set_gpr_idx_off
	ds_read2_b32 v[125:126], v122 offset1:1
	s_add_i32 s15, s8, -5
	s_set_gpr_idx_on s14, gpr_idx(SRC0)
	v_mov_b32_e32 v132, v34
	s_set_gpr_idx_off
	s_add_i32 s16, s8, -4
	s_set_gpr_idx_on s15, gpr_idx(SRC0)
	v_mov_b32_e32 v133, v34
	s_set_gpr_idx_off
	ds_read2_b32 v[127:128], v122 offset0:2 offset1:3
	s_add_i32 s17, s8, -3
	s_set_gpr_idx_on s16, gpr_idx(SRC0)
	v_mov_b32_e32 v134, v34
	s_set_gpr_idx_off
	s_add_i32 s18, s8, -2
	s_set_gpr_idx_on s17, gpr_idx(SRC0)
	v_mov_b32_e32 v135, v34
	s_set_gpr_idx_off
	ds_read2_b32 v[129:130], v122 offset0:4 offset1:5
	s_add_i32 s19, s8, -1
	s_waitcnt lgkmcnt(2)
	v_fmac_f32_e32 v121, v131, v125
	s_set_gpr_idx_on s18, gpr_idx(SRC0)
	v_mov_b32_e32 v131, v34
	s_set_gpr_idx_off
	v_fmac_f32_e32 v121, v132, v126
	s_set_gpr_idx_on s19, gpr_idx(SRC0)
	v_mov_b32_e32 v132, v34
	s_set_gpr_idx_off
	ds_read2_b32 v[125:126], v122 offset0:6 offset1:7
	s_waitcnt lgkmcnt(2)
	v_fmac_f32_e32 v121, v133, v127
	s_set_gpr_idx_on s8, gpr_idx(SRC0)
	v_mov_b32_e32 v127, v34
	s_set_gpr_idx_off
	v_fmac_f32_e32 v121, v134, v128
	s_add_u32 s8, s8, 8
	s_waitcnt lgkmcnt(1)
	v_fmac_f32_e32 v121, v135, v129
	v_add_u32_e32 v122, s8, v124
	v_fmac_f32_e32 v121, v131, v130
	s_addc_u32 s9, s9, 0
	s_add_i32 s12, s12, 32
	s_add_i32 s13, s8, -7
	v_cmp_eq_u32_e32 vcc, 26, v122
	s_waitcnt lgkmcnt(0)
	v_fmac_f32_e32 v121, v132, v125
	v_mov_b32_e32 v122, s13
	s_or_b64 s[10:11], vcc, s[10:11]
	v_fmac_f32_e32 v121, v127, v126
	s_andn2_b64 exec, exec, s[10:11]
	s_cbranch_execnz .LBB90_105
; %bb.106:
	s_or_b64 exec, exec, s[10:11]
.LBB90_107:
	s_or_b64 exec, exec, s[2:3]
	v_and_b32_e32 v61, 7, v123
	v_cmp_ne_u32_e32 vcc, 0, v61
	s_and_saveexec_b64 s[8:9], vcc
	s_cbranch_execz .LBB90_111
; %bb.108:
	v_mov_b32_e32 v62, 0x70
	v_lshl_add_u32 v62, v122, 2, v62
	v_mov_b32_e32 v63, 0
	s_mov_b64 s[10:11], 0
.LBB90_109:                             ; =>This Inner Loop Header: Depth=1
	v_cmp_eq_u32_e32 vcc, 1, v122
	v_cndmask_b32_e32 v64, v34, v35, vcc
	v_add_u32_e32 v61, -1, v61
	v_cmp_eq_u32_e32 vcc, 2, v122
	v_cndmask_b32_e32 v64, v64, v36, vcc
	v_cmp_eq_u32_e32 vcc, 0, v61
	v_cmp_eq_u32_e64 s[2:3], 3, v122
	v_cndmask_b32_e64 v64, v64, v37, s[2:3]
	s_or_b64 s[10:11], vcc, s[10:11]
	v_cmp_eq_u32_e32 vcc, 4, v122
	v_cndmask_b32_e32 v64, v64, v38, vcc
	v_cmp_eq_u32_e32 vcc, 5, v122
	v_cndmask_b32_e32 v64, v64, v39, vcc
	;; [unrolled: 2-line block ×18, first 2 shown]
	v_cmp_eq_u32_e32 vcc, 22, v122
	ds_read_b32 v65, v62
	v_cndmask_b32_e32 v64, v64, v56, vcc
	v_cmp_eq_u32_e32 vcc, 23, v122
	v_cndmask_b32_e32 v64, v64, v57, vcc
	v_cmp_eq_u32_e32 vcc, 24, v122
	;; [unrolled: 2-line block ×4, first 2 shown]
	v_add_co_u32_e64 v122, s[2:3], 1, v122
	v_cndmask_b32_e32 v64, v64, v60, vcc
	v_add_u32_e32 v62, 4, v62
	v_addc_co_u32_e64 v63, s[2:3], 0, v63, s[2:3]
	s_waitcnt lgkmcnt(0)
	v_fmac_f32_e32 v121, v64, v65
	s_andn2_b64 exec, exec, s[10:11]
	s_cbranch_execnz .LBB90_109
; %bb.110:
	s_or_b64 exec, exec, s[10:11]
.LBB90_111:
	s_or_b64 exec, exec, s[8:9]
.LBB90_112:
	s_or_b64 exec, exec, s[6:7]
	v_mov_b32_e32 v52, 0
	ds_read_b32 v52, v52 offset:72
	s_waitcnt lgkmcnt(0)
	v_mul_f32_e32 v52, v121, v52
.LBB90_113:
	s_or_b64 exec, exec, s[4:5]
	v_cmp_lt_u32_e64 s[2:3], 17, v0
	ds_write_b32 v120, v51
	s_waitcnt lgkmcnt(0)
	; wave barrier
	s_and_saveexec_b64 s[4:5], s[2:3]
	s_cbranch_execz .LBB90_129
; %bb.114:
	s_andn2_b64 vcc, exec, s[58:59]
	s_cbranch_vccnz .LBB90_116
; %bb.115:
	v_cmp_eq_u32_e32 vcc, 1, v0
	v_cndmask_b32_e32 v121, v34, v35, vcc
	v_cmp_eq_u32_e32 vcc, 2, v0
	v_cndmask_b32_e32 v121, v121, v36, vcc
	;; [unrolled: 2-line block ×22, first 2 shown]
	v_cmp_eq_u32_e32 vcc, 23, v0
	ds_read_b32 v122, v120
	v_cndmask_b32_e32 v121, v121, v57, vcc
	v_cmp_eq_u32_e32 vcc, 24, v0
	v_cndmask_b32_e32 v121, v121, v58, vcc
	v_cmp_eq_u32_e32 vcc, 25, v0
	;; [unrolled: 2-line block ×3, first 2 shown]
	v_cndmask_b32_e32 v121, v121, v60, vcc
	s_waitcnt lgkmcnt(0)
	v_mul_f32_e32 v121, v121, v122
	s_cbranch_execz .LBB90_117
	s_branch .LBB90_118
.LBB90_116:
                                        ; implicit-def: $vgpr121
.LBB90_117:
	ds_read_b32 v121, v120
.LBB90_118:
	s_and_saveexec_b64 s[6:7], s[0:1]
	s_cbranch_execz .LBB90_128
; %bb.119:
	v_subrev_u32_e32 v124, 19, v0
	v_mov_b32_e32 v122, 18
	v_subrev_u32_e32 v123, 18, v0
	v_cmp_lt_u32_e32 vcc, 6, v124
	s_and_saveexec_b64 s[0:1], vcc
	s_cbranch_execz .LBB90_123
; %bb.120:
	v_and_b32_e32 v122, -8, v123
	v_sub_u32_e32 v124, 0, v122
	s_mov_b64 s[8:9], 25
	s_movk_i32 s12, 0xb8
	s_mov_b64 s[10:11], 0
.LBB90_121:                             ; =>This Inner Loop Header: Depth=1
	s_add_i32 s13, s8, -7
	v_mov_b32_e32 v122, s12
	s_add_i32 s14, s8, -6
	s_set_gpr_idx_on s13, gpr_idx(SRC0)
	v_mov_b32_e32 v133, v34
	s_set_gpr_idx_off
	ds_read2_b64 v[125:128], v122 offset1:1
	s_add_i32 s15, s8, -5
	s_set_gpr_idx_on s14, gpr_idx(SRC0)
	v_mov_b32_e32 v134, v34
	s_set_gpr_idx_off
	s_add_i32 s16, s8, -4
	s_set_gpr_idx_on s15, gpr_idx(SRC0)
	v_mov_b32_e32 v135, v34
	s_set_gpr_idx_off
	s_add_i32 s17, s8, -3
	s_set_gpr_idx_on s16, gpr_idx(SRC0)
	v_mov_b32_e32 v136, v34
	s_set_gpr_idx_off
	s_add_i32 s18, s8, -2
	s_set_gpr_idx_on s17, gpr_idx(SRC0)
	v_mov_b32_e32 v137, v34
	s_set_gpr_idx_off
	ds_read2_b64 v[129:132], v122 offset0:2 offset1:3
	s_add_i32 s19, s8, -1
	s_waitcnt lgkmcnt(1)
	v_fmac_f32_e32 v121, v133, v125
	s_set_gpr_idx_on s18, gpr_idx(SRC0)
	v_mov_b32_e32 v125, v34
	s_set_gpr_idx_off
	v_fmac_f32_e32 v121, v134, v126
	s_set_gpr_idx_on s19, gpr_idx(SRC0)
	v_mov_b32_e32 v126, v34
	s_set_gpr_idx_off
	;; [unrolled: 4-line block ×3, first 2 shown]
	v_fmac_f32_e32 v121, v136, v128
	s_add_u32 s8, s8, 8
	s_waitcnt lgkmcnt(0)
	v_fmac_f32_e32 v121, v137, v129
	v_add_u32_e32 v122, s8, v124
	v_fmac_f32_e32 v121, v125, v130
	s_addc_u32 s9, s9, 0
	s_add_i32 s12, s12, 32
	s_add_i32 s13, s8, -7
	v_cmp_eq_u32_e32 vcc, 25, v122
	v_fmac_f32_e32 v121, v126, v131
	v_mov_b32_e32 v122, s13
	s_or_b64 s[10:11], vcc, s[10:11]
	v_fmac_f32_e32 v121, v127, v132
	s_andn2_b64 exec, exec, s[10:11]
	s_cbranch_execnz .LBB90_121
; %bb.122:
	s_or_b64 exec, exec, s[10:11]
.LBB90_123:
	s_or_b64 exec, exec, s[0:1]
	v_and_b32_e32 v61, 7, v123
	v_cmp_ne_u32_e32 vcc, 0, v61
	s_and_saveexec_b64 s[8:9], vcc
	s_cbranch_execz .LBB90_127
; %bb.124:
	v_mov_b32_e32 v62, 0x70
	v_lshl_add_u32 v62, v122, 2, v62
	v_mov_b32_e32 v63, 0
	s_mov_b64 s[10:11], 0
.LBB90_125:                             ; =>This Inner Loop Header: Depth=1
	v_cmp_eq_u32_e32 vcc, 1, v122
	v_cndmask_b32_e32 v64, v34, v35, vcc
	v_add_u32_e32 v61, -1, v61
	v_cmp_eq_u32_e32 vcc, 2, v122
	v_cndmask_b32_e32 v64, v64, v36, vcc
	v_cmp_eq_u32_e32 vcc, 0, v61
	v_cmp_eq_u32_e64 s[0:1], 3, v122
	v_cndmask_b32_e64 v64, v64, v37, s[0:1]
	s_or_b64 s[10:11], vcc, s[10:11]
	v_cmp_eq_u32_e32 vcc, 4, v122
	v_cndmask_b32_e32 v64, v64, v38, vcc
	v_cmp_eq_u32_e32 vcc, 5, v122
	v_cndmask_b32_e32 v64, v64, v39, vcc
	;; [unrolled: 2-line block ×18, first 2 shown]
	v_cmp_eq_u32_e32 vcc, 22, v122
	ds_read_b32 v65, v62
	v_cndmask_b32_e32 v64, v64, v56, vcc
	v_cmp_eq_u32_e32 vcc, 23, v122
	v_cndmask_b32_e32 v64, v64, v57, vcc
	v_cmp_eq_u32_e32 vcc, 24, v122
	;; [unrolled: 2-line block ×4, first 2 shown]
	v_add_co_u32_e64 v122, s[0:1], 1, v122
	v_cndmask_b32_e32 v64, v64, v60, vcc
	v_add_u32_e32 v62, 4, v62
	v_addc_co_u32_e64 v63, s[0:1], 0, v63, s[0:1]
	s_waitcnt lgkmcnt(0)
	v_fmac_f32_e32 v121, v64, v65
	s_andn2_b64 exec, exec, s[10:11]
	s_cbranch_execnz .LBB90_125
; %bb.126:
	s_or_b64 exec, exec, s[10:11]
.LBB90_127:
	s_or_b64 exec, exec, s[8:9]
.LBB90_128:
	s_or_b64 exec, exec, s[6:7]
	v_mov_b32_e32 v51, 0
	ds_read_b32 v51, v51 offset:68
	s_waitcnt lgkmcnt(0)
	v_mul_f32_e32 v51, v121, v51
.LBB90_129:
	s_or_b64 exec, exec, s[4:5]
	v_cmp_lt_u32_e64 s[0:1], 16, v0
	ds_write_b32 v120, v50
	s_waitcnt lgkmcnt(0)
	; wave barrier
	s_and_saveexec_b64 s[4:5], s[0:1]
	s_cbranch_execz .LBB90_145
; %bb.130:
	s_andn2_b64 vcc, exec, s[58:59]
	s_cbranch_vccnz .LBB90_132
; %bb.131:
	v_cmp_eq_u32_e32 vcc, 1, v0
	v_cndmask_b32_e32 v121, v34, v35, vcc
	v_cmp_eq_u32_e32 vcc, 2, v0
	v_cndmask_b32_e32 v121, v121, v36, vcc
	;; [unrolled: 2-line block ×22, first 2 shown]
	v_cmp_eq_u32_e32 vcc, 23, v0
	ds_read_b32 v122, v120
	v_cndmask_b32_e32 v121, v121, v57, vcc
	v_cmp_eq_u32_e32 vcc, 24, v0
	v_cndmask_b32_e32 v121, v121, v58, vcc
	v_cmp_eq_u32_e32 vcc, 25, v0
	;; [unrolled: 2-line block ×3, first 2 shown]
	v_cndmask_b32_e32 v121, v121, v60, vcc
	s_waitcnt lgkmcnt(0)
	v_mul_f32_e32 v121, v121, v122
	s_cbranch_execz .LBB90_133
	s_branch .LBB90_134
.LBB90_132:
                                        ; implicit-def: $vgpr121
.LBB90_133:
	ds_read_b32 v121, v120
.LBB90_134:
	s_and_saveexec_b64 s[6:7], s[2:3]
	s_cbranch_execz .LBB90_144
; %bb.135:
	v_subrev_u32_e32 v124, 18, v0
	v_mov_b32_e32 v122, 17
	v_subrev_u32_e32 v123, 17, v0
	v_cmp_lt_u32_e32 vcc, 6, v124
	s_and_saveexec_b64 s[2:3], vcc
	s_cbranch_execz .LBB90_139
; %bb.136:
	v_and_b32_e32 v122, -8, v123
	v_sub_u32_e32 v124, 0, v122
	s_mov_b64 s[8:9], 24
	s_movk_i32 s12, 0xb4
	s_mov_b64 s[10:11], 0
.LBB90_137:                             ; =>This Inner Loop Header: Depth=1
	s_add_i32 s13, s8, -7
	v_mov_b32_e32 v122, s12
	s_add_i32 s14, s8, -6
	s_set_gpr_idx_on s13, gpr_idx(SRC0)
	v_mov_b32_e32 v131, v34
	s_set_gpr_idx_off
	ds_read2_b32 v[125:126], v122 offset1:1
	s_add_i32 s15, s8, -5
	s_set_gpr_idx_on s14, gpr_idx(SRC0)
	v_mov_b32_e32 v132, v34
	s_set_gpr_idx_off
	s_add_i32 s16, s8, -4
	s_set_gpr_idx_on s15, gpr_idx(SRC0)
	v_mov_b32_e32 v133, v34
	s_set_gpr_idx_off
	ds_read2_b32 v[127:128], v122 offset0:2 offset1:3
	s_add_i32 s17, s8, -3
	s_set_gpr_idx_on s16, gpr_idx(SRC0)
	v_mov_b32_e32 v134, v34
	s_set_gpr_idx_off
	s_add_i32 s18, s8, -2
	s_set_gpr_idx_on s17, gpr_idx(SRC0)
	v_mov_b32_e32 v135, v34
	s_set_gpr_idx_off
	ds_read2_b32 v[129:130], v122 offset0:4 offset1:5
	s_add_i32 s19, s8, -1
	s_waitcnt lgkmcnt(2)
	v_fmac_f32_e32 v121, v131, v125
	s_set_gpr_idx_on s18, gpr_idx(SRC0)
	v_mov_b32_e32 v131, v34
	s_set_gpr_idx_off
	v_fmac_f32_e32 v121, v132, v126
	s_set_gpr_idx_on s19, gpr_idx(SRC0)
	v_mov_b32_e32 v132, v34
	s_set_gpr_idx_off
	ds_read2_b32 v[125:126], v122 offset0:6 offset1:7
	s_waitcnt lgkmcnt(2)
	v_fmac_f32_e32 v121, v133, v127
	s_set_gpr_idx_on s8, gpr_idx(SRC0)
	v_mov_b32_e32 v127, v34
	s_set_gpr_idx_off
	v_fmac_f32_e32 v121, v134, v128
	s_add_u32 s8, s8, 8
	s_waitcnt lgkmcnt(1)
	v_fmac_f32_e32 v121, v135, v129
	v_add_u32_e32 v122, s8, v124
	v_fmac_f32_e32 v121, v131, v130
	s_addc_u32 s9, s9, 0
	s_add_i32 s12, s12, 32
	s_add_i32 s13, s8, -7
	v_cmp_eq_u32_e32 vcc, 24, v122
	s_waitcnt lgkmcnt(0)
	v_fmac_f32_e32 v121, v132, v125
	v_mov_b32_e32 v122, s13
	s_or_b64 s[10:11], vcc, s[10:11]
	v_fmac_f32_e32 v121, v127, v126
	s_andn2_b64 exec, exec, s[10:11]
	s_cbranch_execnz .LBB90_137
; %bb.138:
	s_or_b64 exec, exec, s[10:11]
.LBB90_139:
	s_or_b64 exec, exec, s[2:3]
	v_and_b32_e32 v61, 7, v123
	v_cmp_ne_u32_e32 vcc, 0, v61
	s_and_saveexec_b64 s[8:9], vcc
	s_cbranch_execz .LBB90_143
; %bb.140:
	v_mov_b32_e32 v62, 0x70
	v_lshl_add_u32 v62, v122, 2, v62
	v_mov_b32_e32 v63, 0
	s_mov_b64 s[10:11], 0
.LBB90_141:                             ; =>This Inner Loop Header: Depth=1
	v_cmp_eq_u32_e32 vcc, 1, v122
	v_cndmask_b32_e32 v64, v34, v35, vcc
	v_add_u32_e32 v61, -1, v61
	v_cmp_eq_u32_e32 vcc, 2, v122
	v_cndmask_b32_e32 v64, v64, v36, vcc
	v_cmp_eq_u32_e32 vcc, 0, v61
	v_cmp_eq_u32_e64 s[2:3], 3, v122
	v_cndmask_b32_e64 v64, v64, v37, s[2:3]
	s_or_b64 s[10:11], vcc, s[10:11]
	v_cmp_eq_u32_e32 vcc, 4, v122
	v_cndmask_b32_e32 v64, v64, v38, vcc
	v_cmp_eq_u32_e32 vcc, 5, v122
	v_cndmask_b32_e32 v64, v64, v39, vcc
	;; [unrolled: 2-line block ×18, first 2 shown]
	v_cmp_eq_u32_e32 vcc, 22, v122
	ds_read_b32 v65, v62
	v_cndmask_b32_e32 v64, v64, v56, vcc
	v_cmp_eq_u32_e32 vcc, 23, v122
	v_cndmask_b32_e32 v64, v64, v57, vcc
	v_cmp_eq_u32_e32 vcc, 24, v122
	;; [unrolled: 2-line block ×4, first 2 shown]
	v_add_co_u32_e64 v122, s[2:3], 1, v122
	v_cndmask_b32_e32 v64, v64, v60, vcc
	v_add_u32_e32 v62, 4, v62
	v_addc_co_u32_e64 v63, s[2:3], 0, v63, s[2:3]
	s_waitcnt lgkmcnt(0)
	v_fmac_f32_e32 v121, v64, v65
	s_andn2_b64 exec, exec, s[10:11]
	s_cbranch_execnz .LBB90_141
; %bb.142:
	s_or_b64 exec, exec, s[10:11]
.LBB90_143:
	s_or_b64 exec, exec, s[8:9]
.LBB90_144:
	s_or_b64 exec, exec, s[6:7]
	v_mov_b32_e32 v50, 0
	ds_read_b32 v50, v50 offset:64
	s_waitcnt lgkmcnt(0)
	v_mul_f32_e32 v50, v121, v50
.LBB90_145:
	s_or_b64 exec, exec, s[4:5]
	v_cmp_lt_u32_e64 s[2:3], 15, v0
	ds_write_b32 v120, v49
	s_waitcnt lgkmcnt(0)
	; wave barrier
	s_and_saveexec_b64 s[4:5], s[2:3]
	s_cbranch_execz .LBB90_161
; %bb.146:
	s_andn2_b64 vcc, exec, s[58:59]
	s_cbranch_vccnz .LBB90_148
; %bb.147:
	v_cmp_eq_u32_e32 vcc, 1, v0
	v_cndmask_b32_e32 v121, v34, v35, vcc
	v_cmp_eq_u32_e32 vcc, 2, v0
	v_cndmask_b32_e32 v121, v121, v36, vcc
	;; [unrolled: 2-line block ×22, first 2 shown]
	v_cmp_eq_u32_e32 vcc, 23, v0
	ds_read_b32 v122, v120
	v_cndmask_b32_e32 v121, v121, v57, vcc
	v_cmp_eq_u32_e32 vcc, 24, v0
	v_cndmask_b32_e32 v121, v121, v58, vcc
	v_cmp_eq_u32_e32 vcc, 25, v0
	;; [unrolled: 2-line block ×3, first 2 shown]
	v_cndmask_b32_e32 v121, v121, v60, vcc
	s_waitcnt lgkmcnt(0)
	v_mul_f32_e32 v121, v121, v122
	s_cbranch_execz .LBB90_149
	s_branch .LBB90_150
.LBB90_148:
                                        ; implicit-def: $vgpr121
.LBB90_149:
	ds_read_b32 v121, v120
.LBB90_150:
	s_and_saveexec_b64 s[6:7], s[0:1]
	s_cbranch_execz .LBB90_160
; %bb.151:
	v_subrev_u32_e32 v122, 17, v0
	v_cmp_lt_u32_e32 vcc, 6, v122
	v_mov_b32_e32 v122, 16
	s_and_saveexec_b64 s[0:1], vcc
	s_cbranch_execz .LBB90_155
; %bb.152:
	v_and_b32_e32 v122, 24, v0
	v_sub_u32_e32 v123, 0, v122
	s_mov_b64 s[8:9], 23
	s_movk_i32 s12, 0xb0
	s_mov_b64 s[10:11], 0
.LBB90_153:                             ; =>This Inner Loop Header: Depth=1
	s_add_i32 s13, s8, -7
	v_mov_b32_e32 v122, s12
	s_add_i32 s14, s8, -6
	s_set_gpr_idx_on s13, gpr_idx(SRC0)
	v_mov_b32_e32 v132, v34
	s_set_gpr_idx_off
	s_add_i32 s15, s8, -5
	ds_read_b128 v[124:127], v122
	ds_read_b128 v[128:131], v122 offset:16
	s_set_gpr_idx_on s14, gpr_idx(SRC0)
	v_mov_b32_e32 v122, v34
	s_set_gpr_idx_off
	s_add_i32 s16, s8, -4
	s_set_gpr_idx_on s15, gpr_idx(SRC0)
	v_mov_b32_e32 v133, v34
	s_set_gpr_idx_off
	s_add_i32 s17, s8, -3
	s_set_gpr_idx_on s16, gpr_idx(SRC0)
	v_mov_b32_e32 v134, v34
	s_set_gpr_idx_off
	s_add_i32 s18, s8, -2
	s_set_gpr_idx_on s17, gpr_idx(SRC0)
	v_mov_b32_e32 v135, v34
	s_set_gpr_idx_off
	s_add_i32 s19, s8, -1
	s_waitcnt lgkmcnt(1)
	v_fmac_f32_e32 v121, v132, v124
	s_set_gpr_idx_on s18, gpr_idx(SRC0)
	v_mov_b32_e32 v124, v34
	s_set_gpr_idx_off
	v_fmac_f32_e32 v121, v122, v125
	s_set_gpr_idx_on s19, gpr_idx(SRC0)
	v_mov_b32_e32 v125, v34
	s_set_gpr_idx_off
	v_fmac_f32_e32 v121, v133, v126
	s_set_gpr_idx_on s8, gpr_idx(SRC0)
	v_mov_b32_e32 v126, v34
	s_set_gpr_idx_off
	v_fmac_f32_e32 v121, v134, v127
	s_add_u32 s8, s8, 8
	s_waitcnt lgkmcnt(0)
	v_fmac_f32_e32 v121, v135, v128
	v_add_u32_e32 v122, s8, v123
	v_fmac_f32_e32 v121, v124, v129
	s_addc_u32 s9, s9, 0
	s_add_i32 s12, s12, 32
	s_add_i32 s13, s8, -7
	v_cmp_eq_u32_e32 vcc, 7, v122
	v_fmac_f32_e32 v121, v125, v130
	v_mov_b32_e32 v122, s13
	s_or_b64 s[10:11], vcc, s[10:11]
	v_fmac_f32_e32 v121, v126, v131
	s_andn2_b64 exec, exec, s[10:11]
	s_cbranch_execnz .LBB90_153
; %bb.154:
	s_or_b64 exec, exec, s[10:11]
.LBB90_155:
	s_or_b64 exec, exec, s[0:1]
	v_and_b32_e32 v61, 7, v0
	v_cmp_ne_u32_e32 vcc, 0, v61
	s_and_saveexec_b64 s[8:9], vcc
	s_cbranch_execz .LBB90_159
; %bb.156:
	v_mov_b32_e32 v62, 0x70
	v_lshl_add_u32 v62, v122, 2, v62
	v_mov_b32_e32 v63, 0
	s_mov_b64 s[10:11], 0
.LBB90_157:                             ; =>This Inner Loop Header: Depth=1
	v_cmp_eq_u32_e32 vcc, 1, v122
	v_cndmask_b32_e32 v64, v34, v35, vcc
	v_add_u32_e32 v61, -1, v61
	v_cmp_eq_u32_e32 vcc, 2, v122
	v_cndmask_b32_e32 v64, v64, v36, vcc
	v_cmp_eq_u32_e32 vcc, 0, v61
	v_cmp_eq_u32_e64 s[0:1], 3, v122
	v_cndmask_b32_e64 v64, v64, v37, s[0:1]
	s_or_b64 s[10:11], vcc, s[10:11]
	v_cmp_eq_u32_e32 vcc, 4, v122
	v_cndmask_b32_e32 v64, v64, v38, vcc
	v_cmp_eq_u32_e32 vcc, 5, v122
	v_cndmask_b32_e32 v64, v64, v39, vcc
	;; [unrolled: 2-line block ×18, first 2 shown]
	v_cmp_eq_u32_e32 vcc, 22, v122
	ds_read_b32 v65, v62
	v_cndmask_b32_e32 v64, v64, v56, vcc
	v_cmp_eq_u32_e32 vcc, 23, v122
	v_cndmask_b32_e32 v64, v64, v57, vcc
	v_cmp_eq_u32_e32 vcc, 24, v122
	;; [unrolled: 2-line block ×4, first 2 shown]
	v_add_co_u32_e64 v122, s[0:1], 1, v122
	v_cndmask_b32_e32 v64, v64, v60, vcc
	v_add_u32_e32 v62, 4, v62
	v_addc_co_u32_e64 v63, s[0:1], 0, v63, s[0:1]
	s_waitcnt lgkmcnt(0)
	v_fmac_f32_e32 v121, v64, v65
	s_andn2_b64 exec, exec, s[10:11]
	s_cbranch_execnz .LBB90_157
; %bb.158:
	s_or_b64 exec, exec, s[10:11]
.LBB90_159:
	s_or_b64 exec, exec, s[8:9]
.LBB90_160:
	s_or_b64 exec, exec, s[6:7]
	v_mov_b32_e32 v49, 0
	ds_read_b32 v49, v49 offset:60
	s_waitcnt lgkmcnt(0)
	v_mul_f32_e32 v49, v121, v49
.LBB90_161:
	s_or_b64 exec, exec, s[4:5]
	v_cmp_lt_u32_e64 s[0:1], 14, v0
	ds_write_b32 v120, v48
	s_waitcnt lgkmcnt(0)
	; wave barrier
	s_and_saveexec_b64 s[4:5], s[0:1]
	s_cbranch_execz .LBB90_177
; %bb.162:
	s_andn2_b64 vcc, exec, s[58:59]
	s_cbranch_vccnz .LBB90_164
; %bb.163:
	v_cmp_eq_u32_e32 vcc, 1, v0
	v_cndmask_b32_e32 v121, v34, v35, vcc
	v_cmp_eq_u32_e32 vcc, 2, v0
	v_cndmask_b32_e32 v121, v121, v36, vcc
	;; [unrolled: 2-line block ×22, first 2 shown]
	v_cmp_eq_u32_e32 vcc, 23, v0
	ds_read_b32 v122, v120
	v_cndmask_b32_e32 v121, v121, v57, vcc
	v_cmp_eq_u32_e32 vcc, 24, v0
	v_cndmask_b32_e32 v121, v121, v58, vcc
	v_cmp_eq_u32_e32 vcc, 25, v0
	;; [unrolled: 2-line block ×3, first 2 shown]
	v_cndmask_b32_e32 v121, v121, v60, vcc
	s_waitcnt lgkmcnt(0)
	v_mul_f32_e32 v121, v121, v122
	s_cbranch_execz .LBB90_165
	s_branch .LBB90_166
.LBB90_164:
                                        ; implicit-def: $vgpr121
.LBB90_165:
	ds_read_b32 v121, v120
.LBB90_166:
	s_and_saveexec_b64 s[6:7], s[2:3]
	s_cbranch_execz .LBB90_176
; %bb.167:
	v_add_u32_e32 v122, -16, v0
	v_add_u32_e32 v123, -15, v0
	v_cmp_lt_u32_e32 vcc, 6, v122
	v_mov_b32_e32 v122, 15
	s_and_saveexec_b64 s[2:3], vcc
	s_cbranch_execz .LBB90_171
; %bb.168:
	v_and_b32_e32 v122, -8, v123
	v_sub_u32_e32 v124, 0, v122
	s_mov_b64 s[8:9], 22
	s_movk_i32 s12, 0xac
	s_mov_b64 s[10:11], 0
.LBB90_169:                             ; =>This Inner Loop Header: Depth=1
	s_add_i32 s13, s8, -7
	v_mov_b32_e32 v122, s12
	s_add_i32 s14, s8, -6
	s_set_gpr_idx_on s13, gpr_idx(SRC0)
	v_mov_b32_e32 v131, v34
	s_set_gpr_idx_off
	ds_read2_b32 v[125:126], v122 offset1:1
	s_add_i32 s15, s8, -5
	s_set_gpr_idx_on s14, gpr_idx(SRC0)
	v_mov_b32_e32 v132, v34
	s_set_gpr_idx_off
	s_add_i32 s16, s8, -4
	s_set_gpr_idx_on s15, gpr_idx(SRC0)
	v_mov_b32_e32 v133, v34
	s_set_gpr_idx_off
	ds_read2_b32 v[127:128], v122 offset0:2 offset1:3
	s_add_i32 s17, s8, -3
	s_set_gpr_idx_on s16, gpr_idx(SRC0)
	v_mov_b32_e32 v134, v34
	s_set_gpr_idx_off
	s_add_i32 s18, s8, -2
	s_set_gpr_idx_on s17, gpr_idx(SRC0)
	v_mov_b32_e32 v135, v34
	s_set_gpr_idx_off
	ds_read2_b32 v[129:130], v122 offset0:4 offset1:5
	s_add_i32 s19, s8, -1
	s_waitcnt lgkmcnt(2)
	v_fmac_f32_e32 v121, v131, v125
	s_set_gpr_idx_on s18, gpr_idx(SRC0)
	v_mov_b32_e32 v131, v34
	s_set_gpr_idx_off
	v_fmac_f32_e32 v121, v132, v126
	s_set_gpr_idx_on s19, gpr_idx(SRC0)
	v_mov_b32_e32 v132, v34
	s_set_gpr_idx_off
	ds_read2_b32 v[125:126], v122 offset0:6 offset1:7
	s_waitcnt lgkmcnt(2)
	v_fmac_f32_e32 v121, v133, v127
	s_set_gpr_idx_on s8, gpr_idx(SRC0)
	v_mov_b32_e32 v127, v34
	s_set_gpr_idx_off
	v_fmac_f32_e32 v121, v134, v128
	s_add_u32 s8, s8, 8
	s_waitcnt lgkmcnt(1)
	v_fmac_f32_e32 v121, v135, v129
	v_add_u32_e32 v122, s8, v124
	v_fmac_f32_e32 v121, v131, v130
	s_addc_u32 s9, s9, 0
	s_add_i32 s12, s12, 32
	s_add_i32 s13, s8, -7
	v_cmp_eq_u32_e32 vcc, 22, v122
	s_waitcnt lgkmcnt(0)
	v_fmac_f32_e32 v121, v132, v125
	v_mov_b32_e32 v122, s13
	s_or_b64 s[10:11], vcc, s[10:11]
	v_fmac_f32_e32 v121, v127, v126
	s_andn2_b64 exec, exec, s[10:11]
	s_cbranch_execnz .LBB90_169
; %bb.170:
	s_or_b64 exec, exec, s[10:11]
.LBB90_171:
	s_or_b64 exec, exec, s[2:3]
	v_and_b32_e32 v61, 7, v123
	v_cmp_ne_u32_e32 vcc, 0, v61
	s_and_saveexec_b64 s[8:9], vcc
	s_cbranch_execz .LBB90_175
; %bb.172:
	v_mov_b32_e32 v62, 0x70
	v_lshl_add_u32 v62, v122, 2, v62
	v_mov_b32_e32 v63, 0
	s_mov_b64 s[10:11], 0
.LBB90_173:                             ; =>This Inner Loop Header: Depth=1
	v_cmp_eq_u32_e32 vcc, 1, v122
	v_cndmask_b32_e32 v64, v34, v35, vcc
	v_add_u32_e32 v61, -1, v61
	v_cmp_eq_u32_e32 vcc, 2, v122
	v_cndmask_b32_e32 v64, v64, v36, vcc
	v_cmp_eq_u32_e32 vcc, 0, v61
	v_cmp_eq_u32_e64 s[2:3], 3, v122
	v_cndmask_b32_e64 v64, v64, v37, s[2:3]
	s_or_b64 s[10:11], vcc, s[10:11]
	v_cmp_eq_u32_e32 vcc, 4, v122
	v_cndmask_b32_e32 v64, v64, v38, vcc
	v_cmp_eq_u32_e32 vcc, 5, v122
	v_cndmask_b32_e32 v64, v64, v39, vcc
	;; [unrolled: 2-line block ×18, first 2 shown]
	v_cmp_eq_u32_e32 vcc, 22, v122
	ds_read_b32 v65, v62
	v_cndmask_b32_e32 v64, v64, v56, vcc
	v_cmp_eq_u32_e32 vcc, 23, v122
	v_cndmask_b32_e32 v64, v64, v57, vcc
	v_cmp_eq_u32_e32 vcc, 24, v122
	;; [unrolled: 2-line block ×4, first 2 shown]
	v_add_co_u32_e64 v122, s[2:3], 1, v122
	v_cndmask_b32_e32 v64, v64, v60, vcc
	v_add_u32_e32 v62, 4, v62
	v_addc_co_u32_e64 v63, s[2:3], 0, v63, s[2:3]
	s_waitcnt lgkmcnt(0)
	v_fmac_f32_e32 v121, v64, v65
	s_andn2_b64 exec, exec, s[10:11]
	s_cbranch_execnz .LBB90_173
; %bb.174:
	s_or_b64 exec, exec, s[10:11]
.LBB90_175:
	s_or_b64 exec, exec, s[8:9]
.LBB90_176:
	s_or_b64 exec, exec, s[6:7]
	v_mov_b32_e32 v48, 0
	ds_read_b32 v48, v48 offset:56
	s_waitcnt lgkmcnt(0)
	v_mul_f32_e32 v48, v121, v48
.LBB90_177:
	s_or_b64 exec, exec, s[4:5]
	v_cmp_lt_u32_e64 s[2:3], 13, v0
	ds_write_b32 v120, v47
	s_waitcnt lgkmcnt(0)
	; wave barrier
	s_and_saveexec_b64 s[4:5], s[2:3]
	s_cbranch_execz .LBB90_193
; %bb.178:
	s_andn2_b64 vcc, exec, s[58:59]
	s_cbranch_vccnz .LBB90_180
; %bb.179:
	v_cmp_eq_u32_e32 vcc, 1, v0
	v_cndmask_b32_e32 v121, v34, v35, vcc
	v_cmp_eq_u32_e32 vcc, 2, v0
	v_cndmask_b32_e32 v121, v121, v36, vcc
	;; [unrolled: 2-line block ×22, first 2 shown]
	v_cmp_eq_u32_e32 vcc, 23, v0
	ds_read_b32 v122, v120
	v_cndmask_b32_e32 v121, v121, v57, vcc
	v_cmp_eq_u32_e32 vcc, 24, v0
	v_cndmask_b32_e32 v121, v121, v58, vcc
	v_cmp_eq_u32_e32 vcc, 25, v0
	;; [unrolled: 2-line block ×3, first 2 shown]
	v_cndmask_b32_e32 v121, v121, v60, vcc
	s_waitcnt lgkmcnt(0)
	v_mul_f32_e32 v121, v121, v122
	s_cbranch_execz .LBB90_181
	s_branch .LBB90_182
.LBB90_180:
                                        ; implicit-def: $vgpr121
.LBB90_181:
	ds_read_b32 v121, v120
.LBB90_182:
	s_and_saveexec_b64 s[6:7], s[0:1]
	s_cbranch_execz .LBB90_192
; %bb.183:
	v_add_u32_e32 v122, -15, v0
	v_add_u32_e32 v123, -14, v0
	v_cmp_lt_u32_e32 vcc, 6, v122
	v_mov_b32_e32 v122, 14
	s_and_saveexec_b64 s[0:1], vcc
	s_cbranch_execz .LBB90_187
; %bb.184:
	v_and_b32_e32 v122, -8, v123
	v_sub_u32_e32 v124, 0, v122
	s_mov_b64 s[8:9], 21
	s_movk_i32 s12, 0xa8
	s_mov_b64 s[10:11], 0
.LBB90_185:                             ; =>This Inner Loop Header: Depth=1
	s_add_i32 s13, s8, -7
	v_mov_b32_e32 v122, s12
	s_add_i32 s14, s8, -6
	s_set_gpr_idx_on s13, gpr_idx(SRC0)
	v_mov_b32_e32 v133, v34
	s_set_gpr_idx_off
	ds_read2_b64 v[125:128], v122 offset1:1
	s_add_i32 s15, s8, -5
	s_set_gpr_idx_on s14, gpr_idx(SRC0)
	v_mov_b32_e32 v134, v34
	s_set_gpr_idx_off
	s_add_i32 s16, s8, -4
	s_set_gpr_idx_on s15, gpr_idx(SRC0)
	v_mov_b32_e32 v135, v34
	s_set_gpr_idx_off
	;; [unrolled: 4-line block ×4, first 2 shown]
	ds_read2_b64 v[129:132], v122 offset0:2 offset1:3
	s_add_i32 s19, s8, -1
	s_waitcnt lgkmcnt(1)
	v_fmac_f32_e32 v121, v133, v125
	s_set_gpr_idx_on s18, gpr_idx(SRC0)
	v_mov_b32_e32 v125, v34
	s_set_gpr_idx_off
	v_fmac_f32_e32 v121, v134, v126
	s_set_gpr_idx_on s19, gpr_idx(SRC0)
	v_mov_b32_e32 v126, v34
	s_set_gpr_idx_off
	;; [unrolled: 4-line block ×3, first 2 shown]
	v_fmac_f32_e32 v121, v136, v128
	s_add_u32 s8, s8, 8
	s_waitcnt lgkmcnt(0)
	v_fmac_f32_e32 v121, v137, v129
	v_add_u32_e32 v122, s8, v124
	v_fmac_f32_e32 v121, v125, v130
	s_addc_u32 s9, s9, 0
	s_add_i32 s12, s12, 32
	s_add_i32 s13, s8, -7
	v_cmp_eq_u32_e32 vcc, 21, v122
	v_fmac_f32_e32 v121, v126, v131
	v_mov_b32_e32 v122, s13
	s_or_b64 s[10:11], vcc, s[10:11]
	v_fmac_f32_e32 v121, v127, v132
	s_andn2_b64 exec, exec, s[10:11]
	s_cbranch_execnz .LBB90_185
; %bb.186:
	s_or_b64 exec, exec, s[10:11]
.LBB90_187:
	s_or_b64 exec, exec, s[0:1]
	v_and_b32_e32 v61, 7, v123
	v_cmp_ne_u32_e32 vcc, 0, v61
	s_and_saveexec_b64 s[8:9], vcc
	s_cbranch_execz .LBB90_191
; %bb.188:
	v_mov_b32_e32 v62, 0x70
	v_lshl_add_u32 v62, v122, 2, v62
	v_mov_b32_e32 v63, 0
	s_mov_b64 s[10:11], 0
.LBB90_189:                             ; =>This Inner Loop Header: Depth=1
	v_cmp_eq_u32_e32 vcc, 1, v122
	v_cndmask_b32_e32 v64, v34, v35, vcc
	v_add_u32_e32 v61, -1, v61
	v_cmp_eq_u32_e32 vcc, 2, v122
	v_cndmask_b32_e32 v64, v64, v36, vcc
	v_cmp_eq_u32_e32 vcc, 0, v61
	v_cmp_eq_u32_e64 s[0:1], 3, v122
	v_cndmask_b32_e64 v64, v64, v37, s[0:1]
	s_or_b64 s[10:11], vcc, s[10:11]
	v_cmp_eq_u32_e32 vcc, 4, v122
	v_cndmask_b32_e32 v64, v64, v38, vcc
	v_cmp_eq_u32_e32 vcc, 5, v122
	v_cndmask_b32_e32 v64, v64, v39, vcc
	;; [unrolled: 2-line block ×18, first 2 shown]
	v_cmp_eq_u32_e32 vcc, 22, v122
	ds_read_b32 v65, v62
	v_cndmask_b32_e32 v64, v64, v56, vcc
	v_cmp_eq_u32_e32 vcc, 23, v122
	v_cndmask_b32_e32 v64, v64, v57, vcc
	v_cmp_eq_u32_e32 vcc, 24, v122
	;; [unrolled: 2-line block ×4, first 2 shown]
	v_add_co_u32_e64 v122, s[0:1], 1, v122
	v_cndmask_b32_e32 v64, v64, v60, vcc
	v_add_u32_e32 v62, 4, v62
	v_addc_co_u32_e64 v63, s[0:1], 0, v63, s[0:1]
	s_waitcnt lgkmcnt(0)
	v_fmac_f32_e32 v121, v64, v65
	s_andn2_b64 exec, exec, s[10:11]
	s_cbranch_execnz .LBB90_189
; %bb.190:
	s_or_b64 exec, exec, s[10:11]
.LBB90_191:
	s_or_b64 exec, exec, s[8:9]
.LBB90_192:
	s_or_b64 exec, exec, s[6:7]
	v_mov_b32_e32 v47, 0
	ds_read_b32 v47, v47 offset:52
	s_waitcnt lgkmcnt(0)
	v_mul_f32_e32 v47, v121, v47
.LBB90_193:
	s_or_b64 exec, exec, s[4:5]
	v_cmp_lt_u32_e64 s[0:1], 12, v0
	ds_write_b32 v120, v46
	s_waitcnt lgkmcnt(0)
	; wave barrier
	s_and_saveexec_b64 s[4:5], s[0:1]
	s_cbranch_execz .LBB90_209
; %bb.194:
	s_andn2_b64 vcc, exec, s[58:59]
	s_cbranch_vccnz .LBB90_196
; %bb.195:
	v_cmp_eq_u32_e32 vcc, 1, v0
	v_cndmask_b32_e32 v121, v34, v35, vcc
	v_cmp_eq_u32_e32 vcc, 2, v0
	v_cndmask_b32_e32 v121, v121, v36, vcc
	;; [unrolled: 2-line block ×22, first 2 shown]
	v_cmp_eq_u32_e32 vcc, 23, v0
	ds_read_b32 v122, v120
	v_cndmask_b32_e32 v121, v121, v57, vcc
	v_cmp_eq_u32_e32 vcc, 24, v0
	v_cndmask_b32_e32 v121, v121, v58, vcc
	v_cmp_eq_u32_e32 vcc, 25, v0
	;; [unrolled: 2-line block ×3, first 2 shown]
	v_cndmask_b32_e32 v121, v121, v60, vcc
	s_waitcnt lgkmcnt(0)
	v_mul_f32_e32 v121, v121, v122
	s_cbranch_execz .LBB90_197
	s_branch .LBB90_198
.LBB90_196:
                                        ; implicit-def: $vgpr121
.LBB90_197:
	ds_read_b32 v121, v120
.LBB90_198:
	s_and_saveexec_b64 s[6:7], s[2:3]
	s_cbranch_execz .LBB90_208
; %bb.199:
	v_add_u32_e32 v122, -14, v0
	v_add_u32_e32 v123, -13, v0
	v_cmp_lt_u32_e32 vcc, 6, v122
	v_mov_b32_e32 v122, 13
	s_and_saveexec_b64 s[2:3], vcc
	s_cbranch_execz .LBB90_203
; %bb.200:
	v_and_b32_e32 v122, -8, v123
	v_sub_u32_e32 v124, 0, v122
	s_mov_b64 s[8:9], 20
	s_movk_i32 s12, 0xa4
	s_mov_b64 s[10:11], 0
.LBB90_201:                             ; =>This Inner Loop Header: Depth=1
	s_add_i32 s13, s8, -7
	v_mov_b32_e32 v122, s12
	s_add_i32 s14, s8, -6
	s_set_gpr_idx_on s13, gpr_idx(SRC0)
	v_mov_b32_e32 v131, v34
	s_set_gpr_idx_off
	ds_read2_b32 v[125:126], v122 offset1:1
	s_add_i32 s15, s8, -5
	s_set_gpr_idx_on s14, gpr_idx(SRC0)
	v_mov_b32_e32 v132, v34
	s_set_gpr_idx_off
	s_add_i32 s16, s8, -4
	s_set_gpr_idx_on s15, gpr_idx(SRC0)
	v_mov_b32_e32 v133, v34
	s_set_gpr_idx_off
	ds_read2_b32 v[127:128], v122 offset0:2 offset1:3
	s_add_i32 s17, s8, -3
	s_set_gpr_idx_on s16, gpr_idx(SRC0)
	v_mov_b32_e32 v134, v34
	s_set_gpr_idx_off
	s_add_i32 s18, s8, -2
	s_set_gpr_idx_on s17, gpr_idx(SRC0)
	v_mov_b32_e32 v135, v34
	s_set_gpr_idx_off
	ds_read2_b32 v[129:130], v122 offset0:4 offset1:5
	s_add_i32 s19, s8, -1
	s_waitcnt lgkmcnt(2)
	v_fmac_f32_e32 v121, v131, v125
	s_set_gpr_idx_on s18, gpr_idx(SRC0)
	v_mov_b32_e32 v131, v34
	s_set_gpr_idx_off
	v_fmac_f32_e32 v121, v132, v126
	s_set_gpr_idx_on s19, gpr_idx(SRC0)
	v_mov_b32_e32 v132, v34
	s_set_gpr_idx_off
	ds_read2_b32 v[125:126], v122 offset0:6 offset1:7
	s_waitcnt lgkmcnt(2)
	v_fmac_f32_e32 v121, v133, v127
	s_set_gpr_idx_on s8, gpr_idx(SRC0)
	v_mov_b32_e32 v127, v34
	s_set_gpr_idx_off
	v_fmac_f32_e32 v121, v134, v128
	s_add_u32 s8, s8, 8
	s_waitcnt lgkmcnt(1)
	v_fmac_f32_e32 v121, v135, v129
	v_add_u32_e32 v122, s8, v124
	v_fmac_f32_e32 v121, v131, v130
	s_addc_u32 s9, s9, 0
	s_add_i32 s12, s12, 32
	s_add_i32 s13, s8, -7
	v_cmp_eq_u32_e32 vcc, 20, v122
	s_waitcnt lgkmcnt(0)
	v_fmac_f32_e32 v121, v132, v125
	v_mov_b32_e32 v122, s13
	s_or_b64 s[10:11], vcc, s[10:11]
	v_fmac_f32_e32 v121, v127, v126
	s_andn2_b64 exec, exec, s[10:11]
	s_cbranch_execnz .LBB90_201
; %bb.202:
	s_or_b64 exec, exec, s[10:11]
.LBB90_203:
	s_or_b64 exec, exec, s[2:3]
	v_and_b32_e32 v61, 7, v123
	v_cmp_ne_u32_e32 vcc, 0, v61
	s_and_saveexec_b64 s[8:9], vcc
	s_cbranch_execz .LBB90_207
; %bb.204:
	v_mov_b32_e32 v62, 0x70
	v_lshl_add_u32 v62, v122, 2, v62
	v_mov_b32_e32 v63, 0
	s_mov_b64 s[10:11], 0
.LBB90_205:                             ; =>This Inner Loop Header: Depth=1
	v_cmp_eq_u32_e32 vcc, 1, v122
	v_cndmask_b32_e32 v64, v34, v35, vcc
	v_add_u32_e32 v61, -1, v61
	v_cmp_eq_u32_e32 vcc, 2, v122
	v_cndmask_b32_e32 v64, v64, v36, vcc
	v_cmp_eq_u32_e32 vcc, 0, v61
	v_cmp_eq_u32_e64 s[2:3], 3, v122
	v_cndmask_b32_e64 v64, v64, v37, s[2:3]
	s_or_b64 s[10:11], vcc, s[10:11]
	v_cmp_eq_u32_e32 vcc, 4, v122
	v_cndmask_b32_e32 v64, v64, v38, vcc
	v_cmp_eq_u32_e32 vcc, 5, v122
	v_cndmask_b32_e32 v64, v64, v39, vcc
	v_cmp_eq_u32_e32 vcc, 6, v122
	v_cndmask_b32_e32 v64, v64, v40, vcc
	v_cmp_eq_u32_e32 vcc, 7, v122
	v_cndmask_b32_e32 v64, v64, v41, vcc
	v_cmp_eq_u32_e32 vcc, 8, v122
	v_cndmask_b32_e32 v64, v64, v42, vcc
	v_cmp_eq_u32_e32 vcc, 9, v122
	v_cndmask_b32_e32 v64, v64, v43, vcc
	v_cmp_eq_u32_e32 vcc, 10, v122
	v_cndmask_b32_e32 v64, v64, v44, vcc
	v_cmp_eq_u32_e32 vcc, 11, v122
	v_cndmask_b32_e32 v64, v64, v45, vcc
	v_cmp_eq_u32_e32 vcc, 12, v122
	v_cndmask_b32_e32 v64, v64, v46, vcc
	v_cmp_eq_u32_e32 vcc, 13, v122
	v_cndmask_b32_e32 v64, v64, v47, vcc
	v_cmp_eq_u32_e32 vcc, 14, v122
	v_cndmask_b32_e32 v64, v64, v48, vcc
	v_cmp_eq_u32_e32 vcc, 15, v122
	v_cndmask_b32_e32 v64, v64, v49, vcc
	v_cmp_eq_u32_e32 vcc, 16, v122
	v_cndmask_b32_e32 v64, v64, v50, vcc
	v_cmp_eq_u32_e32 vcc, 17, v122
	v_cndmask_b32_e32 v64, v64, v51, vcc
	v_cmp_eq_u32_e32 vcc, 18, v122
	v_cndmask_b32_e32 v64, v64, v52, vcc
	v_cmp_eq_u32_e32 vcc, 19, v122
	v_cndmask_b32_e32 v64, v64, v53, vcc
	v_cmp_eq_u32_e32 vcc, 20, v122
	v_cndmask_b32_e32 v64, v64, v54, vcc
	v_cmp_eq_u32_e32 vcc, 21, v122
	v_cndmask_b32_e32 v64, v64, v55, vcc
	v_cmp_eq_u32_e32 vcc, 22, v122
	ds_read_b32 v65, v62
	v_cndmask_b32_e32 v64, v64, v56, vcc
	v_cmp_eq_u32_e32 vcc, 23, v122
	v_cndmask_b32_e32 v64, v64, v57, vcc
	v_cmp_eq_u32_e32 vcc, 24, v122
	;; [unrolled: 2-line block ×4, first 2 shown]
	v_add_co_u32_e64 v122, s[2:3], 1, v122
	v_cndmask_b32_e32 v64, v64, v60, vcc
	v_add_u32_e32 v62, 4, v62
	v_addc_co_u32_e64 v63, s[2:3], 0, v63, s[2:3]
	s_waitcnt lgkmcnt(0)
	v_fmac_f32_e32 v121, v64, v65
	s_andn2_b64 exec, exec, s[10:11]
	s_cbranch_execnz .LBB90_205
; %bb.206:
	s_or_b64 exec, exec, s[10:11]
.LBB90_207:
	s_or_b64 exec, exec, s[8:9]
.LBB90_208:
	s_or_b64 exec, exec, s[6:7]
	v_mov_b32_e32 v46, 0
	ds_read_b32 v46, v46 offset:48
	s_waitcnt lgkmcnt(0)
	v_mul_f32_e32 v46, v121, v46
.LBB90_209:
	s_or_b64 exec, exec, s[4:5]
	v_cmp_lt_u32_e64 s[2:3], 11, v0
	ds_write_b32 v120, v45
	s_waitcnt lgkmcnt(0)
	; wave barrier
	s_and_saveexec_b64 s[4:5], s[2:3]
	s_cbranch_execz .LBB90_225
; %bb.210:
	s_andn2_b64 vcc, exec, s[58:59]
	s_cbranch_vccnz .LBB90_212
; %bb.211:
	v_cmp_eq_u32_e32 vcc, 1, v0
	v_cndmask_b32_e32 v121, v34, v35, vcc
	v_cmp_eq_u32_e32 vcc, 2, v0
	v_cndmask_b32_e32 v121, v121, v36, vcc
	;; [unrolled: 2-line block ×22, first 2 shown]
	v_cmp_eq_u32_e32 vcc, 23, v0
	ds_read_b32 v122, v120
	v_cndmask_b32_e32 v121, v121, v57, vcc
	v_cmp_eq_u32_e32 vcc, 24, v0
	v_cndmask_b32_e32 v121, v121, v58, vcc
	v_cmp_eq_u32_e32 vcc, 25, v0
	;; [unrolled: 2-line block ×3, first 2 shown]
	v_cndmask_b32_e32 v121, v121, v60, vcc
	s_waitcnt lgkmcnt(0)
	v_mul_f32_e32 v121, v121, v122
	s_cbranch_execz .LBB90_213
	s_branch .LBB90_214
.LBB90_212:
                                        ; implicit-def: $vgpr121
.LBB90_213:
	ds_read_b32 v121, v120
.LBB90_214:
	s_and_saveexec_b64 s[6:7], s[0:1]
	s_cbranch_execz .LBB90_224
; %bb.215:
	v_add_u32_e32 v122, -13, v0
	v_add_u32_e32 v123, -12, v0
	v_cmp_lt_u32_e32 vcc, 6, v122
	v_mov_b32_e32 v122, 12
	s_and_saveexec_b64 s[0:1], vcc
	s_cbranch_execz .LBB90_219
; %bb.216:
	v_and_b32_e32 v122, -8, v123
	v_sub_u32_e32 v124, 0, v122
	s_mov_b64 s[8:9], 19
	s_movk_i32 s12, 0xa0
	s_mov_b64 s[10:11], 0
.LBB90_217:                             ; =>This Inner Loop Header: Depth=1
	s_add_i32 s13, s8, -7
	v_mov_b32_e32 v122, s12
	s_add_i32 s14, s8, -6
	s_set_gpr_idx_on s13, gpr_idx(SRC0)
	v_mov_b32_e32 v133, v34
	s_set_gpr_idx_off
	s_add_i32 s15, s8, -5
	ds_read_b128 v[125:128], v122
	ds_read_b128 v[129:132], v122 offset:16
	s_set_gpr_idx_on s14, gpr_idx(SRC0)
	v_mov_b32_e32 v122, v34
	s_set_gpr_idx_off
	s_add_i32 s16, s8, -4
	s_set_gpr_idx_on s15, gpr_idx(SRC0)
	v_mov_b32_e32 v134, v34
	s_set_gpr_idx_off
	s_add_i32 s17, s8, -3
	;; [unrolled: 4-line block ×4, first 2 shown]
	s_waitcnt lgkmcnt(1)
	v_fmac_f32_e32 v121, v133, v125
	s_set_gpr_idx_on s18, gpr_idx(SRC0)
	v_mov_b32_e32 v125, v34
	s_set_gpr_idx_off
	v_fmac_f32_e32 v121, v122, v126
	s_set_gpr_idx_on s19, gpr_idx(SRC0)
	v_mov_b32_e32 v126, v34
	s_set_gpr_idx_off
	;; [unrolled: 4-line block ×3, first 2 shown]
	v_fmac_f32_e32 v121, v135, v128
	s_add_u32 s8, s8, 8
	s_waitcnt lgkmcnt(0)
	v_fmac_f32_e32 v121, v136, v129
	v_add_u32_e32 v122, s8, v124
	v_fmac_f32_e32 v121, v125, v130
	s_addc_u32 s9, s9, 0
	s_add_i32 s12, s12, 32
	s_add_i32 s13, s8, -7
	v_cmp_eq_u32_e32 vcc, 19, v122
	v_fmac_f32_e32 v121, v126, v131
	v_mov_b32_e32 v122, s13
	s_or_b64 s[10:11], vcc, s[10:11]
	v_fmac_f32_e32 v121, v127, v132
	s_andn2_b64 exec, exec, s[10:11]
	s_cbranch_execnz .LBB90_217
; %bb.218:
	s_or_b64 exec, exec, s[10:11]
.LBB90_219:
	s_or_b64 exec, exec, s[0:1]
	v_and_b32_e32 v61, 7, v123
	v_cmp_ne_u32_e32 vcc, 0, v61
	s_and_saveexec_b64 s[8:9], vcc
	s_cbranch_execz .LBB90_223
; %bb.220:
	v_mov_b32_e32 v62, 0x70
	v_lshl_add_u32 v62, v122, 2, v62
	v_mov_b32_e32 v63, 0
	s_mov_b64 s[10:11], 0
.LBB90_221:                             ; =>This Inner Loop Header: Depth=1
	v_cmp_eq_u32_e32 vcc, 1, v122
	v_cndmask_b32_e32 v64, v34, v35, vcc
	v_add_u32_e32 v61, -1, v61
	v_cmp_eq_u32_e32 vcc, 2, v122
	v_cndmask_b32_e32 v64, v64, v36, vcc
	v_cmp_eq_u32_e32 vcc, 0, v61
	v_cmp_eq_u32_e64 s[0:1], 3, v122
	v_cndmask_b32_e64 v64, v64, v37, s[0:1]
	s_or_b64 s[10:11], vcc, s[10:11]
	v_cmp_eq_u32_e32 vcc, 4, v122
	v_cndmask_b32_e32 v64, v64, v38, vcc
	v_cmp_eq_u32_e32 vcc, 5, v122
	v_cndmask_b32_e32 v64, v64, v39, vcc
	;; [unrolled: 2-line block ×18, first 2 shown]
	v_cmp_eq_u32_e32 vcc, 22, v122
	ds_read_b32 v65, v62
	v_cndmask_b32_e32 v64, v64, v56, vcc
	v_cmp_eq_u32_e32 vcc, 23, v122
	v_cndmask_b32_e32 v64, v64, v57, vcc
	v_cmp_eq_u32_e32 vcc, 24, v122
	;; [unrolled: 2-line block ×4, first 2 shown]
	v_add_co_u32_e64 v122, s[0:1], 1, v122
	v_cndmask_b32_e32 v64, v64, v60, vcc
	v_add_u32_e32 v62, 4, v62
	v_addc_co_u32_e64 v63, s[0:1], 0, v63, s[0:1]
	s_waitcnt lgkmcnt(0)
	v_fmac_f32_e32 v121, v64, v65
	s_andn2_b64 exec, exec, s[10:11]
	s_cbranch_execnz .LBB90_221
; %bb.222:
	s_or_b64 exec, exec, s[10:11]
.LBB90_223:
	s_or_b64 exec, exec, s[8:9]
.LBB90_224:
	s_or_b64 exec, exec, s[6:7]
	v_mov_b32_e32 v45, 0
	ds_read_b32 v45, v45 offset:44
	s_waitcnt lgkmcnt(0)
	v_mul_f32_e32 v45, v121, v45
.LBB90_225:
	s_or_b64 exec, exec, s[4:5]
	v_cmp_lt_u32_e64 s[0:1], 10, v0
	ds_write_b32 v120, v44
	s_waitcnt lgkmcnt(0)
	; wave barrier
	s_and_saveexec_b64 s[4:5], s[0:1]
	s_cbranch_execz .LBB90_241
; %bb.226:
	s_andn2_b64 vcc, exec, s[58:59]
	s_cbranch_vccnz .LBB90_228
; %bb.227:
	v_cmp_eq_u32_e32 vcc, 1, v0
	v_cndmask_b32_e32 v121, v34, v35, vcc
	v_cmp_eq_u32_e32 vcc, 2, v0
	v_cndmask_b32_e32 v121, v121, v36, vcc
	;; [unrolled: 2-line block ×22, first 2 shown]
	v_cmp_eq_u32_e32 vcc, 23, v0
	ds_read_b32 v122, v120
	v_cndmask_b32_e32 v121, v121, v57, vcc
	v_cmp_eq_u32_e32 vcc, 24, v0
	v_cndmask_b32_e32 v121, v121, v58, vcc
	v_cmp_eq_u32_e32 vcc, 25, v0
	;; [unrolled: 2-line block ×3, first 2 shown]
	v_cndmask_b32_e32 v121, v121, v60, vcc
	s_waitcnt lgkmcnt(0)
	v_mul_f32_e32 v121, v121, v122
	s_cbranch_execz .LBB90_229
	s_branch .LBB90_230
.LBB90_228:
                                        ; implicit-def: $vgpr121
.LBB90_229:
	ds_read_b32 v121, v120
.LBB90_230:
	s_and_saveexec_b64 s[6:7], s[2:3]
	s_cbranch_execz .LBB90_240
; %bb.231:
	v_add_u32_e32 v122, -12, v0
	v_add_u32_e32 v123, -11, v0
	v_cmp_lt_u32_e32 vcc, 6, v122
	v_mov_b32_e32 v122, 11
	s_and_saveexec_b64 s[2:3], vcc
	s_cbranch_execz .LBB90_235
; %bb.232:
	v_and_b32_e32 v122, -8, v123
	v_sub_u32_e32 v124, 0, v122
	s_mov_b64 s[8:9], 18
	s_movk_i32 s12, 0x9c
	s_mov_b64 s[10:11], 0
.LBB90_233:                             ; =>This Inner Loop Header: Depth=1
	s_add_i32 s13, s8, -7
	v_mov_b32_e32 v122, s12
	s_add_i32 s14, s8, -6
	s_set_gpr_idx_on s13, gpr_idx(SRC0)
	v_mov_b32_e32 v131, v34
	s_set_gpr_idx_off
	ds_read2_b32 v[125:126], v122 offset1:1
	s_add_i32 s15, s8, -5
	s_set_gpr_idx_on s14, gpr_idx(SRC0)
	v_mov_b32_e32 v132, v34
	s_set_gpr_idx_off
	s_add_i32 s16, s8, -4
	s_set_gpr_idx_on s15, gpr_idx(SRC0)
	v_mov_b32_e32 v133, v34
	s_set_gpr_idx_off
	ds_read2_b32 v[127:128], v122 offset0:2 offset1:3
	s_add_i32 s17, s8, -3
	s_set_gpr_idx_on s16, gpr_idx(SRC0)
	v_mov_b32_e32 v134, v34
	s_set_gpr_idx_off
	s_add_i32 s18, s8, -2
	s_set_gpr_idx_on s17, gpr_idx(SRC0)
	v_mov_b32_e32 v135, v34
	s_set_gpr_idx_off
	ds_read2_b32 v[129:130], v122 offset0:4 offset1:5
	s_add_i32 s19, s8, -1
	s_waitcnt lgkmcnt(2)
	v_fmac_f32_e32 v121, v131, v125
	s_set_gpr_idx_on s18, gpr_idx(SRC0)
	v_mov_b32_e32 v131, v34
	s_set_gpr_idx_off
	v_fmac_f32_e32 v121, v132, v126
	s_set_gpr_idx_on s19, gpr_idx(SRC0)
	v_mov_b32_e32 v132, v34
	s_set_gpr_idx_off
	ds_read2_b32 v[125:126], v122 offset0:6 offset1:7
	s_waitcnt lgkmcnt(2)
	v_fmac_f32_e32 v121, v133, v127
	s_set_gpr_idx_on s8, gpr_idx(SRC0)
	v_mov_b32_e32 v127, v34
	s_set_gpr_idx_off
	v_fmac_f32_e32 v121, v134, v128
	s_add_u32 s8, s8, 8
	s_waitcnt lgkmcnt(1)
	v_fmac_f32_e32 v121, v135, v129
	v_add_u32_e32 v122, s8, v124
	v_fmac_f32_e32 v121, v131, v130
	s_addc_u32 s9, s9, 0
	s_add_i32 s12, s12, 32
	s_add_i32 s13, s8, -7
	v_cmp_eq_u32_e32 vcc, 18, v122
	s_waitcnt lgkmcnt(0)
	v_fmac_f32_e32 v121, v132, v125
	v_mov_b32_e32 v122, s13
	s_or_b64 s[10:11], vcc, s[10:11]
	v_fmac_f32_e32 v121, v127, v126
	s_andn2_b64 exec, exec, s[10:11]
	s_cbranch_execnz .LBB90_233
; %bb.234:
	s_or_b64 exec, exec, s[10:11]
.LBB90_235:
	s_or_b64 exec, exec, s[2:3]
	v_and_b32_e32 v61, 7, v123
	v_cmp_ne_u32_e32 vcc, 0, v61
	s_and_saveexec_b64 s[8:9], vcc
	s_cbranch_execz .LBB90_239
; %bb.236:
	v_mov_b32_e32 v62, 0x70
	v_lshl_add_u32 v62, v122, 2, v62
	v_mov_b32_e32 v63, 0
	s_mov_b64 s[10:11], 0
.LBB90_237:                             ; =>This Inner Loop Header: Depth=1
	v_cmp_eq_u32_e32 vcc, 1, v122
	v_cndmask_b32_e32 v64, v34, v35, vcc
	v_add_u32_e32 v61, -1, v61
	v_cmp_eq_u32_e32 vcc, 2, v122
	v_cndmask_b32_e32 v64, v64, v36, vcc
	v_cmp_eq_u32_e32 vcc, 0, v61
	v_cmp_eq_u32_e64 s[2:3], 3, v122
	v_cndmask_b32_e64 v64, v64, v37, s[2:3]
	s_or_b64 s[10:11], vcc, s[10:11]
	v_cmp_eq_u32_e32 vcc, 4, v122
	v_cndmask_b32_e32 v64, v64, v38, vcc
	v_cmp_eq_u32_e32 vcc, 5, v122
	v_cndmask_b32_e32 v64, v64, v39, vcc
	;; [unrolled: 2-line block ×18, first 2 shown]
	v_cmp_eq_u32_e32 vcc, 22, v122
	ds_read_b32 v65, v62
	v_cndmask_b32_e32 v64, v64, v56, vcc
	v_cmp_eq_u32_e32 vcc, 23, v122
	v_cndmask_b32_e32 v64, v64, v57, vcc
	v_cmp_eq_u32_e32 vcc, 24, v122
	;; [unrolled: 2-line block ×4, first 2 shown]
	v_add_co_u32_e64 v122, s[2:3], 1, v122
	v_cndmask_b32_e32 v64, v64, v60, vcc
	v_add_u32_e32 v62, 4, v62
	v_addc_co_u32_e64 v63, s[2:3], 0, v63, s[2:3]
	s_waitcnt lgkmcnt(0)
	v_fmac_f32_e32 v121, v64, v65
	s_andn2_b64 exec, exec, s[10:11]
	s_cbranch_execnz .LBB90_237
; %bb.238:
	s_or_b64 exec, exec, s[10:11]
.LBB90_239:
	s_or_b64 exec, exec, s[8:9]
.LBB90_240:
	s_or_b64 exec, exec, s[6:7]
	v_mov_b32_e32 v44, 0
	ds_read_b32 v44, v44 offset:40
	s_waitcnt lgkmcnt(0)
	v_mul_f32_e32 v44, v121, v44
.LBB90_241:
	s_or_b64 exec, exec, s[4:5]
	v_cmp_lt_u32_e64 s[2:3], 9, v0
	ds_write_b32 v120, v43
	s_waitcnt lgkmcnt(0)
	; wave barrier
	s_and_saveexec_b64 s[4:5], s[2:3]
	s_cbranch_execz .LBB90_257
; %bb.242:
	s_andn2_b64 vcc, exec, s[58:59]
	s_cbranch_vccnz .LBB90_244
; %bb.243:
	v_cmp_eq_u32_e32 vcc, 1, v0
	v_cndmask_b32_e32 v121, v34, v35, vcc
	v_cmp_eq_u32_e32 vcc, 2, v0
	v_cndmask_b32_e32 v121, v121, v36, vcc
	;; [unrolled: 2-line block ×22, first 2 shown]
	v_cmp_eq_u32_e32 vcc, 23, v0
	ds_read_b32 v122, v120
	v_cndmask_b32_e32 v121, v121, v57, vcc
	v_cmp_eq_u32_e32 vcc, 24, v0
	v_cndmask_b32_e32 v121, v121, v58, vcc
	v_cmp_eq_u32_e32 vcc, 25, v0
	;; [unrolled: 2-line block ×3, first 2 shown]
	v_cndmask_b32_e32 v121, v121, v60, vcc
	s_waitcnt lgkmcnt(0)
	v_mul_f32_e32 v121, v121, v122
	s_cbranch_execz .LBB90_245
	s_branch .LBB90_246
.LBB90_244:
                                        ; implicit-def: $vgpr121
.LBB90_245:
	ds_read_b32 v121, v120
.LBB90_246:
	s_and_saveexec_b64 s[6:7], s[0:1]
	s_cbranch_execz .LBB90_256
; %bb.247:
	v_add_u32_e32 v122, -11, v0
	v_add_u32_e32 v123, -10, v0
	v_cmp_lt_u32_e32 vcc, 6, v122
	v_mov_b32_e32 v122, 10
	s_and_saveexec_b64 s[0:1], vcc
	s_cbranch_execz .LBB90_251
; %bb.248:
	v_and_b32_e32 v122, -8, v123
	v_sub_u32_e32 v124, 0, v122
	s_mov_b64 s[8:9], 17
	s_movk_i32 s12, 0x98
	s_mov_b64 s[10:11], 0
.LBB90_249:                             ; =>This Inner Loop Header: Depth=1
	s_add_i32 s13, s8, -7
	v_mov_b32_e32 v122, s12
	s_add_i32 s14, s8, -6
	s_set_gpr_idx_on s13, gpr_idx(SRC0)
	v_mov_b32_e32 v133, v34
	s_set_gpr_idx_off
	ds_read2_b64 v[125:128], v122 offset1:1
	s_add_i32 s15, s8, -5
	s_set_gpr_idx_on s14, gpr_idx(SRC0)
	v_mov_b32_e32 v134, v34
	s_set_gpr_idx_off
	s_add_i32 s16, s8, -4
	s_set_gpr_idx_on s15, gpr_idx(SRC0)
	v_mov_b32_e32 v135, v34
	s_set_gpr_idx_off
	;; [unrolled: 4-line block ×4, first 2 shown]
	ds_read2_b64 v[129:132], v122 offset0:2 offset1:3
	s_add_i32 s19, s8, -1
	s_waitcnt lgkmcnt(1)
	v_fmac_f32_e32 v121, v133, v125
	s_set_gpr_idx_on s18, gpr_idx(SRC0)
	v_mov_b32_e32 v125, v34
	s_set_gpr_idx_off
	v_fmac_f32_e32 v121, v134, v126
	s_set_gpr_idx_on s19, gpr_idx(SRC0)
	v_mov_b32_e32 v126, v34
	s_set_gpr_idx_off
	;; [unrolled: 4-line block ×3, first 2 shown]
	v_fmac_f32_e32 v121, v136, v128
	s_add_u32 s8, s8, 8
	s_waitcnt lgkmcnt(0)
	v_fmac_f32_e32 v121, v137, v129
	v_add_u32_e32 v122, s8, v124
	v_fmac_f32_e32 v121, v125, v130
	s_addc_u32 s9, s9, 0
	s_add_i32 s12, s12, 32
	s_add_i32 s13, s8, -7
	v_cmp_eq_u32_e32 vcc, 17, v122
	v_fmac_f32_e32 v121, v126, v131
	v_mov_b32_e32 v122, s13
	s_or_b64 s[10:11], vcc, s[10:11]
	v_fmac_f32_e32 v121, v127, v132
	s_andn2_b64 exec, exec, s[10:11]
	s_cbranch_execnz .LBB90_249
; %bb.250:
	s_or_b64 exec, exec, s[10:11]
.LBB90_251:
	s_or_b64 exec, exec, s[0:1]
	v_and_b32_e32 v61, 7, v123
	v_cmp_ne_u32_e32 vcc, 0, v61
	s_and_saveexec_b64 s[8:9], vcc
	s_cbranch_execz .LBB90_255
; %bb.252:
	v_mov_b32_e32 v62, 0x70
	v_lshl_add_u32 v62, v122, 2, v62
	v_mov_b32_e32 v63, 0
	s_mov_b64 s[10:11], 0
.LBB90_253:                             ; =>This Inner Loop Header: Depth=1
	v_cmp_eq_u32_e32 vcc, 1, v122
	v_cndmask_b32_e32 v64, v34, v35, vcc
	v_add_u32_e32 v61, -1, v61
	v_cmp_eq_u32_e32 vcc, 2, v122
	v_cndmask_b32_e32 v64, v64, v36, vcc
	v_cmp_eq_u32_e32 vcc, 0, v61
	v_cmp_eq_u32_e64 s[0:1], 3, v122
	v_cndmask_b32_e64 v64, v64, v37, s[0:1]
	s_or_b64 s[10:11], vcc, s[10:11]
	v_cmp_eq_u32_e32 vcc, 4, v122
	v_cndmask_b32_e32 v64, v64, v38, vcc
	v_cmp_eq_u32_e32 vcc, 5, v122
	v_cndmask_b32_e32 v64, v64, v39, vcc
	;; [unrolled: 2-line block ×18, first 2 shown]
	v_cmp_eq_u32_e32 vcc, 22, v122
	ds_read_b32 v65, v62
	v_cndmask_b32_e32 v64, v64, v56, vcc
	v_cmp_eq_u32_e32 vcc, 23, v122
	v_cndmask_b32_e32 v64, v64, v57, vcc
	v_cmp_eq_u32_e32 vcc, 24, v122
	;; [unrolled: 2-line block ×4, first 2 shown]
	v_add_co_u32_e64 v122, s[0:1], 1, v122
	v_cndmask_b32_e32 v64, v64, v60, vcc
	v_add_u32_e32 v62, 4, v62
	v_addc_co_u32_e64 v63, s[0:1], 0, v63, s[0:1]
	s_waitcnt lgkmcnt(0)
	v_fmac_f32_e32 v121, v64, v65
	s_andn2_b64 exec, exec, s[10:11]
	s_cbranch_execnz .LBB90_253
; %bb.254:
	s_or_b64 exec, exec, s[10:11]
.LBB90_255:
	s_or_b64 exec, exec, s[8:9]
.LBB90_256:
	s_or_b64 exec, exec, s[6:7]
	v_mov_b32_e32 v43, 0
	ds_read_b32 v43, v43 offset:36
	s_waitcnt lgkmcnt(0)
	v_mul_f32_e32 v43, v121, v43
.LBB90_257:
	s_or_b64 exec, exec, s[4:5]
	v_cmp_lt_u32_e64 s[0:1], 8, v0
	ds_write_b32 v120, v42
	s_waitcnt lgkmcnt(0)
	; wave barrier
	s_and_saveexec_b64 s[4:5], s[0:1]
	s_cbranch_execz .LBB90_273
; %bb.258:
	s_andn2_b64 vcc, exec, s[58:59]
	s_cbranch_vccnz .LBB90_260
; %bb.259:
	v_cmp_eq_u32_e32 vcc, 1, v0
	v_cndmask_b32_e32 v121, v34, v35, vcc
	v_cmp_eq_u32_e32 vcc, 2, v0
	v_cndmask_b32_e32 v121, v121, v36, vcc
	v_cmp_eq_u32_e32 vcc, 3, v0
	v_cndmask_b32_e32 v121, v121, v37, vcc
	v_cmp_eq_u32_e32 vcc, 4, v0
	v_cndmask_b32_e32 v121, v121, v38, vcc
	v_cmp_eq_u32_e32 vcc, 5, v0
	v_cndmask_b32_e32 v121, v121, v39, vcc
	v_cmp_eq_u32_e32 vcc, 6, v0
	v_cndmask_b32_e32 v121, v121, v40, vcc
	v_cmp_eq_u32_e32 vcc, 7, v0
	v_cndmask_b32_e32 v121, v121, v41, vcc
	v_cmp_eq_u32_e32 vcc, 8, v0
	v_cndmask_b32_e32 v121, v121, v42, vcc
	v_cmp_eq_u32_e32 vcc, 9, v0
	v_cndmask_b32_e32 v121, v121, v43, vcc
	v_cmp_eq_u32_e32 vcc, 10, v0
	v_cndmask_b32_e32 v121, v121, v44, vcc
	v_cmp_eq_u32_e32 vcc, 11, v0
	v_cndmask_b32_e32 v121, v121, v45, vcc
	v_cmp_eq_u32_e32 vcc, 12, v0
	v_cndmask_b32_e32 v121, v121, v46, vcc
	v_cmp_eq_u32_e32 vcc, 13, v0
	v_cndmask_b32_e32 v121, v121, v47, vcc
	v_cmp_eq_u32_e32 vcc, 14, v0
	v_cndmask_b32_e32 v121, v121, v48, vcc
	v_cmp_eq_u32_e32 vcc, 15, v0
	v_cndmask_b32_e32 v121, v121, v49, vcc
	v_cmp_eq_u32_e32 vcc, 16, v0
	v_cndmask_b32_e32 v121, v121, v50, vcc
	v_cmp_eq_u32_e32 vcc, 17, v0
	v_cndmask_b32_e32 v121, v121, v51, vcc
	v_cmp_eq_u32_e32 vcc, 18, v0
	v_cndmask_b32_e32 v121, v121, v52, vcc
	v_cmp_eq_u32_e32 vcc, 19, v0
	v_cndmask_b32_e32 v121, v121, v53, vcc
	v_cmp_eq_u32_e32 vcc, 20, v0
	v_cndmask_b32_e32 v121, v121, v54, vcc
	v_cmp_eq_u32_e32 vcc, 21, v0
	v_cndmask_b32_e32 v121, v121, v55, vcc
	v_cmp_eq_u32_e32 vcc, 22, v0
	v_cndmask_b32_e32 v121, v121, v56, vcc
	v_cmp_eq_u32_e32 vcc, 23, v0
	ds_read_b32 v122, v120
	v_cndmask_b32_e32 v121, v121, v57, vcc
	v_cmp_eq_u32_e32 vcc, 24, v0
	v_cndmask_b32_e32 v121, v121, v58, vcc
	v_cmp_eq_u32_e32 vcc, 25, v0
	;; [unrolled: 2-line block ×3, first 2 shown]
	v_cndmask_b32_e32 v121, v121, v60, vcc
	s_waitcnt lgkmcnt(0)
	v_mul_f32_e32 v121, v121, v122
	s_cbranch_execz .LBB90_261
	s_branch .LBB90_262
.LBB90_260:
                                        ; implicit-def: $vgpr121
.LBB90_261:
	ds_read_b32 v121, v120
.LBB90_262:
	s_and_saveexec_b64 s[6:7], s[2:3]
	s_cbranch_execz .LBB90_272
; %bb.263:
	v_add_u32_e32 v122, -10, v0
	v_add_u32_e32 v123, -9, v0
	v_cmp_lt_u32_e32 vcc, 6, v122
	v_mov_b32_e32 v122, 9
	s_and_saveexec_b64 s[2:3], vcc
	s_cbranch_execz .LBB90_267
; %bb.264:
	v_and_b32_e32 v122, -8, v123
	v_sub_u32_e32 v124, 0, v122
	s_mov_b64 s[8:9], 16
	s_movk_i32 s12, 0x94
	s_mov_b64 s[10:11], 0
.LBB90_265:                             ; =>This Inner Loop Header: Depth=1
	s_add_i32 s13, s8, -7
	v_mov_b32_e32 v122, s12
	s_add_i32 s14, s8, -6
	s_set_gpr_idx_on s13, gpr_idx(SRC0)
	v_mov_b32_e32 v131, v34
	s_set_gpr_idx_off
	ds_read2_b32 v[125:126], v122 offset1:1
	s_add_i32 s15, s8, -5
	s_set_gpr_idx_on s14, gpr_idx(SRC0)
	v_mov_b32_e32 v132, v34
	s_set_gpr_idx_off
	s_add_i32 s16, s8, -4
	s_set_gpr_idx_on s15, gpr_idx(SRC0)
	v_mov_b32_e32 v133, v34
	s_set_gpr_idx_off
	ds_read2_b32 v[127:128], v122 offset0:2 offset1:3
	s_add_i32 s17, s8, -3
	s_set_gpr_idx_on s16, gpr_idx(SRC0)
	v_mov_b32_e32 v134, v34
	s_set_gpr_idx_off
	s_add_i32 s18, s8, -2
	s_set_gpr_idx_on s17, gpr_idx(SRC0)
	v_mov_b32_e32 v135, v34
	s_set_gpr_idx_off
	ds_read2_b32 v[129:130], v122 offset0:4 offset1:5
	s_add_i32 s19, s8, -1
	s_waitcnt lgkmcnt(2)
	v_fmac_f32_e32 v121, v131, v125
	s_set_gpr_idx_on s18, gpr_idx(SRC0)
	v_mov_b32_e32 v131, v34
	s_set_gpr_idx_off
	v_fmac_f32_e32 v121, v132, v126
	s_set_gpr_idx_on s19, gpr_idx(SRC0)
	v_mov_b32_e32 v132, v34
	s_set_gpr_idx_off
	ds_read2_b32 v[125:126], v122 offset0:6 offset1:7
	s_waitcnt lgkmcnt(2)
	v_fmac_f32_e32 v121, v133, v127
	s_set_gpr_idx_on s8, gpr_idx(SRC0)
	v_mov_b32_e32 v127, v34
	s_set_gpr_idx_off
	v_fmac_f32_e32 v121, v134, v128
	s_add_u32 s8, s8, 8
	s_waitcnt lgkmcnt(1)
	v_fmac_f32_e32 v121, v135, v129
	v_add_u32_e32 v122, s8, v124
	v_fmac_f32_e32 v121, v131, v130
	s_addc_u32 s9, s9, 0
	s_add_i32 s12, s12, 32
	s_add_i32 s13, s8, -7
	v_cmp_eq_u32_e32 vcc, 16, v122
	s_waitcnt lgkmcnt(0)
	v_fmac_f32_e32 v121, v132, v125
	v_mov_b32_e32 v122, s13
	s_or_b64 s[10:11], vcc, s[10:11]
	v_fmac_f32_e32 v121, v127, v126
	s_andn2_b64 exec, exec, s[10:11]
	s_cbranch_execnz .LBB90_265
; %bb.266:
	s_or_b64 exec, exec, s[10:11]
.LBB90_267:
	s_or_b64 exec, exec, s[2:3]
	v_and_b32_e32 v61, 7, v123
	v_cmp_ne_u32_e32 vcc, 0, v61
	s_and_saveexec_b64 s[8:9], vcc
	s_cbranch_execz .LBB90_271
; %bb.268:
	v_mov_b32_e32 v62, 0x70
	v_lshl_add_u32 v62, v122, 2, v62
	v_mov_b32_e32 v63, 0
	s_mov_b64 s[10:11], 0
.LBB90_269:                             ; =>This Inner Loop Header: Depth=1
	v_cmp_eq_u32_e32 vcc, 1, v122
	v_cndmask_b32_e32 v64, v34, v35, vcc
	v_add_u32_e32 v61, -1, v61
	v_cmp_eq_u32_e32 vcc, 2, v122
	v_cndmask_b32_e32 v64, v64, v36, vcc
	v_cmp_eq_u32_e32 vcc, 0, v61
	v_cmp_eq_u32_e64 s[2:3], 3, v122
	v_cndmask_b32_e64 v64, v64, v37, s[2:3]
	s_or_b64 s[10:11], vcc, s[10:11]
	v_cmp_eq_u32_e32 vcc, 4, v122
	v_cndmask_b32_e32 v64, v64, v38, vcc
	v_cmp_eq_u32_e32 vcc, 5, v122
	v_cndmask_b32_e32 v64, v64, v39, vcc
	v_cmp_eq_u32_e32 vcc, 6, v122
	v_cndmask_b32_e32 v64, v64, v40, vcc
	v_cmp_eq_u32_e32 vcc, 7, v122
	v_cndmask_b32_e32 v64, v64, v41, vcc
	v_cmp_eq_u32_e32 vcc, 8, v122
	v_cndmask_b32_e32 v64, v64, v42, vcc
	v_cmp_eq_u32_e32 vcc, 9, v122
	v_cndmask_b32_e32 v64, v64, v43, vcc
	v_cmp_eq_u32_e32 vcc, 10, v122
	v_cndmask_b32_e32 v64, v64, v44, vcc
	v_cmp_eq_u32_e32 vcc, 11, v122
	v_cndmask_b32_e32 v64, v64, v45, vcc
	v_cmp_eq_u32_e32 vcc, 12, v122
	v_cndmask_b32_e32 v64, v64, v46, vcc
	v_cmp_eq_u32_e32 vcc, 13, v122
	v_cndmask_b32_e32 v64, v64, v47, vcc
	v_cmp_eq_u32_e32 vcc, 14, v122
	v_cndmask_b32_e32 v64, v64, v48, vcc
	v_cmp_eq_u32_e32 vcc, 15, v122
	v_cndmask_b32_e32 v64, v64, v49, vcc
	v_cmp_eq_u32_e32 vcc, 16, v122
	v_cndmask_b32_e32 v64, v64, v50, vcc
	v_cmp_eq_u32_e32 vcc, 17, v122
	v_cndmask_b32_e32 v64, v64, v51, vcc
	v_cmp_eq_u32_e32 vcc, 18, v122
	v_cndmask_b32_e32 v64, v64, v52, vcc
	v_cmp_eq_u32_e32 vcc, 19, v122
	v_cndmask_b32_e32 v64, v64, v53, vcc
	v_cmp_eq_u32_e32 vcc, 20, v122
	v_cndmask_b32_e32 v64, v64, v54, vcc
	v_cmp_eq_u32_e32 vcc, 21, v122
	v_cndmask_b32_e32 v64, v64, v55, vcc
	v_cmp_eq_u32_e32 vcc, 22, v122
	ds_read_b32 v65, v62
	v_cndmask_b32_e32 v64, v64, v56, vcc
	v_cmp_eq_u32_e32 vcc, 23, v122
	v_cndmask_b32_e32 v64, v64, v57, vcc
	v_cmp_eq_u32_e32 vcc, 24, v122
	v_cndmask_b32_e32 v64, v64, v58, vcc
	v_cmp_eq_u32_e32 vcc, 25, v122
	v_cndmask_b32_e32 v64, v64, v59, vcc
	v_cmp_eq_u32_e32 vcc, 26, v122
	v_add_co_u32_e64 v122, s[2:3], 1, v122
	v_cndmask_b32_e32 v64, v64, v60, vcc
	v_add_u32_e32 v62, 4, v62
	v_addc_co_u32_e64 v63, s[2:3], 0, v63, s[2:3]
	s_waitcnt lgkmcnt(0)
	v_fmac_f32_e32 v121, v64, v65
	s_andn2_b64 exec, exec, s[10:11]
	s_cbranch_execnz .LBB90_269
; %bb.270:
	s_or_b64 exec, exec, s[10:11]
.LBB90_271:
	s_or_b64 exec, exec, s[8:9]
.LBB90_272:
	s_or_b64 exec, exec, s[6:7]
	v_mov_b32_e32 v42, 0
	ds_read_b32 v42, v42 offset:32
	s_waitcnt lgkmcnt(0)
	v_mul_f32_e32 v42, v121, v42
.LBB90_273:
	s_or_b64 exec, exec, s[4:5]
	v_cmp_lt_u32_e64 s[2:3], 7, v0
	ds_write_b32 v120, v41
	s_waitcnt lgkmcnt(0)
	; wave barrier
	s_and_saveexec_b64 s[4:5], s[2:3]
	s_cbranch_execz .LBB90_289
; %bb.274:
	s_andn2_b64 vcc, exec, s[58:59]
	s_cbranch_vccnz .LBB90_276
; %bb.275:
	v_cmp_eq_u32_e32 vcc, 1, v0
	v_cndmask_b32_e32 v121, v34, v35, vcc
	v_cmp_eq_u32_e32 vcc, 2, v0
	v_cndmask_b32_e32 v121, v121, v36, vcc
	;; [unrolled: 2-line block ×22, first 2 shown]
	v_cmp_eq_u32_e32 vcc, 23, v0
	ds_read_b32 v122, v120
	v_cndmask_b32_e32 v121, v121, v57, vcc
	v_cmp_eq_u32_e32 vcc, 24, v0
	v_cndmask_b32_e32 v121, v121, v58, vcc
	v_cmp_eq_u32_e32 vcc, 25, v0
	;; [unrolled: 2-line block ×3, first 2 shown]
	v_cndmask_b32_e32 v121, v121, v60, vcc
	s_waitcnt lgkmcnt(0)
	v_mul_f32_e32 v121, v121, v122
	s_cbranch_execz .LBB90_277
	s_branch .LBB90_278
.LBB90_276:
                                        ; implicit-def: $vgpr121
.LBB90_277:
	ds_read_b32 v121, v120
.LBB90_278:
	s_and_saveexec_b64 s[6:7], s[0:1]
	s_cbranch_execz .LBB90_288
; %bb.279:
	v_add_u32_e32 v122, -9, v0
	v_cmp_lt_u32_e32 vcc, 6, v122
	v_mov_b32_e32 v122, 8
	s_and_saveexec_b64 s[0:1], vcc
	s_cbranch_execz .LBB90_283
; %bb.280:
	v_and_b32_e32 v122, 24, v0
	v_sub_u32_e32 v123, 0, v122
	s_mov_b64 s[8:9], 15
	s_movk_i32 s12, 0x90
	s_mov_b64 s[10:11], 0
.LBB90_281:                             ; =>This Inner Loop Header: Depth=1
	s_add_i32 s13, s8, -7
	v_mov_b32_e32 v122, s12
	s_add_i32 s14, s8, -6
	s_set_gpr_idx_on s13, gpr_idx(SRC0)
	v_mov_b32_e32 v132, v34
	s_set_gpr_idx_off
	s_add_i32 s15, s8, -5
	ds_read_b128 v[124:127], v122
	ds_read_b128 v[128:131], v122 offset:16
	s_set_gpr_idx_on s14, gpr_idx(SRC0)
	v_mov_b32_e32 v122, v34
	s_set_gpr_idx_off
	s_add_i32 s16, s8, -4
	s_set_gpr_idx_on s15, gpr_idx(SRC0)
	v_mov_b32_e32 v133, v34
	s_set_gpr_idx_off
	s_add_i32 s17, s8, -3
	;; [unrolled: 4-line block ×4, first 2 shown]
	s_waitcnt lgkmcnt(1)
	v_fmac_f32_e32 v121, v132, v124
	s_set_gpr_idx_on s18, gpr_idx(SRC0)
	v_mov_b32_e32 v124, v34
	s_set_gpr_idx_off
	v_fmac_f32_e32 v121, v122, v125
	s_set_gpr_idx_on s19, gpr_idx(SRC0)
	v_mov_b32_e32 v125, v34
	s_set_gpr_idx_off
	;; [unrolled: 4-line block ×3, first 2 shown]
	v_fmac_f32_e32 v121, v134, v127
	s_add_u32 s8, s8, 8
	s_waitcnt lgkmcnt(0)
	v_fmac_f32_e32 v121, v135, v128
	v_add_u32_e32 v122, s8, v123
	v_fmac_f32_e32 v121, v124, v129
	s_addc_u32 s9, s9, 0
	s_add_i32 s12, s12, 32
	s_add_i32 s13, s8, -7
	v_cmp_eq_u32_e32 vcc, 7, v122
	v_fmac_f32_e32 v121, v125, v130
	v_mov_b32_e32 v122, s13
	s_or_b64 s[10:11], vcc, s[10:11]
	v_fmac_f32_e32 v121, v126, v131
	s_andn2_b64 exec, exec, s[10:11]
	s_cbranch_execnz .LBB90_281
; %bb.282:
	s_or_b64 exec, exec, s[10:11]
.LBB90_283:
	s_or_b64 exec, exec, s[0:1]
	v_and_b32_e32 v61, 7, v0
	v_cmp_ne_u32_e32 vcc, 0, v61
	s_and_saveexec_b64 s[8:9], vcc
	s_cbranch_execz .LBB90_287
; %bb.284:
	v_mov_b32_e32 v62, 0x70
	v_lshl_add_u32 v62, v122, 2, v62
	v_mov_b32_e32 v63, 0
	s_mov_b64 s[10:11], 0
.LBB90_285:                             ; =>This Inner Loop Header: Depth=1
	v_cmp_eq_u32_e32 vcc, 1, v122
	v_cndmask_b32_e32 v64, v34, v35, vcc
	v_add_u32_e32 v61, -1, v61
	v_cmp_eq_u32_e32 vcc, 2, v122
	v_cndmask_b32_e32 v64, v64, v36, vcc
	v_cmp_eq_u32_e32 vcc, 0, v61
	v_cmp_eq_u32_e64 s[0:1], 3, v122
	v_cndmask_b32_e64 v64, v64, v37, s[0:1]
	s_or_b64 s[10:11], vcc, s[10:11]
	v_cmp_eq_u32_e32 vcc, 4, v122
	v_cndmask_b32_e32 v64, v64, v38, vcc
	v_cmp_eq_u32_e32 vcc, 5, v122
	v_cndmask_b32_e32 v64, v64, v39, vcc
	;; [unrolled: 2-line block ×18, first 2 shown]
	v_cmp_eq_u32_e32 vcc, 22, v122
	ds_read_b32 v65, v62
	v_cndmask_b32_e32 v64, v64, v56, vcc
	v_cmp_eq_u32_e32 vcc, 23, v122
	v_cndmask_b32_e32 v64, v64, v57, vcc
	v_cmp_eq_u32_e32 vcc, 24, v122
	v_cndmask_b32_e32 v64, v64, v58, vcc
	v_cmp_eq_u32_e32 vcc, 25, v122
	v_cndmask_b32_e32 v64, v64, v59, vcc
	v_cmp_eq_u32_e32 vcc, 26, v122
	v_add_co_u32_e64 v122, s[0:1], 1, v122
	v_cndmask_b32_e32 v64, v64, v60, vcc
	v_add_u32_e32 v62, 4, v62
	v_addc_co_u32_e64 v63, s[0:1], 0, v63, s[0:1]
	s_waitcnt lgkmcnt(0)
	v_fmac_f32_e32 v121, v64, v65
	s_andn2_b64 exec, exec, s[10:11]
	s_cbranch_execnz .LBB90_285
; %bb.286:
	s_or_b64 exec, exec, s[10:11]
.LBB90_287:
	s_or_b64 exec, exec, s[8:9]
.LBB90_288:
	s_or_b64 exec, exec, s[6:7]
	v_mov_b32_e32 v41, 0
	ds_read_b32 v41, v41 offset:28
	s_waitcnt lgkmcnt(0)
	v_mul_f32_e32 v41, v121, v41
.LBB90_289:
	s_or_b64 exec, exec, s[4:5]
	v_cmp_lt_u32_e64 s[0:1], 6, v0
	ds_write_b32 v120, v40
	s_waitcnt lgkmcnt(0)
	; wave barrier
	s_and_saveexec_b64 s[4:5], s[0:1]
	s_cbranch_execz .LBB90_305
; %bb.290:
	s_andn2_b64 vcc, exec, s[58:59]
	s_cbranch_vccnz .LBB90_292
; %bb.291:
	v_cmp_eq_u32_e32 vcc, 1, v0
	v_cndmask_b32_e32 v121, v34, v35, vcc
	v_cmp_eq_u32_e32 vcc, 2, v0
	v_cndmask_b32_e32 v121, v121, v36, vcc
	;; [unrolled: 2-line block ×22, first 2 shown]
	v_cmp_eq_u32_e32 vcc, 23, v0
	ds_read_b32 v122, v120
	v_cndmask_b32_e32 v121, v121, v57, vcc
	v_cmp_eq_u32_e32 vcc, 24, v0
	v_cndmask_b32_e32 v121, v121, v58, vcc
	v_cmp_eq_u32_e32 vcc, 25, v0
	;; [unrolled: 2-line block ×3, first 2 shown]
	v_cndmask_b32_e32 v121, v121, v60, vcc
	s_waitcnt lgkmcnt(0)
	v_mul_f32_e32 v121, v121, v122
	s_cbranch_execz .LBB90_293
	s_branch .LBB90_294
.LBB90_292:
                                        ; implicit-def: $vgpr121
.LBB90_293:
	ds_read_b32 v121, v120
.LBB90_294:
	s_and_saveexec_b64 s[6:7], s[2:3]
	s_cbranch_execz .LBB90_304
; %bb.295:
	v_add_u32_e32 v122, -8, v0
	v_add_u32_e32 v123, -7, v0
	v_cmp_lt_u32_e32 vcc, 6, v122
	v_mov_b32_e32 v122, 7
	s_and_saveexec_b64 s[2:3], vcc
	s_cbranch_execz .LBB90_299
; %bb.296:
	v_and_b32_e32 v122, -8, v123
	v_sub_u32_e32 v124, 0, v122
	s_mov_b64 s[8:9], 14
	s_movk_i32 s12, 0x8c
	s_mov_b64 s[10:11], 0
.LBB90_297:                             ; =>This Inner Loop Header: Depth=1
	s_add_i32 s13, s8, -7
	v_mov_b32_e32 v122, s12
	s_add_i32 s14, s8, -6
	s_set_gpr_idx_on s13, gpr_idx(SRC0)
	v_mov_b32_e32 v131, v34
	s_set_gpr_idx_off
	ds_read2_b32 v[125:126], v122 offset1:1
	s_add_i32 s15, s8, -5
	s_set_gpr_idx_on s14, gpr_idx(SRC0)
	v_mov_b32_e32 v132, v34
	s_set_gpr_idx_off
	s_add_i32 s16, s8, -4
	s_set_gpr_idx_on s15, gpr_idx(SRC0)
	v_mov_b32_e32 v133, v34
	s_set_gpr_idx_off
	ds_read2_b32 v[127:128], v122 offset0:2 offset1:3
	s_add_i32 s17, s8, -3
	s_set_gpr_idx_on s16, gpr_idx(SRC0)
	v_mov_b32_e32 v134, v34
	s_set_gpr_idx_off
	s_add_i32 s18, s8, -2
	s_set_gpr_idx_on s17, gpr_idx(SRC0)
	v_mov_b32_e32 v135, v34
	s_set_gpr_idx_off
	ds_read2_b32 v[129:130], v122 offset0:4 offset1:5
	s_add_i32 s19, s8, -1
	s_waitcnt lgkmcnt(2)
	v_fmac_f32_e32 v121, v131, v125
	s_set_gpr_idx_on s18, gpr_idx(SRC0)
	v_mov_b32_e32 v131, v34
	s_set_gpr_idx_off
	v_fmac_f32_e32 v121, v132, v126
	s_set_gpr_idx_on s19, gpr_idx(SRC0)
	v_mov_b32_e32 v132, v34
	s_set_gpr_idx_off
	ds_read2_b32 v[125:126], v122 offset0:6 offset1:7
	s_waitcnt lgkmcnt(2)
	v_fmac_f32_e32 v121, v133, v127
	s_set_gpr_idx_on s8, gpr_idx(SRC0)
	v_mov_b32_e32 v127, v34
	s_set_gpr_idx_off
	v_fmac_f32_e32 v121, v134, v128
	s_add_u32 s8, s8, 8
	s_waitcnt lgkmcnt(1)
	v_fmac_f32_e32 v121, v135, v129
	v_add_u32_e32 v122, s8, v124
	v_fmac_f32_e32 v121, v131, v130
	s_addc_u32 s9, s9, 0
	s_add_i32 s12, s12, 32
	s_add_i32 s13, s8, -7
	v_cmp_eq_u32_e32 vcc, 14, v122
	s_waitcnt lgkmcnt(0)
	v_fmac_f32_e32 v121, v132, v125
	v_mov_b32_e32 v122, s13
	s_or_b64 s[10:11], vcc, s[10:11]
	v_fmac_f32_e32 v121, v127, v126
	s_andn2_b64 exec, exec, s[10:11]
	s_cbranch_execnz .LBB90_297
; %bb.298:
	s_or_b64 exec, exec, s[10:11]
.LBB90_299:
	s_or_b64 exec, exec, s[2:3]
	v_and_b32_e32 v61, 7, v123
	v_cmp_ne_u32_e32 vcc, 0, v61
	s_and_saveexec_b64 s[8:9], vcc
	s_cbranch_execz .LBB90_303
; %bb.300:
	v_mov_b32_e32 v62, 0x70
	v_lshl_add_u32 v62, v122, 2, v62
	v_mov_b32_e32 v63, 0
	s_mov_b64 s[10:11], 0
.LBB90_301:                             ; =>This Inner Loop Header: Depth=1
	v_cmp_eq_u32_e32 vcc, 1, v122
	v_cndmask_b32_e32 v64, v34, v35, vcc
	v_add_u32_e32 v61, -1, v61
	v_cmp_eq_u32_e32 vcc, 2, v122
	v_cndmask_b32_e32 v64, v64, v36, vcc
	v_cmp_eq_u32_e32 vcc, 0, v61
	v_cmp_eq_u32_e64 s[2:3], 3, v122
	v_cndmask_b32_e64 v64, v64, v37, s[2:3]
	s_or_b64 s[10:11], vcc, s[10:11]
	v_cmp_eq_u32_e32 vcc, 4, v122
	v_cndmask_b32_e32 v64, v64, v38, vcc
	v_cmp_eq_u32_e32 vcc, 5, v122
	v_cndmask_b32_e32 v64, v64, v39, vcc
	;; [unrolled: 2-line block ×18, first 2 shown]
	v_cmp_eq_u32_e32 vcc, 22, v122
	ds_read_b32 v65, v62
	v_cndmask_b32_e32 v64, v64, v56, vcc
	v_cmp_eq_u32_e32 vcc, 23, v122
	v_cndmask_b32_e32 v64, v64, v57, vcc
	v_cmp_eq_u32_e32 vcc, 24, v122
	v_cndmask_b32_e32 v64, v64, v58, vcc
	v_cmp_eq_u32_e32 vcc, 25, v122
	v_cndmask_b32_e32 v64, v64, v59, vcc
	v_cmp_eq_u32_e32 vcc, 26, v122
	v_add_co_u32_e64 v122, s[2:3], 1, v122
	v_cndmask_b32_e32 v64, v64, v60, vcc
	v_add_u32_e32 v62, 4, v62
	v_addc_co_u32_e64 v63, s[2:3], 0, v63, s[2:3]
	s_waitcnt lgkmcnt(0)
	v_fmac_f32_e32 v121, v64, v65
	s_andn2_b64 exec, exec, s[10:11]
	s_cbranch_execnz .LBB90_301
; %bb.302:
	s_or_b64 exec, exec, s[10:11]
.LBB90_303:
	s_or_b64 exec, exec, s[8:9]
.LBB90_304:
	s_or_b64 exec, exec, s[6:7]
	v_mov_b32_e32 v40, 0
	ds_read_b32 v40, v40 offset:24
	s_waitcnt lgkmcnt(0)
	v_mul_f32_e32 v40, v121, v40
.LBB90_305:
	s_or_b64 exec, exec, s[4:5]
	v_cmp_lt_u32_e64 s[2:3], 5, v0
	ds_write_b32 v120, v39
	s_waitcnt lgkmcnt(0)
	; wave barrier
	s_and_saveexec_b64 s[4:5], s[2:3]
	s_cbranch_execz .LBB90_321
; %bb.306:
	s_andn2_b64 vcc, exec, s[58:59]
	s_cbranch_vccnz .LBB90_308
; %bb.307:
	v_cmp_eq_u32_e32 vcc, 1, v0
	v_cndmask_b32_e32 v121, v34, v35, vcc
	v_cmp_eq_u32_e32 vcc, 2, v0
	v_cndmask_b32_e32 v121, v121, v36, vcc
	;; [unrolled: 2-line block ×22, first 2 shown]
	v_cmp_eq_u32_e32 vcc, 23, v0
	ds_read_b32 v122, v120
	v_cndmask_b32_e32 v121, v121, v57, vcc
	v_cmp_eq_u32_e32 vcc, 24, v0
	v_cndmask_b32_e32 v121, v121, v58, vcc
	v_cmp_eq_u32_e32 vcc, 25, v0
	v_cndmask_b32_e32 v121, v121, v59, vcc
	v_cmp_eq_u32_e32 vcc, 26, v0
	v_cndmask_b32_e32 v121, v121, v60, vcc
	s_waitcnt lgkmcnt(0)
	v_mul_f32_e32 v121, v121, v122
	s_cbranch_execz .LBB90_309
	s_branch .LBB90_310
.LBB90_308:
                                        ; implicit-def: $vgpr121
.LBB90_309:
	ds_read_b32 v121, v120
.LBB90_310:
	s_and_saveexec_b64 s[6:7], s[0:1]
	s_cbranch_execz .LBB90_320
; %bb.311:
	v_add_u32_e32 v124, -7, v0
	v_add_u32_e32 v123, -6, v0
	v_mov_b32_e32 v122, 6
	v_cmp_lt_u32_e32 vcc, 6, v124
	s_and_saveexec_b64 s[0:1], vcc
	s_cbranch_execz .LBB90_315
; %bb.312:
	v_and_b32_e32 v122, -8, v123
	v_sub_u32_e32 v124, 0, v122
	s_mov_b64 s[8:9], 13
	s_movk_i32 s12, 0x88
	s_mov_b64 s[10:11], 0
.LBB90_313:                             ; =>This Inner Loop Header: Depth=1
	s_add_i32 s13, s8, -7
	v_mov_b32_e32 v122, s12
	s_add_i32 s14, s8, -6
	s_set_gpr_idx_on s13, gpr_idx(SRC0)
	v_mov_b32_e32 v133, v34
	s_set_gpr_idx_off
	ds_read2_b64 v[125:128], v122 offset1:1
	s_add_i32 s15, s8, -5
	s_set_gpr_idx_on s14, gpr_idx(SRC0)
	v_mov_b32_e32 v134, v34
	s_set_gpr_idx_off
	s_add_i32 s16, s8, -4
	s_set_gpr_idx_on s15, gpr_idx(SRC0)
	v_mov_b32_e32 v135, v34
	s_set_gpr_idx_off
	s_add_i32 s17, s8, -3
	s_set_gpr_idx_on s16, gpr_idx(SRC0)
	v_mov_b32_e32 v136, v34
	s_set_gpr_idx_off
	s_add_i32 s18, s8, -2
	s_set_gpr_idx_on s17, gpr_idx(SRC0)
	v_mov_b32_e32 v137, v34
	s_set_gpr_idx_off
	ds_read2_b64 v[129:132], v122 offset0:2 offset1:3
	s_add_i32 s19, s8, -1
	s_waitcnt lgkmcnt(1)
	v_fmac_f32_e32 v121, v133, v125
	s_set_gpr_idx_on s18, gpr_idx(SRC0)
	v_mov_b32_e32 v125, v34
	s_set_gpr_idx_off
	v_fmac_f32_e32 v121, v134, v126
	s_set_gpr_idx_on s19, gpr_idx(SRC0)
	v_mov_b32_e32 v126, v34
	s_set_gpr_idx_off
	;; [unrolled: 4-line block ×3, first 2 shown]
	v_fmac_f32_e32 v121, v136, v128
	s_add_u32 s8, s8, 8
	s_waitcnt lgkmcnt(0)
	v_fmac_f32_e32 v121, v137, v129
	v_add_u32_e32 v122, s8, v124
	v_fmac_f32_e32 v121, v125, v130
	s_addc_u32 s9, s9, 0
	s_add_i32 s12, s12, 32
	s_add_i32 s13, s8, -7
	v_cmp_eq_u32_e32 vcc, 13, v122
	v_fmac_f32_e32 v121, v126, v131
	v_mov_b32_e32 v122, s13
	s_or_b64 s[10:11], vcc, s[10:11]
	v_fmac_f32_e32 v121, v127, v132
	s_andn2_b64 exec, exec, s[10:11]
	s_cbranch_execnz .LBB90_313
; %bb.314:
	s_or_b64 exec, exec, s[10:11]
.LBB90_315:
	s_or_b64 exec, exec, s[0:1]
	v_and_b32_e32 v61, 7, v123
	v_cmp_ne_u32_e32 vcc, 0, v61
	s_and_saveexec_b64 s[8:9], vcc
	s_cbranch_execz .LBB90_319
; %bb.316:
	v_mov_b32_e32 v62, 0x70
	v_lshl_add_u32 v62, v122, 2, v62
	v_mov_b32_e32 v63, 0
	s_mov_b64 s[10:11], 0
.LBB90_317:                             ; =>This Inner Loop Header: Depth=1
	v_cmp_eq_u32_e32 vcc, 1, v122
	v_cndmask_b32_e32 v64, v34, v35, vcc
	v_add_u32_e32 v61, -1, v61
	v_cmp_eq_u32_e32 vcc, 2, v122
	v_cndmask_b32_e32 v64, v64, v36, vcc
	v_cmp_eq_u32_e32 vcc, 0, v61
	v_cmp_eq_u32_e64 s[0:1], 3, v122
	v_cndmask_b32_e64 v64, v64, v37, s[0:1]
	s_or_b64 s[10:11], vcc, s[10:11]
	v_cmp_eq_u32_e32 vcc, 4, v122
	v_cndmask_b32_e32 v64, v64, v38, vcc
	v_cmp_eq_u32_e32 vcc, 5, v122
	v_cndmask_b32_e32 v64, v64, v39, vcc
	;; [unrolled: 2-line block ×18, first 2 shown]
	v_cmp_eq_u32_e32 vcc, 22, v122
	ds_read_b32 v65, v62
	v_cndmask_b32_e32 v64, v64, v56, vcc
	v_cmp_eq_u32_e32 vcc, 23, v122
	v_cndmask_b32_e32 v64, v64, v57, vcc
	v_cmp_eq_u32_e32 vcc, 24, v122
	;; [unrolled: 2-line block ×4, first 2 shown]
	v_add_co_u32_e64 v122, s[0:1], 1, v122
	v_cndmask_b32_e32 v64, v64, v60, vcc
	v_add_u32_e32 v62, 4, v62
	v_addc_co_u32_e64 v63, s[0:1], 0, v63, s[0:1]
	s_waitcnt lgkmcnt(0)
	v_fmac_f32_e32 v121, v64, v65
	s_andn2_b64 exec, exec, s[10:11]
	s_cbranch_execnz .LBB90_317
; %bb.318:
	s_or_b64 exec, exec, s[10:11]
.LBB90_319:
	s_or_b64 exec, exec, s[8:9]
.LBB90_320:
	s_or_b64 exec, exec, s[6:7]
	v_mov_b32_e32 v39, 0
	ds_read_b32 v39, v39 offset:20
	s_waitcnt lgkmcnt(0)
	v_mul_f32_e32 v39, v121, v39
.LBB90_321:
	s_or_b64 exec, exec, s[4:5]
	v_cmp_lt_u32_e64 s[0:1], 4, v0
	ds_write_b32 v120, v38
	s_waitcnt lgkmcnt(0)
	; wave barrier
	s_and_saveexec_b64 s[4:5], s[0:1]
	s_cbranch_execz .LBB90_337
; %bb.322:
	s_andn2_b64 vcc, exec, s[58:59]
	s_cbranch_vccnz .LBB90_324
; %bb.323:
	v_cmp_eq_u32_e32 vcc, 1, v0
	v_cndmask_b32_e32 v121, v34, v35, vcc
	v_cmp_eq_u32_e32 vcc, 2, v0
	v_cndmask_b32_e32 v121, v121, v36, vcc
	;; [unrolled: 2-line block ×22, first 2 shown]
	v_cmp_eq_u32_e32 vcc, 23, v0
	ds_read_b32 v122, v120
	v_cndmask_b32_e32 v121, v121, v57, vcc
	v_cmp_eq_u32_e32 vcc, 24, v0
	v_cndmask_b32_e32 v121, v121, v58, vcc
	v_cmp_eq_u32_e32 vcc, 25, v0
	;; [unrolled: 2-line block ×3, first 2 shown]
	v_cndmask_b32_e32 v121, v121, v60, vcc
	s_waitcnt lgkmcnt(0)
	v_mul_f32_e32 v121, v121, v122
	s_cbranch_execz .LBB90_325
	s_branch .LBB90_326
.LBB90_324:
                                        ; implicit-def: $vgpr121
.LBB90_325:
	ds_read_b32 v121, v120
.LBB90_326:
	s_and_saveexec_b64 s[6:7], s[2:3]
	s_cbranch_execz .LBB90_336
; %bb.327:
	v_add_u32_e32 v122, -6, v0
	v_add_u32_e32 v123, -5, v0
	v_cmp_lt_u32_e32 vcc, 6, v122
	v_mov_b32_e32 v122, 5
	s_and_saveexec_b64 s[2:3], vcc
	s_cbranch_execz .LBB90_331
; %bb.328:
	v_and_b32_e32 v122, -8, v123
	v_sub_u32_e32 v124, 0, v122
	s_mov_b64 s[8:9], 12
	s_movk_i32 s12, 0x84
	s_mov_b64 s[10:11], 0
.LBB90_329:                             ; =>This Inner Loop Header: Depth=1
	s_add_i32 s13, s8, -7
	v_mov_b32_e32 v122, s12
	s_add_i32 s14, s8, -6
	s_set_gpr_idx_on s13, gpr_idx(SRC0)
	v_mov_b32_e32 v131, v34
	s_set_gpr_idx_off
	ds_read2_b32 v[125:126], v122 offset1:1
	s_add_i32 s15, s8, -5
	s_set_gpr_idx_on s14, gpr_idx(SRC0)
	v_mov_b32_e32 v132, v34
	s_set_gpr_idx_off
	s_add_i32 s16, s8, -4
	s_set_gpr_idx_on s15, gpr_idx(SRC0)
	v_mov_b32_e32 v133, v34
	s_set_gpr_idx_off
	ds_read2_b32 v[127:128], v122 offset0:2 offset1:3
	s_add_i32 s17, s8, -3
	s_set_gpr_idx_on s16, gpr_idx(SRC0)
	v_mov_b32_e32 v134, v34
	s_set_gpr_idx_off
	s_add_i32 s18, s8, -2
	s_set_gpr_idx_on s17, gpr_idx(SRC0)
	v_mov_b32_e32 v135, v34
	s_set_gpr_idx_off
	ds_read2_b32 v[129:130], v122 offset0:4 offset1:5
	s_add_i32 s19, s8, -1
	s_waitcnt lgkmcnt(2)
	v_fmac_f32_e32 v121, v131, v125
	s_set_gpr_idx_on s18, gpr_idx(SRC0)
	v_mov_b32_e32 v131, v34
	s_set_gpr_idx_off
	v_fmac_f32_e32 v121, v132, v126
	s_set_gpr_idx_on s19, gpr_idx(SRC0)
	v_mov_b32_e32 v132, v34
	s_set_gpr_idx_off
	ds_read2_b32 v[125:126], v122 offset0:6 offset1:7
	s_waitcnt lgkmcnt(2)
	v_fmac_f32_e32 v121, v133, v127
	s_set_gpr_idx_on s8, gpr_idx(SRC0)
	v_mov_b32_e32 v127, v34
	s_set_gpr_idx_off
	v_fmac_f32_e32 v121, v134, v128
	s_add_u32 s8, s8, 8
	s_waitcnt lgkmcnt(1)
	v_fmac_f32_e32 v121, v135, v129
	v_add_u32_e32 v122, s8, v124
	v_fmac_f32_e32 v121, v131, v130
	s_addc_u32 s9, s9, 0
	s_add_i32 s12, s12, 32
	s_add_i32 s13, s8, -7
	v_cmp_eq_u32_e32 vcc, 12, v122
	s_waitcnt lgkmcnt(0)
	v_fmac_f32_e32 v121, v132, v125
	v_mov_b32_e32 v122, s13
	s_or_b64 s[10:11], vcc, s[10:11]
	v_fmac_f32_e32 v121, v127, v126
	s_andn2_b64 exec, exec, s[10:11]
	s_cbranch_execnz .LBB90_329
; %bb.330:
	s_or_b64 exec, exec, s[10:11]
.LBB90_331:
	s_or_b64 exec, exec, s[2:3]
	v_and_b32_e32 v61, 7, v123
	v_cmp_ne_u32_e32 vcc, 0, v61
	s_and_saveexec_b64 s[8:9], vcc
	s_cbranch_execz .LBB90_335
; %bb.332:
	v_mov_b32_e32 v62, 0x70
	v_lshl_add_u32 v62, v122, 2, v62
	v_mov_b32_e32 v63, 0
	s_mov_b64 s[10:11], 0
.LBB90_333:                             ; =>This Inner Loop Header: Depth=1
	v_cmp_eq_u32_e32 vcc, 1, v122
	v_cndmask_b32_e32 v64, v34, v35, vcc
	v_add_u32_e32 v61, -1, v61
	v_cmp_eq_u32_e32 vcc, 2, v122
	v_cndmask_b32_e32 v64, v64, v36, vcc
	v_cmp_eq_u32_e32 vcc, 0, v61
	v_cmp_eq_u32_e64 s[2:3], 3, v122
	v_cndmask_b32_e64 v64, v64, v37, s[2:3]
	s_or_b64 s[10:11], vcc, s[10:11]
	v_cmp_eq_u32_e32 vcc, 4, v122
	v_cndmask_b32_e32 v64, v64, v38, vcc
	v_cmp_eq_u32_e32 vcc, 5, v122
	v_cndmask_b32_e32 v64, v64, v39, vcc
	;; [unrolled: 2-line block ×18, first 2 shown]
	v_cmp_eq_u32_e32 vcc, 22, v122
	ds_read_b32 v65, v62
	v_cndmask_b32_e32 v64, v64, v56, vcc
	v_cmp_eq_u32_e32 vcc, 23, v122
	v_cndmask_b32_e32 v64, v64, v57, vcc
	v_cmp_eq_u32_e32 vcc, 24, v122
	;; [unrolled: 2-line block ×4, first 2 shown]
	v_add_co_u32_e64 v122, s[2:3], 1, v122
	v_cndmask_b32_e32 v64, v64, v60, vcc
	v_add_u32_e32 v62, 4, v62
	v_addc_co_u32_e64 v63, s[2:3], 0, v63, s[2:3]
	s_waitcnt lgkmcnt(0)
	v_fmac_f32_e32 v121, v64, v65
	s_andn2_b64 exec, exec, s[10:11]
	s_cbranch_execnz .LBB90_333
; %bb.334:
	s_or_b64 exec, exec, s[10:11]
.LBB90_335:
	s_or_b64 exec, exec, s[8:9]
.LBB90_336:
	s_or_b64 exec, exec, s[6:7]
	v_mov_b32_e32 v38, 0
	ds_read_b32 v38, v38 offset:16
	s_waitcnt lgkmcnt(0)
	v_mul_f32_e32 v38, v121, v38
.LBB90_337:
	s_or_b64 exec, exec, s[4:5]
	v_cmp_lt_u32_e64 s[2:3], 3, v0
	ds_write_b32 v120, v37
	s_waitcnt lgkmcnt(0)
	; wave barrier
	s_and_saveexec_b64 s[4:5], s[2:3]
	s_cbranch_execz .LBB90_353
; %bb.338:
	s_andn2_b64 vcc, exec, s[58:59]
	s_cbranch_vccnz .LBB90_340
; %bb.339:
	v_cmp_eq_u32_e32 vcc, 1, v0
	v_cndmask_b32_e32 v121, v34, v35, vcc
	v_cmp_eq_u32_e32 vcc, 2, v0
	v_cndmask_b32_e32 v121, v121, v36, vcc
	;; [unrolled: 2-line block ×22, first 2 shown]
	v_cmp_eq_u32_e32 vcc, 23, v0
	ds_read_b32 v122, v120
	v_cndmask_b32_e32 v121, v121, v57, vcc
	v_cmp_eq_u32_e32 vcc, 24, v0
	v_cndmask_b32_e32 v121, v121, v58, vcc
	v_cmp_eq_u32_e32 vcc, 25, v0
	;; [unrolled: 2-line block ×3, first 2 shown]
	v_cndmask_b32_e32 v121, v121, v60, vcc
	s_waitcnt lgkmcnt(0)
	v_mul_f32_e32 v121, v121, v122
	s_cbranch_execz .LBB90_341
	s_branch .LBB90_342
.LBB90_340:
                                        ; implicit-def: $vgpr121
.LBB90_341:
	ds_read_b32 v121, v120
.LBB90_342:
	s_and_saveexec_b64 s[6:7], s[0:1]
	s_cbranch_execz .LBB90_352
; %bb.343:
	v_add_u32_e32 v122, -5, v0
	v_add_u32_e32 v123, -4, v0
	v_cmp_lt_u32_e32 vcc, 6, v122
	v_mov_b32_e32 v122, 4
	s_and_saveexec_b64 s[0:1], vcc
	s_cbranch_execz .LBB90_347
; %bb.344:
	v_and_b32_e32 v122, -8, v123
	v_sub_u32_e32 v124, 0, v122
	s_mov_b64 s[8:9], 5
	s_movk_i32 s12, 0x80
	s_mov_b64 s[10:11], 0
.LBB90_345:                             ; =>This Inner Loop Header: Depth=1
	s_add_i32 s13, s8, -1
	v_mov_b32_e32 v122, s12
	s_set_gpr_idx_on s13, gpr_idx(SRC0)
	v_mov_b32_e32 v133, v34
	s_set_gpr_idx_off
	s_add_i32 s14, s8, 1
	ds_read_b128 v[125:128], v122
	ds_read_b128 v[129:132], v122 offset:16
	s_set_gpr_idx_on s8, gpr_idx(SRC0)
	v_mov_b32_e32 v134, v34
	s_set_gpr_idx_off
	s_add_i32 s15, s8, 2
	s_set_gpr_idx_on s14, gpr_idx(SRC0)
	v_mov_b32_e32 v135, v34
	s_set_gpr_idx_off
	s_add_i32 s16, s8, 3
	s_set_gpr_idx_on s15, gpr_idx(SRC0)
	v_mov_b32_e32 v136, v34
	s_set_gpr_idx_off
	s_add_i32 s17, s8, 4
	s_set_gpr_idx_on s16, gpr_idx(SRC0)
	v_mov_b32_e32 v137, v34
	s_set_gpr_idx_off
	s_add_i32 s18, s8, 5
	s_waitcnt lgkmcnt(1)
	v_fmac_f32_e32 v121, v133, v125
	s_set_gpr_idx_on s17, gpr_idx(SRC0)
	v_mov_b32_e32 v125, v34
	s_set_gpr_idx_off
	s_add_i32 s19, s8, 6
	v_fmac_f32_e32 v121, v134, v126
	s_set_gpr_idx_on s18, gpr_idx(SRC0)
	v_mov_b32_e32 v126, v34
	s_set_gpr_idx_off
	v_fmac_f32_e32 v121, v135, v127
	s_set_gpr_idx_on s19, gpr_idx(SRC0)
	v_mov_b32_e32 v127, v34
	s_set_gpr_idx_off
	v_fmac_f32_e32 v121, v136, v128
	s_add_u32 s8, s8, 8
	s_waitcnt lgkmcnt(0)
	v_fmac_f32_e32 v121, v137, v129
	v_add_u32_e32 v122, s8, v124
	v_fmac_f32_e32 v121, v125, v130
	s_addc_u32 s9, s9, 0
	s_add_i32 s12, s12, 32
	s_add_i32 s13, s8, -1
	v_cmp_eq_u32_e32 vcc, 5, v122
	v_fmac_f32_e32 v121, v126, v131
	v_mov_b32_e32 v122, s13
	s_or_b64 s[10:11], vcc, s[10:11]
	v_fmac_f32_e32 v121, v127, v132
	s_andn2_b64 exec, exec, s[10:11]
	s_cbranch_execnz .LBB90_345
; %bb.346:
	s_or_b64 exec, exec, s[10:11]
.LBB90_347:
	s_or_b64 exec, exec, s[0:1]
	v_and_b32_e32 v61, 7, v123
	v_cmp_ne_u32_e32 vcc, 0, v61
	s_and_saveexec_b64 s[8:9], vcc
	s_cbranch_execz .LBB90_351
; %bb.348:
	v_mov_b32_e32 v62, 0x70
	v_lshl_add_u32 v62, v122, 2, v62
	v_mov_b32_e32 v63, 0
	s_mov_b64 s[10:11], 0
.LBB90_349:                             ; =>This Inner Loop Header: Depth=1
	v_cmp_eq_u32_e32 vcc, 1, v122
	v_cndmask_b32_e32 v64, v34, v35, vcc
	v_add_u32_e32 v61, -1, v61
	v_cmp_eq_u32_e32 vcc, 2, v122
	v_cndmask_b32_e32 v64, v64, v36, vcc
	v_cmp_eq_u32_e32 vcc, 0, v61
	v_cmp_eq_u32_e64 s[0:1], 3, v122
	v_cndmask_b32_e64 v64, v64, v37, s[0:1]
	s_or_b64 s[10:11], vcc, s[10:11]
	v_cmp_eq_u32_e32 vcc, 4, v122
	v_cndmask_b32_e32 v64, v64, v38, vcc
	v_cmp_eq_u32_e32 vcc, 5, v122
	v_cndmask_b32_e32 v64, v64, v39, vcc
	;; [unrolled: 2-line block ×18, first 2 shown]
	v_cmp_eq_u32_e32 vcc, 22, v122
	ds_read_b32 v65, v62
	v_cndmask_b32_e32 v64, v64, v56, vcc
	v_cmp_eq_u32_e32 vcc, 23, v122
	v_cndmask_b32_e32 v64, v64, v57, vcc
	v_cmp_eq_u32_e32 vcc, 24, v122
	;; [unrolled: 2-line block ×4, first 2 shown]
	v_add_co_u32_e64 v122, s[0:1], 1, v122
	v_cndmask_b32_e32 v64, v64, v60, vcc
	v_add_u32_e32 v62, 4, v62
	v_addc_co_u32_e64 v63, s[0:1], 0, v63, s[0:1]
	s_waitcnt lgkmcnt(0)
	v_fmac_f32_e32 v121, v64, v65
	s_andn2_b64 exec, exec, s[10:11]
	s_cbranch_execnz .LBB90_349
; %bb.350:
	s_or_b64 exec, exec, s[10:11]
.LBB90_351:
	s_or_b64 exec, exec, s[8:9]
.LBB90_352:
	s_or_b64 exec, exec, s[6:7]
	v_mov_b32_e32 v37, 0
	ds_read_b32 v37, v37 offset:12
	s_waitcnt lgkmcnt(0)
	v_mul_f32_e32 v37, v121, v37
.LBB90_353:
	s_or_b64 exec, exec, s[4:5]
	v_cmp_lt_u32_e64 s[0:1], 2, v0
	ds_write_b32 v120, v36
	s_waitcnt lgkmcnt(0)
	; wave barrier
	s_and_saveexec_b64 s[4:5], s[0:1]
	s_cbranch_execz .LBB90_369
; %bb.354:
	s_andn2_b64 vcc, exec, s[58:59]
	s_cbranch_vccnz .LBB90_356
; %bb.355:
	v_cmp_eq_u32_e32 vcc, 1, v0
	v_cndmask_b32_e32 v121, v34, v35, vcc
	v_cmp_eq_u32_e32 vcc, 2, v0
	v_cndmask_b32_e32 v121, v121, v36, vcc
	;; [unrolled: 2-line block ×22, first 2 shown]
	v_cmp_eq_u32_e32 vcc, 23, v0
	ds_read_b32 v122, v120
	v_cndmask_b32_e32 v121, v121, v57, vcc
	v_cmp_eq_u32_e32 vcc, 24, v0
	v_cndmask_b32_e32 v121, v121, v58, vcc
	v_cmp_eq_u32_e32 vcc, 25, v0
	;; [unrolled: 2-line block ×3, first 2 shown]
	v_cndmask_b32_e32 v121, v121, v60, vcc
	s_waitcnt lgkmcnt(0)
	v_mul_f32_e32 v121, v121, v122
	s_cbranch_execz .LBB90_357
	s_branch .LBB90_358
.LBB90_356:
                                        ; implicit-def: $vgpr121
.LBB90_357:
	ds_read_b32 v121, v120
.LBB90_358:
	s_and_saveexec_b64 s[6:7], s[2:3]
	s_cbranch_execz .LBB90_368
; %bb.359:
	v_add_u32_e32 v122, -4, v0
	v_add_u32_e32 v123, -3, v0
	v_cmp_lt_u32_e32 vcc, 6, v122
	v_mov_b32_e32 v122, 3
	s_and_saveexec_b64 s[2:3], vcc
	s_cbranch_execz .LBB90_363
; %bb.360:
	v_and_b32_e32 v122, -8, v123
	v_sub_u32_e32 v124, 0, v122
	s_mov_b64 s[8:9], 10
	s_movk_i32 s12, 0x7c
	s_mov_b64 s[10:11], 0
.LBB90_361:                             ; =>This Inner Loop Header: Depth=1
	s_add_i32 s13, s8, -7
	v_mov_b32_e32 v122, s12
	s_add_i32 s14, s8, -6
	s_set_gpr_idx_on s13, gpr_idx(SRC0)
	v_mov_b32_e32 v131, v34
	s_set_gpr_idx_off
	ds_read2_b32 v[125:126], v122 offset1:1
	s_add_i32 s15, s8, -5
	s_set_gpr_idx_on s14, gpr_idx(SRC0)
	v_mov_b32_e32 v132, v34
	s_set_gpr_idx_off
	s_add_i32 s16, s8, -4
	s_set_gpr_idx_on s15, gpr_idx(SRC0)
	v_mov_b32_e32 v133, v34
	s_set_gpr_idx_off
	ds_read2_b32 v[127:128], v122 offset0:2 offset1:3
	s_add_i32 s17, s8, -3
	s_set_gpr_idx_on s16, gpr_idx(SRC0)
	v_mov_b32_e32 v134, v34
	s_set_gpr_idx_off
	s_add_i32 s18, s8, -2
	s_set_gpr_idx_on s17, gpr_idx(SRC0)
	v_mov_b32_e32 v135, v34
	s_set_gpr_idx_off
	ds_read2_b32 v[129:130], v122 offset0:4 offset1:5
	s_add_i32 s19, s8, -1
	s_waitcnt lgkmcnt(2)
	v_fmac_f32_e32 v121, v131, v125
	s_set_gpr_idx_on s18, gpr_idx(SRC0)
	v_mov_b32_e32 v131, v34
	s_set_gpr_idx_off
	v_fmac_f32_e32 v121, v132, v126
	s_set_gpr_idx_on s19, gpr_idx(SRC0)
	v_mov_b32_e32 v132, v34
	s_set_gpr_idx_off
	ds_read2_b32 v[125:126], v122 offset0:6 offset1:7
	s_waitcnt lgkmcnt(2)
	v_fmac_f32_e32 v121, v133, v127
	s_set_gpr_idx_on s8, gpr_idx(SRC0)
	v_mov_b32_e32 v127, v34
	s_set_gpr_idx_off
	v_fmac_f32_e32 v121, v134, v128
	s_add_u32 s8, s8, 8
	s_waitcnt lgkmcnt(1)
	v_fmac_f32_e32 v121, v135, v129
	v_add_u32_e32 v122, s8, v124
	v_fmac_f32_e32 v121, v131, v130
	s_addc_u32 s9, s9, 0
	s_add_i32 s12, s12, 32
	s_add_i32 s13, s8, -7
	v_cmp_eq_u32_e32 vcc, 10, v122
	s_waitcnt lgkmcnt(0)
	v_fmac_f32_e32 v121, v132, v125
	v_mov_b32_e32 v122, s13
	s_or_b64 s[10:11], vcc, s[10:11]
	v_fmac_f32_e32 v121, v127, v126
	s_andn2_b64 exec, exec, s[10:11]
	s_cbranch_execnz .LBB90_361
; %bb.362:
	s_or_b64 exec, exec, s[10:11]
.LBB90_363:
	s_or_b64 exec, exec, s[2:3]
	v_and_b32_e32 v61, 7, v123
	v_cmp_ne_u32_e32 vcc, 0, v61
	s_and_saveexec_b64 s[8:9], vcc
	s_cbranch_execz .LBB90_367
; %bb.364:
	v_mov_b32_e32 v62, 0x70
	v_lshl_add_u32 v62, v122, 2, v62
	v_mov_b32_e32 v63, 0
	s_mov_b64 s[10:11], 0
.LBB90_365:                             ; =>This Inner Loop Header: Depth=1
	v_cmp_eq_u32_e32 vcc, 1, v122
	v_cndmask_b32_e32 v64, v34, v35, vcc
	v_add_u32_e32 v61, -1, v61
	v_cmp_eq_u32_e32 vcc, 2, v122
	v_cndmask_b32_e32 v64, v64, v36, vcc
	v_cmp_eq_u32_e32 vcc, 0, v61
	v_cmp_eq_u32_e64 s[2:3], 3, v122
	v_cndmask_b32_e64 v64, v64, v37, s[2:3]
	s_or_b64 s[10:11], vcc, s[10:11]
	v_cmp_eq_u32_e32 vcc, 4, v122
	v_cndmask_b32_e32 v64, v64, v38, vcc
	v_cmp_eq_u32_e32 vcc, 5, v122
	v_cndmask_b32_e32 v64, v64, v39, vcc
	;; [unrolled: 2-line block ×18, first 2 shown]
	v_cmp_eq_u32_e32 vcc, 22, v122
	ds_read_b32 v65, v62
	v_cndmask_b32_e32 v64, v64, v56, vcc
	v_cmp_eq_u32_e32 vcc, 23, v122
	v_cndmask_b32_e32 v64, v64, v57, vcc
	v_cmp_eq_u32_e32 vcc, 24, v122
	v_cndmask_b32_e32 v64, v64, v58, vcc
	v_cmp_eq_u32_e32 vcc, 25, v122
	v_cndmask_b32_e32 v64, v64, v59, vcc
	v_cmp_eq_u32_e32 vcc, 26, v122
	v_add_co_u32_e64 v122, s[2:3], 1, v122
	v_cndmask_b32_e32 v64, v64, v60, vcc
	v_add_u32_e32 v62, 4, v62
	v_addc_co_u32_e64 v63, s[2:3], 0, v63, s[2:3]
	s_waitcnt lgkmcnt(0)
	v_fmac_f32_e32 v121, v64, v65
	s_andn2_b64 exec, exec, s[10:11]
	s_cbranch_execnz .LBB90_365
; %bb.366:
	s_or_b64 exec, exec, s[10:11]
.LBB90_367:
	s_or_b64 exec, exec, s[8:9]
.LBB90_368:
	s_or_b64 exec, exec, s[6:7]
	v_mov_b32_e32 v36, 0
	ds_read_b32 v36, v36 offset:8
	s_waitcnt lgkmcnt(0)
	v_mul_f32_e32 v36, v121, v36
.LBB90_369:
	s_or_b64 exec, exec, s[4:5]
	v_cmp_lt_u32_e64 s[2:3], 1, v0
	ds_write_b32 v120, v35
	s_waitcnt lgkmcnt(0)
	; wave barrier
	s_and_saveexec_b64 s[4:5], s[2:3]
	s_cbranch_execz .LBB90_385
; %bb.370:
	s_andn2_b64 vcc, exec, s[58:59]
	s_cbranch_vccnz .LBB90_372
; %bb.371:
	v_cmp_eq_u32_e32 vcc, 1, v0
	v_cndmask_b32_e32 v121, v34, v35, vcc
	v_cmp_eq_u32_e32 vcc, 2, v0
	v_cndmask_b32_e32 v121, v121, v36, vcc
	;; [unrolled: 2-line block ×22, first 2 shown]
	v_cmp_eq_u32_e32 vcc, 23, v0
	ds_read_b32 v122, v120
	v_cndmask_b32_e32 v121, v121, v57, vcc
	v_cmp_eq_u32_e32 vcc, 24, v0
	v_cndmask_b32_e32 v121, v121, v58, vcc
	v_cmp_eq_u32_e32 vcc, 25, v0
	;; [unrolled: 2-line block ×3, first 2 shown]
	v_cndmask_b32_e32 v121, v121, v60, vcc
	s_waitcnt lgkmcnt(0)
	v_mul_f32_e32 v121, v121, v122
	s_cbranch_execz .LBB90_373
	s_branch .LBB90_374
.LBB90_372:
                                        ; implicit-def: $vgpr121
.LBB90_373:
	ds_read_b32 v121, v120
.LBB90_374:
	s_and_saveexec_b64 s[6:7], s[0:1]
	s_cbranch_execz .LBB90_384
; %bb.375:
	v_add_u32_e32 v122, -3, v0
	v_add_u32_e32 v123, -2, v0
	v_cmp_lt_u32_e32 vcc, 6, v122
	v_mov_b32_e32 v122, 2
	s_and_saveexec_b64 s[0:1], vcc
	s_cbranch_execz .LBB90_379
; %bb.376:
	v_and_b32_e32 v122, -8, v123
	v_sub_u32_e32 v124, 0, v122
	s_mov_b64 s[8:9], 9
	s_movk_i32 s12, 0x78
	s_mov_b64 s[10:11], 0
.LBB90_377:                             ; =>This Inner Loop Header: Depth=1
	s_add_i32 s13, s8, -7
	v_mov_b32_e32 v122, s12
	s_add_i32 s14, s8, -6
	s_set_gpr_idx_on s13, gpr_idx(SRC0)
	v_mov_b32_e32 v133, v34
	s_set_gpr_idx_off
	ds_read2_b64 v[125:128], v122 offset1:1
	s_add_i32 s15, s8, -5
	s_set_gpr_idx_on s14, gpr_idx(SRC0)
	v_mov_b32_e32 v134, v34
	s_set_gpr_idx_off
	s_add_i32 s16, s8, -4
	s_set_gpr_idx_on s15, gpr_idx(SRC0)
	v_mov_b32_e32 v135, v34
	s_set_gpr_idx_off
	;; [unrolled: 4-line block ×4, first 2 shown]
	ds_read2_b64 v[129:132], v122 offset0:2 offset1:3
	s_add_i32 s19, s8, -1
	s_waitcnt lgkmcnt(1)
	v_fmac_f32_e32 v121, v133, v125
	s_set_gpr_idx_on s18, gpr_idx(SRC0)
	v_mov_b32_e32 v125, v34
	s_set_gpr_idx_off
	v_fmac_f32_e32 v121, v134, v126
	s_set_gpr_idx_on s19, gpr_idx(SRC0)
	v_mov_b32_e32 v126, v34
	s_set_gpr_idx_off
	;; [unrolled: 4-line block ×3, first 2 shown]
	v_fmac_f32_e32 v121, v136, v128
	s_add_u32 s8, s8, 8
	s_waitcnt lgkmcnt(0)
	v_fmac_f32_e32 v121, v137, v129
	v_add_u32_e32 v122, s8, v124
	v_fmac_f32_e32 v121, v125, v130
	s_addc_u32 s9, s9, 0
	s_add_i32 s12, s12, 32
	s_add_i32 s13, s8, -7
	v_cmp_eq_u32_e32 vcc, 9, v122
	v_fmac_f32_e32 v121, v126, v131
	v_mov_b32_e32 v122, s13
	s_or_b64 s[10:11], vcc, s[10:11]
	v_fmac_f32_e32 v121, v127, v132
	s_andn2_b64 exec, exec, s[10:11]
	s_cbranch_execnz .LBB90_377
; %bb.378:
	s_or_b64 exec, exec, s[10:11]
.LBB90_379:
	s_or_b64 exec, exec, s[0:1]
	v_and_b32_e32 v61, 7, v123
	v_cmp_ne_u32_e32 vcc, 0, v61
	s_and_saveexec_b64 s[8:9], vcc
	s_cbranch_execz .LBB90_383
; %bb.380:
	v_mov_b32_e32 v62, 0x70
	v_lshl_add_u32 v62, v122, 2, v62
	v_mov_b32_e32 v63, 0
	s_mov_b64 s[10:11], 0
.LBB90_381:                             ; =>This Inner Loop Header: Depth=1
	v_cmp_eq_u32_e32 vcc, 1, v122
	v_cndmask_b32_e32 v64, v34, v35, vcc
	v_add_u32_e32 v61, -1, v61
	v_cmp_eq_u32_e32 vcc, 2, v122
	v_cndmask_b32_e32 v64, v64, v36, vcc
	v_cmp_eq_u32_e32 vcc, 0, v61
	v_cmp_eq_u32_e64 s[0:1], 3, v122
	v_cndmask_b32_e64 v64, v64, v37, s[0:1]
	s_or_b64 s[10:11], vcc, s[10:11]
	v_cmp_eq_u32_e32 vcc, 4, v122
	v_cndmask_b32_e32 v64, v64, v38, vcc
	v_cmp_eq_u32_e32 vcc, 5, v122
	v_cndmask_b32_e32 v64, v64, v39, vcc
	;; [unrolled: 2-line block ×18, first 2 shown]
	v_cmp_eq_u32_e32 vcc, 22, v122
	ds_read_b32 v65, v62
	v_cndmask_b32_e32 v64, v64, v56, vcc
	v_cmp_eq_u32_e32 vcc, 23, v122
	v_cndmask_b32_e32 v64, v64, v57, vcc
	v_cmp_eq_u32_e32 vcc, 24, v122
	;; [unrolled: 2-line block ×4, first 2 shown]
	v_add_co_u32_e64 v122, s[0:1], 1, v122
	v_cndmask_b32_e32 v64, v64, v60, vcc
	v_add_u32_e32 v62, 4, v62
	v_addc_co_u32_e64 v63, s[0:1], 0, v63, s[0:1]
	s_waitcnt lgkmcnt(0)
	v_fmac_f32_e32 v121, v64, v65
	s_andn2_b64 exec, exec, s[10:11]
	s_cbranch_execnz .LBB90_381
; %bb.382:
	s_or_b64 exec, exec, s[10:11]
.LBB90_383:
	s_or_b64 exec, exec, s[8:9]
.LBB90_384:
	s_or_b64 exec, exec, s[6:7]
	v_mov_b32_e32 v35, 0
	ds_read_b32 v35, v35 offset:4
	s_waitcnt lgkmcnt(0)
	v_mul_f32_e32 v35, v121, v35
.LBB90_385:
	s_or_b64 exec, exec, s[4:5]
	v_cmp_ne_u32_e32 vcc, 0, v0
	ds_write_b32 v120, v34
	s_waitcnt lgkmcnt(0)
	; wave barrier
	s_and_saveexec_b64 s[4:5], vcc
	s_cbranch_execz .LBB90_401
; %bb.386:
	s_andn2_b64 vcc, exec, s[58:59]
	s_cbranch_vccnz .LBB90_388
; %bb.387:
	v_cmp_eq_u32_e32 vcc, 1, v0
	v_cndmask_b32_e32 v121, v34, v35, vcc
	v_cmp_eq_u32_e32 vcc, 2, v0
	v_cndmask_b32_e32 v121, v121, v36, vcc
	;; [unrolled: 2-line block ×22, first 2 shown]
	v_cmp_eq_u32_e32 vcc, 23, v0
	ds_read_b32 v122, v120
	v_cndmask_b32_e32 v121, v121, v57, vcc
	v_cmp_eq_u32_e32 vcc, 24, v0
	v_cndmask_b32_e32 v121, v121, v58, vcc
	v_cmp_eq_u32_e32 vcc, 25, v0
	;; [unrolled: 2-line block ×3, first 2 shown]
	v_cndmask_b32_e32 v121, v121, v60, vcc
	s_waitcnt lgkmcnt(0)
	v_mul_f32_e32 v121, v121, v122
	s_cbranch_execz .LBB90_389
	s_branch .LBB90_390
.LBB90_388:
                                        ; implicit-def: $vgpr121
.LBB90_389:
	ds_read_b32 v121, v120
.LBB90_390:
	s_and_saveexec_b64 s[6:7], s[2:3]
	s_cbranch_execz .LBB90_400
; %bb.391:
	v_add_u32_e32 v122, -2, v0
	v_add_u32_e32 v123, -1, v0
	v_cmp_lt_u32_e32 vcc, 6, v122
	v_mov_b32_e32 v122, 1
	s_and_saveexec_b64 s[0:1], vcc
	s_cbranch_execz .LBB90_395
; %bb.392:
	v_and_b32_e32 v122, -8, v123
	v_sub_u32_e32 v124, 0, v122
	s_mov_b64 s[2:3], 8
	s_movk_i32 s10, 0x74
	s_mov_b64 s[8:9], 0
.LBB90_393:                             ; =>This Inner Loop Header: Depth=1
	s_add_i32 s11, s2, -7
	v_mov_b32_e32 v122, s10
	s_add_i32 s12, s2, -6
	s_set_gpr_idx_on s11, gpr_idx(SRC0)
	v_mov_b32_e32 v131, v34
	s_set_gpr_idx_off
	ds_read2_b32 v[125:126], v122 offset1:1
	s_add_i32 s13, s2, -5
	s_set_gpr_idx_on s12, gpr_idx(SRC0)
	v_mov_b32_e32 v132, v34
	s_set_gpr_idx_off
	s_add_i32 s14, s2, -4
	s_set_gpr_idx_on s13, gpr_idx(SRC0)
	v_mov_b32_e32 v133, v34
	s_set_gpr_idx_off
	ds_read2_b32 v[127:128], v122 offset0:2 offset1:3
	s_add_i32 s15, s2, -3
	s_set_gpr_idx_on s14, gpr_idx(SRC0)
	v_mov_b32_e32 v134, v34
	s_set_gpr_idx_off
	s_add_i32 s16, s2, -2
	s_set_gpr_idx_on s15, gpr_idx(SRC0)
	v_mov_b32_e32 v135, v34
	s_set_gpr_idx_off
	ds_read2_b32 v[129:130], v122 offset0:4 offset1:5
	s_add_i32 s17, s2, -1
	s_waitcnt lgkmcnt(2)
	v_fmac_f32_e32 v121, v131, v125
	s_set_gpr_idx_on s16, gpr_idx(SRC0)
	v_mov_b32_e32 v131, v34
	s_set_gpr_idx_off
	v_fmac_f32_e32 v121, v132, v126
	s_set_gpr_idx_on s17, gpr_idx(SRC0)
	v_mov_b32_e32 v132, v34
	s_set_gpr_idx_off
	ds_read2_b32 v[125:126], v122 offset0:6 offset1:7
	s_waitcnt lgkmcnt(2)
	v_fmac_f32_e32 v121, v133, v127
	s_set_gpr_idx_on s2, gpr_idx(SRC0)
	v_mov_b32_e32 v127, v34
	s_set_gpr_idx_off
	v_fmac_f32_e32 v121, v134, v128
	s_add_u32 s2, s2, 8
	s_waitcnt lgkmcnt(1)
	v_fmac_f32_e32 v121, v135, v129
	v_add_u32_e32 v122, s2, v124
	v_fmac_f32_e32 v121, v131, v130
	s_addc_u32 s3, s3, 0
	s_add_i32 s10, s10, 32
	s_add_i32 s11, s2, -7
	v_cmp_eq_u32_e32 vcc, 8, v122
	s_waitcnt lgkmcnt(0)
	v_fmac_f32_e32 v121, v132, v125
	v_mov_b32_e32 v122, s11
	s_or_b64 s[8:9], vcc, s[8:9]
	v_fmac_f32_e32 v121, v127, v126
	s_andn2_b64 exec, exec, s[8:9]
	s_cbranch_execnz .LBB90_393
; %bb.394:
	s_or_b64 exec, exec, s[8:9]
.LBB90_395:
	s_or_b64 exec, exec, s[0:1]
	v_and_b32_e32 v61, 7, v123
	v_cmp_ne_u32_e32 vcc, 0, v61
	s_and_saveexec_b64 s[2:3], vcc
	s_cbranch_execz .LBB90_399
; %bb.396:
	v_mov_b32_e32 v62, 0x70
	v_lshl_add_u32 v62, v122, 2, v62
	v_mov_b32_e32 v63, 0
	s_mov_b64 s[8:9], 0
.LBB90_397:                             ; =>This Inner Loop Header: Depth=1
	v_cmp_eq_u32_e32 vcc, 1, v122
	v_cndmask_b32_e32 v64, v34, v35, vcc
	v_add_u32_e32 v61, -1, v61
	v_cmp_eq_u32_e32 vcc, 2, v122
	v_cndmask_b32_e32 v64, v64, v36, vcc
	v_cmp_eq_u32_e32 vcc, 0, v61
	v_cmp_eq_u32_e64 s[0:1], 3, v122
	v_cndmask_b32_e64 v64, v64, v37, s[0:1]
	s_or_b64 s[8:9], vcc, s[8:9]
	v_cmp_eq_u32_e32 vcc, 4, v122
	v_cndmask_b32_e32 v64, v64, v38, vcc
	v_cmp_eq_u32_e32 vcc, 5, v122
	v_cndmask_b32_e32 v64, v64, v39, vcc
	;; [unrolled: 2-line block ×18, first 2 shown]
	v_cmp_eq_u32_e32 vcc, 22, v122
	ds_read_b32 v65, v62
	v_cndmask_b32_e32 v64, v64, v56, vcc
	v_cmp_eq_u32_e32 vcc, 23, v122
	v_cndmask_b32_e32 v64, v64, v57, vcc
	v_cmp_eq_u32_e32 vcc, 24, v122
	;; [unrolled: 2-line block ×4, first 2 shown]
	v_add_co_u32_e64 v122, s[0:1], 1, v122
	v_cndmask_b32_e32 v64, v64, v60, vcc
	v_add_u32_e32 v62, 4, v62
	v_addc_co_u32_e64 v63, s[0:1], 0, v63, s[0:1]
	s_waitcnt lgkmcnt(0)
	v_fmac_f32_e32 v121, v64, v65
	s_andn2_b64 exec, exec, s[8:9]
	s_cbranch_execnz .LBB90_397
; %bb.398:
	s_or_b64 exec, exec, s[8:9]
.LBB90_399:
	s_or_b64 exec, exec, s[2:3]
.LBB90_400:
	s_or_b64 exec, exec, s[6:7]
	v_mov_b32_e32 v34, 0
	ds_read_b32 v34, v34
	s_waitcnt lgkmcnt(0)
	v_mul_f32_e32 v34, v121, v34
.LBB90_401:
	s_or_b64 exec, exec, s[4:5]
	s_branch .LBB90_665
.LBB90_402:
	v_cmp_eq_u32_e64 s[2:3], 0, v0
	s_waitcnt vmcnt(0) lgkmcnt(0)
	ds_write_b32 v120, v3
	s_waitcnt lgkmcnt(0)
	; wave barrier
	s_and_saveexec_b64 s[0:1], s[2:3]
	s_cbranch_execz .LBB90_408
; %bb.403:
	s_and_b64 vcc, exec, s[58:59]
	s_cbranch_vccz .LBB90_405
; %bb.404:
	v_cmp_eq_u32_e32 vcc, 1, v0
	v_cndmask_b32_e32 v3, v2, v3, vcc
	v_cmp_eq_u32_e32 vcc, 2, v0
	v_cndmask_b32_e32 v3, v3, v4, vcc
	;; [unrolled: 2-line block ×22, first 2 shown]
	v_cmp_eq_u32_e32 vcc, 23, v0
	ds_read_b32 v29, v120
	v_cndmask_b32_e32 v3, v3, v25, vcc
	v_cmp_eq_u32_e32 vcc, 24, v0
	v_cndmask_b32_e32 v3, v3, v26, vcc
	v_cmp_eq_u32_e32 vcc, 25, v0
	;; [unrolled: 2-line block ×3, first 2 shown]
	v_cndmask_b32_e32 v3, v3, v28, vcc
	s_waitcnt lgkmcnt(0)
	v_mul_f32_e32 v3, v3, v29
	s_cbranch_execz .LBB90_406
	s_branch .LBB90_407
.LBB90_405:
                                        ; implicit-def: $vgpr3
.LBB90_406:
	ds_read_b32 v3, v120
.LBB90_407:
	v_mov_b32_e32 v29, 0
	ds_read_b32 v29, v29 offset:4
	s_waitcnt lgkmcnt(0)
	v_mul_f32_e32 v3, v3, v29
.LBB90_408:
	s_or_b64 exec, exec, s[0:1]
	v_cndmask_b32_e64 v34, 0, 1, s[58:59]
	v_cmp_gt_u32_e32 vcc, 2, v0
	v_cmp_ne_u32_e64 s[0:1], 1, v34
	ds_write_b32 v120, v4
	s_waitcnt lgkmcnt(0)
	; wave barrier
	s_and_saveexec_b64 s[4:5], vcc
	s_cbranch_execz .LBB90_414
; %bb.409:
	s_and_b64 vcc, exec, s[0:1]
	s_cbranch_vccnz .LBB90_411
; %bb.410:
	v_cmp_eq_u32_e32 vcc, 1, v0
	v_cndmask_b32_e32 v29, v2, v3, vcc
	v_cmp_eq_u32_e32 vcc, 2, v0
	v_cndmask_b32_e32 v4, v29, v4, vcc
	;; [unrolled: 2-line block ×22, first 2 shown]
	v_cmp_eq_u32_e32 vcc, 23, v0
	ds_read_b32 v29, v120
	v_cndmask_b32_e32 v4, v4, v25, vcc
	v_cmp_eq_u32_e32 vcc, 24, v0
	v_cndmask_b32_e32 v4, v4, v26, vcc
	v_cmp_eq_u32_e32 vcc, 25, v0
	;; [unrolled: 2-line block ×3, first 2 shown]
	v_cndmask_b32_e32 v4, v4, v28, vcc
	s_waitcnt lgkmcnt(0)
	v_mul_f32_e32 v4, v4, v29
	s_cbranch_execz .LBB90_412
	s_branch .LBB90_413
.LBB90_411:
                                        ; implicit-def: $vgpr4
.LBB90_412:
	ds_read_b32 v4, v120
.LBB90_413:
	v_mov_b32_e32 v29, 0
	ds_read2_b32 v[29:30], v29 offset0:2 offset1:29
	s_waitcnt lgkmcnt(0)
	v_fma_f32 v30, v3, v30, v4
	v_cndmask_b32_e64 v4, v4, v30, s[2:3]
	v_mul_f32_e32 v4, v4, v29
.LBB90_414:
	s_or_b64 exec, exec, s[4:5]
	v_add_u32_e32 v34, 1, v0
	v_cmp_gt_u32_e64 s[4:5], 3, v0
	ds_write_b32 v120, v5
	s_waitcnt lgkmcnt(0)
	; wave barrier
	s_and_saveexec_b64 s[6:7], s[4:5]
	s_cbranch_execz .LBB90_422
; %bb.415:
	s_and_b64 vcc, exec, s[0:1]
	s_cbranch_vccnz .LBB90_417
; %bb.416:
	v_cmp_eq_u32_e32 vcc, 1, v0
	v_cndmask_b32_e32 v29, v2, v3, vcc
	v_cmp_eq_u32_e32 vcc, 2, v0
	v_cndmask_b32_e32 v29, v29, v4, vcc
	v_cmp_eq_u32_e32 vcc, 3, v0
	v_cndmask_b32_e32 v29, v29, v5, vcc
	v_cmp_eq_u32_e32 vcc, 4, v0
	v_cndmask_b32_e32 v29, v29, v6, vcc
	v_cmp_eq_u32_e32 vcc, 5, v0
	v_cndmask_b32_e32 v29, v29, v7, vcc
	v_cmp_eq_u32_e32 vcc, 6, v0
	v_cndmask_b32_e32 v29, v29, v8, vcc
	v_cmp_eq_u32_e32 vcc, 7, v0
	v_cndmask_b32_e32 v29, v29, v9, vcc
	v_cmp_eq_u32_e32 vcc, 8, v0
	v_cndmask_b32_e32 v29, v29, v10, vcc
	v_cmp_eq_u32_e32 vcc, 9, v0
	v_cndmask_b32_e32 v29, v29, v11, vcc
	v_cmp_eq_u32_e32 vcc, 10, v0
	v_cndmask_b32_e32 v29, v29, v12, vcc
	v_cmp_eq_u32_e32 vcc, 11, v0
	v_cndmask_b32_e32 v29, v29, v13, vcc
	v_cmp_eq_u32_e32 vcc, 12, v0
	v_cndmask_b32_e32 v29, v29, v14, vcc
	v_cmp_eq_u32_e32 vcc, 13, v0
	v_cndmask_b32_e32 v29, v29, v15, vcc
	v_cmp_eq_u32_e32 vcc, 14, v0
	v_cndmask_b32_e32 v29, v29, v16, vcc
	v_cmp_eq_u32_e32 vcc, 15, v0
	v_cndmask_b32_e32 v29, v29, v17, vcc
	v_cmp_eq_u32_e32 vcc, 16, v0
	v_cndmask_b32_e32 v29, v29, v18, vcc
	v_cmp_eq_u32_e32 vcc, 17, v0
	v_cndmask_b32_e32 v29, v29, v19, vcc
	v_cmp_eq_u32_e32 vcc, 18, v0
	v_cndmask_b32_e32 v29, v29, v20, vcc
	v_cmp_eq_u32_e32 vcc, 19, v0
	v_cndmask_b32_e32 v29, v29, v21, vcc
	v_cmp_eq_u32_e32 vcc, 20, v0
	v_cndmask_b32_e32 v29, v29, v22, vcc
	v_cmp_eq_u32_e32 vcc, 21, v0
	v_cndmask_b32_e32 v29, v29, v23, vcc
	v_cmp_eq_u32_e32 vcc, 22, v0
	v_cndmask_b32_e32 v29, v29, v24, vcc
	v_cmp_eq_u32_e32 vcc, 23, v0
	ds_read_b32 v30, v120
	v_cndmask_b32_e32 v29, v29, v25, vcc
	v_cmp_eq_u32_e32 vcc, 24, v0
	v_cndmask_b32_e32 v29, v29, v26, vcc
	v_cmp_eq_u32_e32 vcc, 25, v0
	;; [unrolled: 2-line block ×3, first 2 shown]
	v_cndmask_b32_e32 v29, v29, v28, vcc
	s_waitcnt lgkmcnt(0)
	v_mul_f32_e32 v29, v29, v30
	s_cbranch_execz .LBB90_418
	s_branch .LBB90_419
.LBB90_417:
                                        ; implicit-def: $vgpr29
.LBB90_418:
	ds_read_b32 v29, v120
.LBB90_419:
	v_cmp_ne_u32_e32 vcc, 2, v0
	s_and_saveexec_b64 s[8:9], vcc
	s_cbranch_execz .LBB90_421
; %bb.420:
	v_cmp_eq_u32_e32 vcc, 1, v34
	v_cndmask_b32_e32 v30, v2, v3, vcc
	v_cmp_eq_u32_e32 vcc, 2, v34
	v_cndmask_b32_e32 v30, v30, v4, vcc
	;; [unrolled: 2-line block ×22, first 2 shown]
	v_cmp_eq_u32_e32 vcc, 23, v34
	v_mov_b32_e32 v30, 0
	v_cndmask_b32_e32 v5, v5, v25, vcc
	v_cmp_eq_u32_e32 vcc, 24, v34
	ds_read_b32 v31, v120 offset:4
	ds_read_b32 v30, v30 offset:120
	v_cndmask_b32_e32 v5, v5, v26, vcc
	v_cmp_eq_u32_e32 vcc, 25, v34
	v_cndmask_b32_e32 v5, v5, v27, vcc
	v_cmp_eq_u32_e32 vcc, 26, v34
	v_cndmask_b32_e32 v5, v5, v28, vcc
	s_waitcnt lgkmcnt(1)
	v_fmac_f32_e32 v29, v5, v31
	s_waitcnt lgkmcnt(0)
	v_fma_f32 v5, v4, v30, v29
	v_cndmask_b32_e64 v29, v29, v5, s[2:3]
.LBB90_421:
	s_or_b64 exec, exec, s[8:9]
	v_mov_b32_e32 v5, 0
	ds_read_b32 v5, v5 offset:12
	s_waitcnt lgkmcnt(0)
	v_mul_f32_e32 v5, v29, v5
.LBB90_422:
	s_or_b64 exec, exec, s[6:7]
	v_cmp_gt_u32_e32 vcc, 4, v0
	ds_write_b32 v120, v6
	s_waitcnt lgkmcnt(0)
	; wave barrier
	s_and_saveexec_b64 s[8:9], vcc
	s_cbranch_execz .LBB90_432
; %bb.423:
	s_and_b64 vcc, exec, s[0:1]
	s_cbranch_vccnz .LBB90_425
; %bb.424:
	v_cmp_eq_u32_e32 vcc, 1, v0
	v_cndmask_b32_e32 v29, v2, v3, vcc
	v_cmp_eq_u32_e32 vcc, 2, v0
	v_cndmask_b32_e32 v29, v29, v4, vcc
	;; [unrolled: 2-line block ×22, first 2 shown]
	v_cmp_eq_u32_e32 vcc, 23, v0
	ds_read_b32 v30, v120
	v_cndmask_b32_e32 v29, v29, v25, vcc
	v_cmp_eq_u32_e32 vcc, 24, v0
	v_cndmask_b32_e32 v29, v29, v26, vcc
	v_cmp_eq_u32_e32 vcc, 25, v0
	;; [unrolled: 2-line block ×3, first 2 shown]
	v_cndmask_b32_e32 v29, v29, v28, vcc
	s_waitcnt lgkmcnt(0)
	v_mul_f32_e32 v31, v29, v30
	s_cbranch_execz .LBB90_426
	s_branch .LBB90_427
.LBB90_425:
                                        ; implicit-def: $vgpr31
.LBB90_426:
	ds_read_b32 v31, v120
.LBB90_427:
	v_cmp_ne_u32_e32 vcc, 3, v0
	s_and_saveexec_b64 s[10:11], vcc
	s_cbranch_execz .LBB90_431
; %bb.428:
	v_mov_b32_e32 v29, 0x74
	v_lshl_add_u32 v32, v0, 2, v29
	v_mov_b32_e32 v30, v1
	s_mov_b64 s[12:13], 0
	v_mov_b32_e32 v29, v0
.LBB90_429:                             ; =>This Inner Loop Header: Depth=1
	v_add_co_u32_e32 v29, vcc, 1, v29
	v_addc_co_u32_e32 v30, vcc, 0, v30, vcc
	v_cmp_eq_u32_e32 vcc, 1, v29
	v_cndmask_b32_e32 v35, v2, v3, vcc
	v_cmp_lt_u32_e32 vcc, 2, v29
	v_cmp_eq_u32_e64 s[6:7], 2, v29
	v_cndmask_b32_e64 v35, v35, v4, s[6:7]
	s_or_b64 s[12:13], vcc, s[12:13]
	v_cmp_eq_u32_e32 vcc, 3, v29
	v_cndmask_b32_e32 v35, v35, v5, vcc
	v_cmp_eq_u32_e32 vcc, 4, v29
	v_cndmask_b32_e32 v35, v35, v6, vcc
	v_cmp_eq_u32_e32 vcc, 5, v29
	v_cndmask_b32_e32 v35, v35, v7, vcc
	v_cmp_eq_u32_e32 vcc, 6, v29
	v_cndmask_b32_e32 v35, v35, v8, vcc
	v_cmp_eq_u32_e32 vcc, 7, v29
	v_cndmask_b32_e32 v35, v35, v9, vcc
	v_cmp_eq_u32_e32 vcc, 8, v29
	v_cndmask_b32_e32 v35, v35, v10, vcc
	v_cmp_eq_u32_e32 vcc, 9, v29
	v_cndmask_b32_e32 v35, v35, v11, vcc
	v_cmp_eq_u32_e32 vcc, 10, v29
	v_cndmask_b32_e32 v35, v35, v12, vcc
	v_cmp_eq_u32_e32 vcc, 11, v29
	v_cndmask_b32_e32 v35, v35, v13, vcc
	v_cmp_eq_u32_e32 vcc, 12, v29
	v_cndmask_b32_e32 v35, v35, v14, vcc
	v_cmp_eq_u32_e32 vcc, 13, v29
	v_cndmask_b32_e32 v35, v35, v15, vcc
	v_cmp_eq_u32_e32 vcc, 14, v29
	v_cndmask_b32_e32 v35, v35, v16, vcc
	v_cmp_eq_u32_e32 vcc, 15, v29
	v_cndmask_b32_e32 v35, v35, v17, vcc
	v_cmp_eq_u32_e32 vcc, 16, v29
	v_cndmask_b32_e32 v35, v35, v18, vcc
	v_cmp_eq_u32_e32 vcc, 17, v29
	v_cndmask_b32_e32 v35, v35, v19, vcc
	v_cmp_eq_u32_e32 vcc, 18, v29
	v_cndmask_b32_e32 v35, v35, v20, vcc
	v_cmp_eq_u32_e32 vcc, 19, v29
	v_cndmask_b32_e32 v35, v35, v21, vcc
	v_cmp_eq_u32_e32 vcc, 20, v29
	v_cndmask_b32_e32 v35, v35, v22, vcc
	v_cmp_eq_u32_e32 vcc, 21, v29
	v_cndmask_b32_e32 v35, v35, v23, vcc
	v_cmp_eq_u32_e32 vcc, 22, v29
	ds_read_b32 v33, v32
	v_cndmask_b32_e32 v35, v35, v24, vcc
	v_cmp_eq_u32_e32 vcc, 23, v29
	v_cndmask_b32_e32 v35, v35, v25, vcc
	v_cmp_eq_u32_e32 vcc, 24, v29
	;; [unrolled: 2-line block ×4, first 2 shown]
	v_cndmask_b32_e32 v35, v35, v28, vcc
	v_add_u32_e32 v32, 4, v32
	s_waitcnt lgkmcnt(0)
	v_fmac_f32_e32 v31, v35, v33
	s_andn2_b64 exec, exec, s[12:13]
	s_cbranch_execnz .LBB90_429
; %bb.430:
	s_or_b64 exec, exec, s[12:13]
.LBB90_431:
	s_or_b64 exec, exec, s[10:11]
	v_mov_b32_e32 v6, 0
	ds_read_b32 v6, v6 offset:16
	s_waitcnt lgkmcnt(0)
	v_mul_f32_e32 v6, v31, v6
.LBB90_432:
	s_or_b64 exec, exec, s[8:9]
	v_cmp_gt_u32_e64 s[6:7], 5, v0
	ds_write_b32 v120, v7
	s_waitcnt lgkmcnt(0)
	; wave barrier
	s_and_saveexec_b64 s[10:11], s[6:7]
	s_cbranch_execz .LBB90_442
; %bb.433:
	s_and_b64 vcc, exec, s[0:1]
	s_cbranch_vccnz .LBB90_435
; %bb.434:
	v_cmp_eq_u32_e32 vcc, 1, v0
	v_cndmask_b32_e32 v29, v2, v3, vcc
	v_cmp_eq_u32_e32 vcc, 2, v0
	v_cndmask_b32_e32 v29, v29, v4, vcc
	;; [unrolled: 2-line block ×22, first 2 shown]
	v_cmp_eq_u32_e32 vcc, 23, v0
	ds_read_b32 v30, v120
	v_cndmask_b32_e32 v29, v29, v25, vcc
	v_cmp_eq_u32_e32 vcc, 24, v0
	v_cndmask_b32_e32 v29, v29, v26, vcc
	v_cmp_eq_u32_e32 vcc, 25, v0
	;; [unrolled: 2-line block ×3, first 2 shown]
	v_cndmask_b32_e32 v29, v29, v28, vcc
	s_waitcnt lgkmcnt(0)
	v_mul_f32_e32 v31, v29, v30
	s_cbranch_execz .LBB90_436
	s_branch .LBB90_437
.LBB90_435:
                                        ; implicit-def: $vgpr31
.LBB90_436:
	ds_read_b32 v31, v120
.LBB90_437:
	v_cmp_ne_u32_e32 vcc, 4, v0
	s_and_saveexec_b64 s[12:13], vcc
	s_cbranch_execz .LBB90_441
; %bb.438:
	v_mov_b32_e32 v29, 0x74
	v_lshl_add_u32 v32, v0, 2, v29
	v_mov_b32_e32 v30, v1
	s_mov_b64 s[14:15], 0
	v_mov_b32_e32 v29, v0
.LBB90_439:                             ; =>This Inner Loop Header: Depth=1
	v_add_co_u32_e32 v29, vcc, 1, v29
	v_addc_co_u32_e32 v30, vcc, 0, v30, vcc
	v_cmp_eq_u32_e32 vcc, 1, v29
	v_cndmask_b32_e32 v35, v2, v3, vcc
	v_cmp_lt_u32_e32 vcc, 3, v29
	v_cmp_eq_u32_e64 s[8:9], 2, v29
	v_cndmask_b32_e64 v35, v35, v4, s[8:9]
	s_or_b64 s[14:15], vcc, s[14:15]
	v_cmp_eq_u32_e32 vcc, 3, v29
	v_cndmask_b32_e32 v35, v35, v5, vcc
	v_cmp_eq_u32_e32 vcc, 4, v29
	v_cndmask_b32_e32 v35, v35, v6, vcc
	;; [unrolled: 2-line block ×19, first 2 shown]
	v_cmp_eq_u32_e32 vcc, 22, v29
	ds_read_b32 v33, v32
	v_cndmask_b32_e32 v35, v35, v24, vcc
	v_cmp_eq_u32_e32 vcc, 23, v29
	v_cndmask_b32_e32 v35, v35, v25, vcc
	v_cmp_eq_u32_e32 vcc, 24, v29
	;; [unrolled: 2-line block ×4, first 2 shown]
	v_cndmask_b32_e32 v35, v35, v28, vcc
	v_add_u32_e32 v32, 4, v32
	s_waitcnt lgkmcnt(0)
	v_fmac_f32_e32 v31, v35, v33
	s_andn2_b64 exec, exec, s[14:15]
	s_cbranch_execnz .LBB90_439
; %bb.440:
	s_or_b64 exec, exec, s[14:15]
.LBB90_441:
	s_or_b64 exec, exec, s[12:13]
	v_mov_b32_e32 v7, 0
	ds_read_b32 v7, v7 offset:20
	s_waitcnt lgkmcnt(0)
	v_mul_f32_e32 v7, v31, v7
.LBB90_442:
	s_or_b64 exec, exec, s[10:11]
	v_cmp_gt_u32_e32 vcc, 6, v0
	ds_write_b32 v120, v8
	s_waitcnt lgkmcnt(0)
	; wave barrier
	s_and_saveexec_b64 s[10:11], vcc
	s_cbranch_execz .LBB90_452
; %bb.443:
	s_and_b64 vcc, exec, s[0:1]
	s_cbranch_vccnz .LBB90_445
; %bb.444:
	v_cmp_eq_u32_e32 vcc, 1, v0
	v_cndmask_b32_e32 v29, v2, v3, vcc
	v_cmp_eq_u32_e32 vcc, 2, v0
	v_cndmask_b32_e32 v29, v29, v4, vcc
	;; [unrolled: 2-line block ×22, first 2 shown]
	v_cmp_eq_u32_e32 vcc, 23, v0
	ds_read_b32 v30, v120
	v_cndmask_b32_e32 v29, v29, v25, vcc
	v_cmp_eq_u32_e32 vcc, 24, v0
	v_cndmask_b32_e32 v29, v29, v26, vcc
	v_cmp_eq_u32_e32 vcc, 25, v0
	v_cndmask_b32_e32 v29, v29, v27, vcc
	v_cmp_eq_u32_e32 vcc, 26, v0
	v_cndmask_b32_e32 v29, v29, v28, vcc
	s_waitcnt lgkmcnt(0)
	v_mul_f32_e32 v31, v29, v30
	s_cbranch_execz .LBB90_446
	s_branch .LBB90_447
.LBB90_445:
                                        ; implicit-def: $vgpr31
.LBB90_446:
	ds_read_b32 v31, v120
.LBB90_447:
	v_cmp_ne_u32_e32 vcc, 5, v0
	s_and_saveexec_b64 s[12:13], vcc
	s_cbranch_execz .LBB90_451
; %bb.448:
	v_mov_b32_e32 v29, 0x74
	v_lshl_add_u32 v32, v0, 2, v29
	v_mov_b32_e32 v30, v1
	s_mov_b64 s[14:15], 0
	v_mov_b32_e32 v29, v0
.LBB90_449:                             ; =>This Inner Loop Header: Depth=1
	v_add_co_u32_e32 v29, vcc, 1, v29
	v_addc_co_u32_e32 v30, vcc, 0, v30, vcc
	v_cmp_eq_u32_e32 vcc, 1, v29
	v_cndmask_b32_e32 v35, v2, v3, vcc
	v_cmp_lt_u32_e32 vcc, 4, v29
	v_cmp_eq_u32_e64 s[8:9], 2, v29
	v_cndmask_b32_e64 v35, v35, v4, s[8:9]
	s_or_b64 s[14:15], vcc, s[14:15]
	v_cmp_eq_u32_e32 vcc, 3, v29
	v_cndmask_b32_e32 v35, v35, v5, vcc
	v_cmp_eq_u32_e32 vcc, 4, v29
	v_cndmask_b32_e32 v35, v35, v6, vcc
	;; [unrolled: 2-line block ×19, first 2 shown]
	v_cmp_eq_u32_e32 vcc, 22, v29
	ds_read_b32 v33, v32
	v_cndmask_b32_e32 v35, v35, v24, vcc
	v_cmp_eq_u32_e32 vcc, 23, v29
	v_cndmask_b32_e32 v35, v35, v25, vcc
	v_cmp_eq_u32_e32 vcc, 24, v29
	;; [unrolled: 2-line block ×4, first 2 shown]
	v_cndmask_b32_e32 v35, v35, v28, vcc
	v_add_u32_e32 v32, 4, v32
	s_waitcnt lgkmcnt(0)
	v_fmac_f32_e32 v31, v35, v33
	s_andn2_b64 exec, exec, s[14:15]
	s_cbranch_execnz .LBB90_449
; %bb.450:
	s_or_b64 exec, exec, s[14:15]
.LBB90_451:
	s_or_b64 exec, exec, s[12:13]
	v_mov_b32_e32 v8, 0
	ds_read_b32 v8, v8 offset:24
	s_waitcnt lgkmcnt(0)
	v_mul_f32_e32 v8, v31, v8
.LBB90_452:
	s_or_b64 exec, exec, s[10:11]
	v_cmp_gt_u32_e64 s[8:9], 7, v0
	ds_write_b32 v120, v9
	s_waitcnt lgkmcnt(0)
	; wave barrier
	s_and_saveexec_b64 s[12:13], s[8:9]
	s_cbranch_execz .LBB90_462
; %bb.453:
	s_and_b64 vcc, exec, s[0:1]
	s_cbranch_vccnz .LBB90_455
; %bb.454:
	v_cmp_eq_u32_e32 vcc, 1, v0
	v_cndmask_b32_e32 v29, v2, v3, vcc
	v_cmp_eq_u32_e32 vcc, 2, v0
	v_cndmask_b32_e32 v29, v29, v4, vcc
	v_cmp_eq_u32_e32 vcc, 3, v0
	v_cndmask_b32_e32 v29, v29, v5, vcc
	v_cmp_eq_u32_e32 vcc, 4, v0
	v_cndmask_b32_e32 v29, v29, v6, vcc
	v_cmp_eq_u32_e32 vcc, 5, v0
	v_cndmask_b32_e32 v29, v29, v7, vcc
	v_cmp_eq_u32_e32 vcc, 6, v0
	v_cndmask_b32_e32 v29, v29, v8, vcc
	v_cmp_eq_u32_e32 vcc, 7, v0
	v_cndmask_b32_e32 v29, v29, v9, vcc
	v_cmp_eq_u32_e32 vcc, 8, v0
	v_cndmask_b32_e32 v29, v29, v10, vcc
	v_cmp_eq_u32_e32 vcc, 9, v0
	v_cndmask_b32_e32 v29, v29, v11, vcc
	v_cmp_eq_u32_e32 vcc, 10, v0
	v_cndmask_b32_e32 v29, v29, v12, vcc
	v_cmp_eq_u32_e32 vcc, 11, v0
	v_cndmask_b32_e32 v29, v29, v13, vcc
	v_cmp_eq_u32_e32 vcc, 12, v0
	v_cndmask_b32_e32 v29, v29, v14, vcc
	v_cmp_eq_u32_e32 vcc, 13, v0
	v_cndmask_b32_e32 v29, v29, v15, vcc
	v_cmp_eq_u32_e32 vcc, 14, v0
	v_cndmask_b32_e32 v29, v29, v16, vcc
	v_cmp_eq_u32_e32 vcc, 15, v0
	v_cndmask_b32_e32 v29, v29, v17, vcc
	v_cmp_eq_u32_e32 vcc, 16, v0
	v_cndmask_b32_e32 v29, v29, v18, vcc
	v_cmp_eq_u32_e32 vcc, 17, v0
	v_cndmask_b32_e32 v29, v29, v19, vcc
	v_cmp_eq_u32_e32 vcc, 18, v0
	v_cndmask_b32_e32 v29, v29, v20, vcc
	v_cmp_eq_u32_e32 vcc, 19, v0
	v_cndmask_b32_e32 v29, v29, v21, vcc
	v_cmp_eq_u32_e32 vcc, 20, v0
	v_cndmask_b32_e32 v29, v29, v22, vcc
	v_cmp_eq_u32_e32 vcc, 21, v0
	v_cndmask_b32_e32 v29, v29, v23, vcc
	v_cmp_eq_u32_e32 vcc, 22, v0
	v_cndmask_b32_e32 v29, v29, v24, vcc
	v_cmp_eq_u32_e32 vcc, 23, v0
	ds_read_b32 v30, v120
	v_cndmask_b32_e32 v29, v29, v25, vcc
	v_cmp_eq_u32_e32 vcc, 24, v0
	v_cndmask_b32_e32 v29, v29, v26, vcc
	v_cmp_eq_u32_e32 vcc, 25, v0
	v_cndmask_b32_e32 v29, v29, v27, vcc
	v_cmp_eq_u32_e32 vcc, 26, v0
	v_cndmask_b32_e32 v29, v29, v28, vcc
	s_waitcnt lgkmcnt(0)
	v_mul_f32_e32 v31, v29, v30
	s_cbranch_execz .LBB90_456
	s_branch .LBB90_457
.LBB90_455:
                                        ; implicit-def: $vgpr31
.LBB90_456:
	ds_read_b32 v31, v120
.LBB90_457:
	v_cmp_ne_u32_e32 vcc, 6, v0
	s_and_saveexec_b64 s[14:15], vcc
	s_cbranch_execz .LBB90_461
; %bb.458:
	v_mov_b32_e32 v29, 0x74
	v_lshl_add_u32 v32, v0, 2, v29
	v_mov_b32_e32 v30, v1
	s_mov_b64 s[16:17], 0
	v_mov_b32_e32 v29, v0
.LBB90_459:                             ; =>This Inner Loop Header: Depth=1
	v_add_co_u32_e32 v29, vcc, 1, v29
	v_addc_co_u32_e32 v30, vcc, 0, v30, vcc
	v_cmp_eq_u32_e32 vcc, 1, v29
	v_cndmask_b32_e32 v35, v2, v3, vcc
	v_cmp_lt_u32_e32 vcc, 5, v29
	v_cmp_eq_u32_e64 s[10:11], 2, v29
	v_cndmask_b32_e64 v35, v35, v4, s[10:11]
	s_or_b64 s[16:17], vcc, s[16:17]
	v_cmp_eq_u32_e32 vcc, 3, v29
	v_cndmask_b32_e32 v35, v35, v5, vcc
	v_cmp_eq_u32_e32 vcc, 4, v29
	v_cndmask_b32_e32 v35, v35, v6, vcc
	;; [unrolled: 2-line block ×19, first 2 shown]
	v_cmp_eq_u32_e32 vcc, 22, v29
	ds_read_b32 v33, v32
	v_cndmask_b32_e32 v35, v35, v24, vcc
	v_cmp_eq_u32_e32 vcc, 23, v29
	v_cndmask_b32_e32 v35, v35, v25, vcc
	v_cmp_eq_u32_e32 vcc, 24, v29
	;; [unrolled: 2-line block ×4, first 2 shown]
	v_cndmask_b32_e32 v35, v35, v28, vcc
	v_add_u32_e32 v32, 4, v32
	s_waitcnt lgkmcnt(0)
	v_fmac_f32_e32 v31, v35, v33
	s_andn2_b64 exec, exec, s[16:17]
	s_cbranch_execnz .LBB90_459
; %bb.460:
	s_or_b64 exec, exec, s[16:17]
.LBB90_461:
	s_or_b64 exec, exec, s[14:15]
	v_mov_b32_e32 v9, 0
	ds_read_b32 v9, v9 offset:28
	s_waitcnt lgkmcnt(0)
	v_mul_f32_e32 v9, v31, v9
.LBB90_462:
	s_or_b64 exec, exec, s[12:13]
	v_cmp_gt_u32_e32 vcc, 8, v0
	ds_write_b32 v120, v10
	s_waitcnt lgkmcnt(0)
	; wave barrier
	s_and_saveexec_b64 s[12:13], vcc
	s_cbranch_execz .LBB90_472
; %bb.463:
	s_and_b64 vcc, exec, s[0:1]
	s_cbranch_vccnz .LBB90_465
; %bb.464:
	v_cmp_eq_u32_e32 vcc, 1, v0
	v_cndmask_b32_e32 v29, v2, v3, vcc
	v_cmp_eq_u32_e32 vcc, 2, v0
	v_cndmask_b32_e32 v29, v29, v4, vcc
	v_cmp_eq_u32_e32 vcc, 3, v0
	v_cndmask_b32_e32 v29, v29, v5, vcc
	v_cmp_eq_u32_e32 vcc, 4, v0
	v_cndmask_b32_e32 v29, v29, v6, vcc
	v_cmp_eq_u32_e32 vcc, 5, v0
	v_cndmask_b32_e32 v29, v29, v7, vcc
	v_cmp_eq_u32_e32 vcc, 6, v0
	v_cndmask_b32_e32 v29, v29, v8, vcc
	v_cmp_eq_u32_e32 vcc, 7, v0
	v_cndmask_b32_e32 v29, v29, v9, vcc
	v_cmp_eq_u32_e32 vcc, 8, v0
	v_cndmask_b32_e32 v29, v29, v10, vcc
	v_cmp_eq_u32_e32 vcc, 9, v0
	v_cndmask_b32_e32 v29, v29, v11, vcc
	v_cmp_eq_u32_e32 vcc, 10, v0
	v_cndmask_b32_e32 v29, v29, v12, vcc
	v_cmp_eq_u32_e32 vcc, 11, v0
	v_cndmask_b32_e32 v29, v29, v13, vcc
	v_cmp_eq_u32_e32 vcc, 12, v0
	v_cndmask_b32_e32 v29, v29, v14, vcc
	v_cmp_eq_u32_e32 vcc, 13, v0
	v_cndmask_b32_e32 v29, v29, v15, vcc
	v_cmp_eq_u32_e32 vcc, 14, v0
	v_cndmask_b32_e32 v29, v29, v16, vcc
	v_cmp_eq_u32_e32 vcc, 15, v0
	v_cndmask_b32_e32 v29, v29, v17, vcc
	v_cmp_eq_u32_e32 vcc, 16, v0
	v_cndmask_b32_e32 v29, v29, v18, vcc
	v_cmp_eq_u32_e32 vcc, 17, v0
	v_cndmask_b32_e32 v29, v29, v19, vcc
	v_cmp_eq_u32_e32 vcc, 18, v0
	v_cndmask_b32_e32 v29, v29, v20, vcc
	v_cmp_eq_u32_e32 vcc, 19, v0
	v_cndmask_b32_e32 v29, v29, v21, vcc
	v_cmp_eq_u32_e32 vcc, 20, v0
	v_cndmask_b32_e32 v29, v29, v22, vcc
	v_cmp_eq_u32_e32 vcc, 21, v0
	v_cndmask_b32_e32 v29, v29, v23, vcc
	v_cmp_eq_u32_e32 vcc, 22, v0
	v_cndmask_b32_e32 v29, v29, v24, vcc
	v_cmp_eq_u32_e32 vcc, 23, v0
	ds_read_b32 v30, v120
	v_cndmask_b32_e32 v29, v29, v25, vcc
	v_cmp_eq_u32_e32 vcc, 24, v0
	v_cndmask_b32_e32 v29, v29, v26, vcc
	v_cmp_eq_u32_e32 vcc, 25, v0
	;; [unrolled: 2-line block ×3, first 2 shown]
	v_cndmask_b32_e32 v29, v29, v28, vcc
	s_waitcnt lgkmcnt(0)
	v_mul_f32_e32 v31, v29, v30
	s_cbranch_execz .LBB90_466
	s_branch .LBB90_467
.LBB90_465:
                                        ; implicit-def: $vgpr31
.LBB90_466:
	ds_read_b32 v31, v120
.LBB90_467:
	v_cmp_ne_u32_e32 vcc, 7, v0
	s_and_saveexec_b64 s[14:15], vcc
	s_cbranch_execz .LBB90_471
; %bb.468:
	v_mov_b32_e32 v29, 0x74
	v_lshl_add_u32 v32, v0, 2, v29
	v_mov_b32_e32 v30, v1
	s_mov_b64 s[16:17], 0
	v_mov_b32_e32 v29, v0
.LBB90_469:                             ; =>This Inner Loop Header: Depth=1
	v_add_co_u32_e32 v29, vcc, 1, v29
	v_addc_co_u32_e32 v30, vcc, 0, v30, vcc
	v_cmp_eq_u32_e32 vcc, 1, v29
	v_cndmask_b32_e32 v35, v2, v3, vcc
	v_cmp_lt_u32_e32 vcc, 6, v29
	v_cmp_eq_u32_e64 s[10:11], 2, v29
	v_cndmask_b32_e64 v35, v35, v4, s[10:11]
	s_or_b64 s[16:17], vcc, s[16:17]
	v_cmp_eq_u32_e32 vcc, 3, v29
	v_cndmask_b32_e32 v35, v35, v5, vcc
	v_cmp_eq_u32_e32 vcc, 4, v29
	v_cndmask_b32_e32 v35, v35, v6, vcc
	;; [unrolled: 2-line block ×19, first 2 shown]
	v_cmp_eq_u32_e32 vcc, 22, v29
	ds_read_b32 v33, v32
	v_cndmask_b32_e32 v35, v35, v24, vcc
	v_cmp_eq_u32_e32 vcc, 23, v29
	v_cndmask_b32_e32 v35, v35, v25, vcc
	v_cmp_eq_u32_e32 vcc, 24, v29
	;; [unrolled: 2-line block ×4, first 2 shown]
	v_cndmask_b32_e32 v35, v35, v28, vcc
	v_add_u32_e32 v32, 4, v32
	s_waitcnt lgkmcnt(0)
	v_fmac_f32_e32 v31, v35, v33
	s_andn2_b64 exec, exec, s[16:17]
	s_cbranch_execnz .LBB90_469
; %bb.470:
	s_or_b64 exec, exec, s[16:17]
.LBB90_471:
	s_or_b64 exec, exec, s[14:15]
	v_mov_b32_e32 v10, 0
	ds_read_b32 v10, v10 offset:32
	s_waitcnt lgkmcnt(0)
	v_mul_f32_e32 v10, v31, v10
.LBB90_472:
	s_or_b64 exec, exec, s[12:13]
	v_cmp_gt_u32_e32 vcc, 9, v0
	ds_write_b32 v120, v11
	s_waitcnt lgkmcnt(0)
	; wave barrier
	s_and_saveexec_b64 s[10:11], vcc
	s_cbranch_execz .LBB90_494
; %bb.473:
	s_and_b64 vcc, exec, s[0:1]
	s_cbranch_vccnz .LBB90_475
; %bb.474:
	v_cmp_eq_u32_e32 vcc, 1, v0
	v_cndmask_b32_e32 v29, v2, v3, vcc
	v_cmp_eq_u32_e32 vcc, 2, v0
	v_cndmask_b32_e32 v29, v29, v4, vcc
	;; [unrolled: 2-line block ×22, first 2 shown]
	v_cmp_eq_u32_e32 vcc, 23, v0
	ds_read_b32 v30, v120
	v_cndmask_b32_e32 v29, v29, v25, vcc
	v_cmp_eq_u32_e32 vcc, 24, v0
	v_cndmask_b32_e32 v29, v29, v26, vcc
	v_cmp_eq_u32_e32 vcc, 25, v0
	;; [unrolled: 2-line block ×3, first 2 shown]
	v_cndmask_b32_e32 v29, v29, v28, vcc
	s_waitcnt lgkmcnt(0)
	v_mul_f32_e32 v29, v29, v30
	s_cbranch_execz .LBB90_476
	s_branch .LBB90_477
.LBB90_475:
                                        ; implicit-def: $vgpr29
.LBB90_476:
	ds_read_b32 v29, v120
.LBB90_477:
	v_cmp_ne_u32_e32 vcc, 8, v0
	s_and_saveexec_b64 s[12:13], vcc
	s_cbranch_execz .LBB90_493
; %bb.478:
	v_cmp_eq_u32_e32 vcc, 1, v34
	v_cndmask_b32_e32 v30, v2, v3, vcc
	v_cmp_eq_u32_e32 vcc, 2, v34
	v_cndmask_b32_e32 v30, v30, v4, vcc
	;; [unrolled: 2-line block ×22, first 2 shown]
	v_cmp_eq_u32_e32 vcc, 23, v34
	ds_read_b32 v31, v120 offset:4
	v_cndmask_b32_e32 v30, v30, v25, vcc
	v_cmp_eq_u32_e32 vcc, 24, v34
	v_cndmask_b32_e32 v30, v30, v26, vcc
	v_cmp_eq_u32_e32 vcc, 25, v34
	;; [unrolled: 2-line block ×3, first 2 shown]
	v_cndmask_b32_e32 v30, v30, v28, vcc
	s_waitcnt lgkmcnt(0)
	v_fmac_f32_e32 v29, v30, v31
	s_and_saveexec_b64 s[14:15], s[8:9]
	s_cbranch_execz .LBB90_492
; %bb.479:
	v_add_u32_e32 v30, 2, v0
	v_cmp_eq_u32_e32 vcc, 1, v30
	v_cndmask_b32_e32 v31, v2, v3, vcc
	v_cmp_eq_u32_e32 vcc, 2, v30
	v_cndmask_b32_e32 v31, v31, v4, vcc
	;; [unrolled: 2-line block ×22, first 2 shown]
	v_cmp_eq_u32_e32 vcc, 23, v30
	ds_read_b32 v32, v120 offset:8
	v_cndmask_b32_e32 v31, v31, v25, vcc
	v_cmp_eq_u32_e32 vcc, 24, v30
	v_cndmask_b32_e32 v31, v31, v26, vcc
	v_cmp_eq_u32_e32 vcc, 25, v30
	;; [unrolled: 2-line block ×3, first 2 shown]
	v_cndmask_b32_e32 v30, v31, v28, vcc
	s_waitcnt lgkmcnt(0)
	v_fmac_f32_e32 v29, v30, v32
	v_cmp_ne_u32_e32 vcc, 6, v0
	s_and_saveexec_b64 s[8:9], vcc
	s_cbranch_execz .LBB90_491
; %bb.480:
	v_add_u32_e32 v30, 3, v0
	v_cmp_eq_u32_e32 vcc, 1, v30
	v_cndmask_b32_e32 v31, v2, v3, vcc
	v_cmp_eq_u32_e32 vcc, 2, v30
	v_cndmask_b32_e32 v31, v31, v4, vcc
	v_cmp_eq_u32_e32 vcc, 3, v30
	v_cndmask_b32_e32 v31, v31, v5, vcc
	v_cmp_eq_u32_e32 vcc, 4, v30
	v_cndmask_b32_e32 v31, v31, v6, vcc
	v_cmp_eq_u32_e32 vcc, 5, v30
	v_cndmask_b32_e32 v31, v31, v7, vcc
	v_cmp_eq_u32_e32 vcc, 6, v30
	v_cndmask_b32_e32 v31, v31, v8, vcc
	v_cmp_eq_u32_e32 vcc, 7, v30
	v_cndmask_b32_e32 v31, v31, v9, vcc
	v_cmp_eq_u32_e32 vcc, 8, v30
	v_cndmask_b32_e32 v31, v31, v10, vcc
	v_cmp_eq_u32_e32 vcc, 9, v30
	v_cndmask_b32_e32 v31, v31, v11, vcc
	v_cmp_eq_u32_e32 vcc, 10, v30
	v_cndmask_b32_e32 v31, v31, v12, vcc
	v_cmp_eq_u32_e32 vcc, 11, v30
	v_cndmask_b32_e32 v31, v31, v13, vcc
	v_cmp_eq_u32_e32 vcc, 12, v30
	v_cndmask_b32_e32 v31, v31, v14, vcc
	v_cmp_eq_u32_e32 vcc, 13, v30
	v_cndmask_b32_e32 v31, v31, v15, vcc
	v_cmp_eq_u32_e32 vcc, 14, v30
	v_cndmask_b32_e32 v31, v31, v16, vcc
	v_cmp_eq_u32_e32 vcc, 15, v30
	v_cndmask_b32_e32 v31, v31, v17, vcc
	v_cmp_eq_u32_e32 vcc, 16, v30
	v_cndmask_b32_e32 v31, v31, v18, vcc
	v_cmp_eq_u32_e32 vcc, 17, v30
	v_cndmask_b32_e32 v31, v31, v19, vcc
	v_cmp_eq_u32_e32 vcc, 18, v30
	v_cndmask_b32_e32 v31, v31, v20, vcc
	v_cmp_eq_u32_e32 vcc, 19, v30
	v_cndmask_b32_e32 v31, v31, v21, vcc
	v_cmp_eq_u32_e32 vcc, 20, v30
	v_cndmask_b32_e32 v31, v31, v22, vcc
	v_cmp_eq_u32_e32 vcc, 21, v30
	v_cndmask_b32_e32 v31, v31, v23, vcc
	v_cmp_eq_u32_e32 vcc, 22, v30
	v_cndmask_b32_e32 v31, v31, v24, vcc
	v_cmp_eq_u32_e32 vcc, 23, v30
	ds_read_b32 v32, v120 offset:12
	v_cndmask_b32_e32 v31, v31, v25, vcc
	v_cmp_eq_u32_e32 vcc, 24, v30
	v_cndmask_b32_e32 v31, v31, v26, vcc
	v_cmp_eq_u32_e32 vcc, 25, v30
	;; [unrolled: 2-line block ×3, first 2 shown]
	v_cndmask_b32_e32 v30, v31, v28, vcc
	s_waitcnt lgkmcnt(0)
	v_fmac_f32_e32 v29, v30, v32
	s_and_saveexec_b64 s[16:17], s[6:7]
	s_cbranch_execz .LBB90_490
; %bb.481:
	v_add_u32_e32 v30, 4, v0
	v_cmp_eq_u32_e32 vcc, 1, v30
	v_cndmask_b32_e32 v31, v2, v3, vcc
	v_cmp_eq_u32_e32 vcc, 2, v30
	v_cndmask_b32_e32 v31, v31, v4, vcc
	;; [unrolled: 2-line block ×22, first 2 shown]
	v_cmp_eq_u32_e32 vcc, 23, v30
	ds_read_b32 v32, v120 offset:16
	v_cndmask_b32_e32 v31, v31, v25, vcc
	v_cmp_eq_u32_e32 vcc, 24, v30
	v_cndmask_b32_e32 v31, v31, v26, vcc
	v_cmp_eq_u32_e32 vcc, 25, v30
	;; [unrolled: 2-line block ×3, first 2 shown]
	v_cndmask_b32_e32 v30, v31, v28, vcc
	s_waitcnt lgkmcnt(0)
	v_fmac_f32_e32 v29, v30, v32
	v_cmp_ne_u32_e32 vcc, 4, v0
	s_and_saveexec_b64 s[6:7], vcc
	s_cbranch_execz .LBB90_489
; %bb.482:
	v_add_u32_e32 v30, 5, v0
	v_cmp_eq_u32_e32 vcc, 1, v30
	v_cndmask_b32_e32 v31, v2, v3, vcc
	v_cmp_eq_u32_e32 vcc, 2, v30
	v_cndmask_b32_e32 v31, v31, v4, vcc
	;; [unrolled: 2-line block ×22, first 2 shown]
	v_cmp_eq_u32_e32 vcc, 23, v30
	ds_read_b32 v32, v120 offset:20
	v_cndmask_b32_e32 v31, v31, v25, vcc
	v_cmp_eq_u32_e32 vcc, 24, v30
	v_cndmask_b32_e32 v31, v31, v26, vcc
	v_cmp_eq_u32_e32 vcc, 25, v30
	;; [unrolled: 2-line block ×3, first 2 shown]
	v_cndmask_b32_e32 v30, v31, v28, vcc
	s_waitcnt lgkmcnt(0)
	v_fmac_f32_e32 v29, v30, v32
	s_and_saveexec_b64 s[18:19], s[4:5]
	s_cbranch_execz .LBB90_488
; %bb.483:
	v_add_u32_e32 v30, 6, v0
	v_cmp_eq_u32_e32 vcc, 1, v30
	v_cndmask_b32_e32 v31, v2, v3, vcc
	v_cmp_eq_u32_e32 vcc, 2, v30
	v_cndmask_b32_e32 v31, v31, v4, vcc
	v_cmp_eq_u32_e32 vcc, 3, v30
	v_cndmask_b32_e32 v31, v31, v5, vcc
	v_cmp_eq_u32_e32 vcc, 4, v30
	v_cndmask_b32_e32 v31, v31, v6, vcc
	v_cmp_eq_u32_e32 vcc, 5, v30
	v_cndmask_b32_e32 v31, v31, v7, vcc
	v_cmp_eq_u32_e32 vcc, 6, v30
	v_cndmask_b32_e32 v31, v31, v8, vcc
	v_cmp_eq_u32_e32 vcc, 7, v30
	v_cndmask_b32_e32 v31, v31, v9, vcc
	v_cmp_eq_u32_e32 vcc, 8, v30
	v_cndmask_b32_e32 v31, v31, v10, vcc
	v_cmp_eq_u32_e32 vcc, 9, v30
	v_cndmask_b32_e32 v31, v31, v11, vcc
	v_cmp_eq_u32_e32 vcc, 10, v30
	v_cndmask_b32_e32 v31, v31, v12, vcc
	v_cmp_eq_u32_e32 vcc, 11, v30
	v_cndmask_b32_e32 v31, v31, v13, vcc
	v_cmp_eq_u32_e32 vcc, 12, v30
	v_cndmask_b32_e32 v31, v31, v14, vcc
	v_cmp_eq_u32_e32 vcc, 13, v30
	v_cndmask_b32_e32 v31, v31, v15, vcc
	v_cmp_eq_u32_e32 vcc, 14, v30
	v_cndmask_b32_e32 v31, v31, v16, vcc
	v_cmp_eq_u32_e32 vcc, 15, v30
	v_cndmask_b32_e32 v31, v31, v17, vcc
	v_cmp_eq_u32_e32 vcc, 16, v30
	v_cndmask_b32_e32 v31, v31, v18, vcc
	v_cmp_eq_u32_e32 vcc, 17, v30
	v_cndmask_b32_e32 v31, v31, v19, vcc
	v_cmp_eq_u32_e32 vcc, 18, v30
	v_cndmask_b32_e32 v31, v31, v20, vcc
	v_cmp_eq_u32_e32 vcc, 19, v30
	v_cndmask_b32_e32 v31, v31, v21, vcc
	v_cmp_eq_u32_e32 vcc, 20, v30
	v_cndmask_b32_e32 v31, v31, v22, vcc
	v_cmp_eq_u32_e32 vcc, 21, v30
	v_cndmask_b32_e32 v31, v31, v23, vcc
	v_cmp_eq_u32_e32 vcc, 22, v30
	v_cndmask_b32_e32 v31, v31, v24, vcc
	v_cmp_eq_u32_e32 vcc, 23, v30
	ds_read_b32 v32, v120 offset:24
	v_cndmask_b32_e32 v31, v31, v25, vcc
	v_cmp_eq_u32_e32 vcc, 24, v30
	v_cndmask_b32_e32 v31, v31, v26, vcc
	v_cmp_eq_u32_e32 vcc, 25, v30
	;; [unrolled: 2-line block ×3, first 2 shown]
	v_cndmask_b32_e32 v30, v31, v28, vcc
	s_waitcnt lgkmcnt(0)
	v_fmac_f32_e32 v29, v30, v32
	v_cmp_ne_u32_e32 vcc, 2, v0
	s_and_saveexec_b64 s[4:5], vcc
	s_cbranch_execz .LBB90_487
; %bb.484:
	v_add_u32_e32 v30, 7, v0
	v_cmp_eq_u32_e32 vcc, 1, v30
	v_cndmask_b32_e32 v31, v2, v3, vcc
	v_cmp_eq_u32_e32 vcc, 2, v30
	v_cndmask_b32_e32 v31, v31, v4, vcc
	;; [unrolled: 2-line block ×22, first 2 shown]
	v_cmp_eq_u32_e32 vcc, 23, v30
	ds_read_b32 v31, v120 offset:28
	v_cndmask_b32_e32 v11, v11, v25, vcc
	v_cmp_eq_u32_e32 vcc, 24, v30
	v_cndmask_b32_e32 v11, v11, v26, vcc
	v_cmp_eq_u32_e32 vcc, 25, v30
	;; [unrolled: 2-line block ×3, first 2 shown]
	v_cndmask_b32_e32 v11, v11, v28, vcc
	s_waitcnt lgkmcnt(0)
	v_fmac_f32_e32 v29, v11, v31
	s_and_saveexec_b64 s[20:21], s[2:3]
	s_cbranch_execz .LBB90_486
; %bb.485:
	ds_read_b32 v11, v120 offset:32
	s_waitcnt lgkmcnt(0)
	v_fmac_f32_e32 v29, v10, v11
.LBB90_486:
	s_or_b64 exec, exec, s[20:21]
.LBB90_487:
	s_or_b64 exec, exec, s[4:5]
.LBB90_488:
	s_or_b64 exec, exec, s[18:19]
.LBB90_489:
	s_or_b64 exec, exec, s[6:7]
.LBB90_490:
	s_or_b64 exec, exec, s[16:17]
.LBB90_491:
	s_or_b64 exec, exec, s[8:9]
.LBB90_492:
	s_or_b64 exec, exec, s[14:15]
.LBB90_493:
	s_or_b64 exec, exec, s[12:13]
	v_mov_b32_e32 v11, 0
	ds_read_b32 v11, v11 offset:36
	s_waitcnt lgkmcnt(0)
	v_mul_f32_e32 v11, v29, v11
.LBB90_494:
	s_or_b64 exec, exec, s[10:11]
	v_cmp_gt_u32_e32 vcc, 10, v0
	ds_write_b32 v120, v12
	s_waitcnt lgkmcnt(0)
	; wave barrier
	s_and_saveexec_b64 s[4:5], vcc
	s_cbranch_execz .LBB90_504
; %bb.495:
	s_and_b64 vcc, exec, s[0:1]
	s_cbranch_vccnz .LBB90_497
; %bb.496:
	v_cmp_eq_u32_e32 vcc, 1, v0
	v_cndmask_b32_e32 v29, v2, v3, vcc
	v_cmp_eq_u32_e32 vcc, 2, v0
	v_cndmask_b32_e32 v29, v29, v4, vcc
	;; [unrolled: 2-line block ×22, first 2 shown]
	v_cmp_eq_u32_e32 vcc, 23, v0
	ds_read_b32 v30, v120
	v_cndmask_b32_e32 v29, v29, v25, vcc
	v_cmp_eq_u32_e32 vcc, 24, v0
	v_cndmask_b32_e32 v29, v29, v26, vcc
	v_cmp_eq_u32_e32 vcc, 25, v0
	;; [unrolled: 2-line block ×3, first 2 shown]
	v_cndmask_b32_e32 v29, v29, v28, vcc
	s_waitcnt lgkmcnt(0)
	v_mul_f32_e32 v31, v29, v30
	s_cbranch_execz .LBB90_498
	s_branch .LBB90_499
.LBB90_497:
                                        ; implicit-def: $vgpr31
.LBB90_498:
	ds_read_b32 v31, v120
.LBB90_499:
	v_cmp_ne_u32_e32 vcc, 9, v0
	s_and_saveexec_b64 s[6:7], vcc
	s_cbranch_execz .LBB90_503
; %bb.500:
	v_mov_b32_e32 v29, 0x74
	v_lshl_add_u32 v32, v0, 2, v29
	v_mov_b32_e32 v30, v1
	s_mov_b64 s[8:9], 0
	v_mov_b32_e32 v29, v0
.LBB90_501:                             ; =>This Inner Loop Header: Depth=1
	v_add_co_u32_e32 v29, vcc, 1, v29
	v_addc_co_u32_e32 v30, vcc, 0, v30, vcc
	v_cmp_eq_u32_e32 vcc, 1, v29
	v_cndmask_b32_e32 v34, v2, v3, vcc
	v_cmp_lt_u32_e32 vcc, 8, v29
	v_cmp_eq_u32_e64 s[2:3], 2, v29
	v_cndmask_b32_e64 v34, v34, v4, s[2:3]
	s_or_b64 s[8:9], vcc, s[8:9]
	v_cmp_eq_u32_e32 vcc, 3, v29
	v_cndmask_b32_e32 v34, v34, v5, vcc
	v_cmp_eq_u32_e32 vcc, 4, v29
	v_cndmask_b32_e32 v34, v34, v6, vcc
	;; [unrolled: 2-line block ×19, first 2 shown]
	v_cmp_eq_u32_e32 vcc, 22, v29
	ds_read_b32 v33, v32
	v_cndmask_b32_e32 v34, v34, v24, vcc
	v_cmp_eq_u32_e32 vcc, 23, v29
	v_cndmask_b32_e32 v34, v34, v25, vcc
	v_cmp_eq_u32_e32 vcc, 24, v29
	;; [unrolled: 2-line block ×4, first 2 shown]
	v_cndmask_b32_e32 v34, v34, v28, vcc
	v_add_u32_e32 v32, 4, v32
	s_waitcnt lgkmcnt(0)
	v_fmac_f32_e32 v31, v34, v33
	s_andn2_b64 exec, exec, s[8:9]
	s_cbranch_execnz .LBB90_501
; %bb.502:
	s_or_b64 exec, exec, s[8:9]
.LBB90_503:
	s_or_b64 exec, exec, s[6:7]
	v_mov_b32_e32 v12, 0
	ds_read_b32 v12, v12 offset:40
	s_waitcnt lgkmcnt(0)
	v_mul_f32_e32 v12, v31, v12
.LBB90_504:
	s_or_b64 exec, exec, s[4:5]
	v_cmp_gt_u32_e32 vcc, 11, v0
	ds_write_b32 v120, v13
	s_waitcnt lgkmcnt(0)
	; wave barrier
	s_and_saveexec_b64 s[4:5], vcc
	s_cbranch_execz .LBB90_514
; %bb.505:
	s_and_b64 vcc, exec, s[0:1]
	s_cbranch_vccnz .LBB90_507
; %bb.506:
	v_cmp_eq_u32_e32 vcc, 1, v0
	v_cndmask_b32_e32 v29, v2, v3, vcc
	v_cmp_eq_u32_e32 vcc, 2, v0
	v_cndmask_b32_e32 v29, v29, v4, vcc
	;; [unrolled: 2-line block ×22, first 2 shown]
	v_cmp_eq_u32_e32 vcc, 23, v0
	ds_read_b32 v30, v120
	v_cndmask_b32_e32 v29, v29, v25, vcc
	v_cmp_eq_u32_e32 vcc, 24, v0
	v_cndmask_b32_e32 v29, v29, v26, vcc
	v_cmp_eq_u32_e32 vcc, 25, v0
	;; [unrolled: 2-line block ×3, first 2 shown]
	v_cndmask_b32_e32 v29, v29, v28, vcc
	s_waitcnt lgkmcnt(0)
	v_mul_f32_e32 v31, v29, v30
	s_cbranch_execz .LBB90_508
	s_branch .LBB90_509
.LBB90_507:
                                        ; implicit-def: $vgpr31
.LBB90_508:
	ds_read_b32 v31, v120
.LBB90_509:
	v_cmp_ne_u32_e32 vcc, 10, v0
	s_and_saveexec_b64 s[6:7], vcc
	s_cbranch_execz .LBB90_513
; %bb.510:
	v_mov_b32_e32 v29, 0x74
	v_lshl_add_u32 v32, v0, 2, v29
	v_mov_b32_e32 v30, v1
	s_mov_b64 s[8:9], 0
	v_mov_b32_e32 v29, v0
.LBB90_511:                             ; =>This Inner Loop Header: Depth=1
	v_add_co_u32_e32 v29, vcc, 1, v29
	v_addc_co_u32_e32 v30, vcc, 0, v30, vcc
	v_cmp_eq_u32_e32 vcc, 1, v29
	v_cndmask_b32_e32 v34, v2, v3, vcc
	v_cmp_lt_u32_e32 vcc, 9, v29
	v_cmp_eq_u32_e64 s[2:3], 2, v29
	v_cndmask_b32_e64 v34, v34, v4, s[2:3]
	s_or_b64 s[8:9], vcc, s[8:9]
	v_cmp_eq_u32_e32 vcc, 3, v29
	v_cndmask_b32_e32 v34, v34, v5, vcc
	v_cmp_eq_u32_e32 vcc, 4, v29
	v_cndmask_b32_e32 v34, v34, v6, vcc
	v_cmp_eq_u32_e32 vcc, 5, v29
	v_cndmask_b32_e32 v34, v34, v7, vcc
	v_cmp_eq_u32_e32 vcc, 6, v29
	v_cndmask_b32_e32 v34, v34, v8, vcc
	v_cmp_eq_u32_e32 vcc, 7, v29
	v_cndmask_b32_e32 v34, v34, v9, vcc
	v_cmp_eq_u32_e32 vcc, 8, v29
	v_cndmask_b32_e32 v34, v34, v10, vcc
	v_cmp_eq_u32_e32 vcc, 9, v29
	v_cndmask_b32_e32 v34, v34, v11, vcc
	v_cmp_eq_u32_e32 vcc, 10, v29
	v_cndmask_b32_e32 v34, v34, v12, vcc
	v_cmp_eq_u32_e32 vcc, 11, v29
	v_cndmask_b32_e32 v34, v34, v13, vcc
	v_cmp_eq_u32_e32 vcc, 12, v29
	v_cndmask_b32_e32 v34, v34, v14, vcc
	v_cmp_eq_u32_e32 vcc, 13, v29
	v_cndmask_b32_e32 v34, v34, v15, vcc
	v_cmp_eq_u32_e32 vcc, 14, v29
	v_cndmask_b32_e32 v34, v34, v16, vcc
	v_cmp_eq_u32_e32 vcc, 15, v29
	v_cndmask_b32_e32 v34, v34, v17, vcc
	v_cmp_eq_u32_e32 vcc, 16, v29
	v_cndmask_b32_e32 v34, v34, v18, vcc
	v_cmp_eq_u32_e32 vcc, 17, v29
	v_cndmask_b32_e32 v34, v34, v19, vcc
	v_cmp_eq_u32_e32 vcc, 18, v29
	v_cndmask_b32_e32 v34, v34, v20, vcc
	v_cmp_eq_u32_e32 vcc, 19, v29
	v_cndmask_b32_e32 v34, v34, v21, vcc
	v_cmp_eq_u32_e32 vcc, 20, v29
	v_cndmask_b32_e32 v34, v34, v22, vcc
	v_cmp_eq_u32_e32 vcc, 21, v29
	v_cndmask_b32_e32 v34, v34, v23, vcc
	v_cmp_eq_u32_e32 vcc, 22, v29
	ds_read_b32 v33, v32
	v_cndmask_b32_e32 v34, v34, v24, vcc
	v_cmp_eq_u32_e32 vcc, 23, v29
	v_cndmask_b32_e32 v34, v34, v25, vcc
	v_cmp_eq_u32_e32 vcc, 24, v29
	v_cndmask_b32_e32 v34, v34, v26, vcc
	v_cmp_eq_u32_e32 vcc, 25, v29
	v_cndmask_b32_e32 v34, v34, v27, vcc
	v_cmp_eq_u32_e32 vcc, 26, v29
	v_cndmask_b32_e32 v34, v34, v28, vcc
	v_add_u32_e32 v32, 4, v32
	s_waitcnt lgkmcnt(0)
	v_fmac_f32_e32 v31, v34, v33
	s_andn2_b64 exec, exec, s[8:9]
	s_cbranch_execnz .LBB90_511
; %bb.512:
	s_or_b64 exec, exec, s[8:9]
.LBB90_513:
	s_or_b64 exec, exec, s[6:7]
	v_mov_b32_e32 v13, 0
	ds_read_b32 v13, v13 offset:44
	s_waitcnt lgkmcnt(0)
	v_mul_f32_e32 v13, v31, v13
.LBB90_514:
	s_or_b64 exec, exec, s[4:5]
	v_cmp_gt_u32_e32 vcc, 12, v0
	ds_write_b32 v120, v14
	s_waitcnt lgkmcnt(0)
	; wave barrier
	s_and_saveexec_b64 s[4:5], vcc
	s_cbranch_execz .LBB90_524
; %bb.515:
	s_and_b64 vcc, exec, s[0:1]
	s_cbranch_vccnz .LBB90_517
; %bb.516:
	v_cmp_eq_u32_e32 vcc, 1, v0
	v_cndmask_b32_e32 v29, v2, v3, vcc
	v_cmp_eq_u32_e32 vcc, 2, v0
	v_cndmask_b32_e32 v29, v29, v4, vcc
	;; [unrolled: 2-line block ×22, first 2 shown]
	v_cmp_eq_u32_e32 vcc, 23, v0
	ds_read_b32 v30, v120
	v_cndmask_b32_e32 v29, v29, v25, vcc
	v_cmp_eq_u32_e32 vcc, 24, v0
	v_cndmask_b32_e32 v29, v29, v26, vcc
	v_cmp_eq_u32_e32 vcc, 25, v0
	;; [unrolled: 2-line block ×3, first 2 shown]
	v_cndmask_b32_e32 v29, v29, v28, vcc
	s_waitcnt lgkmcnt(0)
	v_mul_f32_e32 v31, v29, v30
	s_cbranch_execz .LBB90_518
	s_branch .LBB90_519
.LBB90_517:
                                        ; implicit-def: $vgpr31
.LBB90_518:
	ds_read_b32 v31, v120
.LBB90_519:
	v_cmp_ne_u32_e32 vcc, 11, v0
	s_and_saveexec_b64 s[6:7], vcc
	s_cbranch_execz .LBB90_523
; %bb.520:
	v_mov_b32_e32 v29, 0x74
	v_lshl_add_u32 v32, v0, 2, v29
	v_mov_b32_e32 v30, v1
	s_mov_b64 s[8:9], 0
	v_mov_b32_e32 v29, v0
.LBB90_521:                             ; =>This Inner Loop Header: Depth=1
	v_add_co_u32_e32 v29, vcc, 1, v29
	v_addc_co_u32_e32 v30, vcc, 0, v30, vcc
	v_cmp_eq_u32_e32 vcc, 1, v29
	v_cndmask_b32_e32 v34, v2, v3, vcc
	v_cmp_lt_u32_e32 vcc, 10, v29
	v_cmp_eq_u32_e64 s[2:3], 2, v29
	v_cndmask_b32_e64 v34, v34, v4, s[2:3]
	s_or_b64 s[8:9], vcc, s[8:9]
	v_cmp_eq_u32_e32 vcc, 3, v29
	v_cndmask_b32_e32 v34, v34, v5, vcc
	v_cmp_eq_u32_e32 vcc, 4, v29
	v_cndmask_b32_e32 v34, v34, v6, vcc
	;; [unrolled: 2-line block ×19, first 2 shown]
	v_cmp_eq_u32_e32 vcc, 22, v29
	ds_read_b32 v33, v32
	v_cndmask_b32_e32 v34, v34, v24, vcc
	v_cmp_eq_u32_e32 vcc, 23, v29
	v_cndmask_b32_e32 v34, v34, v25, vcc
	v_cmp_eq_u32_e32 vcc, 24, v29
	;; [unrolled: 2-line block ×4, first 2 shown]
	v_cndmask_b32_e32 v34, v34, v28, vcc
	v_add_u32_e32 v32, 4, v32
	s_waitcnt lgkmcnt(0)
	v_fmac_f32_e32 v31, v34, v33
	s_andn2_b64 exec, exec, s[8:9]
	s_cbranch_execnz .LBB90_521
; %bb.522:
	s_or_b64 exec, exec, s[8:9]
.LBB90_523:
	s_or_b64 exec, exec, s[6:7]
	v_mov_b32_e32 v14, 0
	ds_read_b32 v14, v14 offset:48
	s_waitcnt lgkmcnt(0)
	v_mul_f32_e32 v14, v31, v14
.LBB90_524:
	s_or_b64 exec, exec, s[4:5]
	v_cmp_gt_u32_e32 vcc, 13, v0
	ds_write_b32 v120, v15
	s_waitcnt lgkmcnt(0)
	; wave barrier
	s_and_saveexec_b64 s[4:5], vcc
	s_cbranch_execz .LBB90_534
; %bb.525:
	s_and_b64 vcc, exec, s[0:1]
	s_cbranch_vccnz .LBB90_527
; %bb.526:
	v_cmp_eq_u32_e32 vcc, 1, v0
	v_cndmask_b32_e32 v29, v2, v3, vcc
	v_cmp_eq_u32_e32 vcc, 2, v0
	v_cndmask_b32_e32 v29, v29, v4, vcc
	;; [unrolled: 2-line block ×22, first 2 shown]
	v_cmp_eq_u32_e32 vcc, 23, v0
	ds_read_b32 v30, v120
	v_cndmask_b32_e32 v29, v29, v25, vcc
	v_cmp_eq_u32_e32 vcc, 24, v0
	v_cndmask_b32_e32 v29, v29, v26, vcc
	v_cmp_eq_u32_e32 vcc, 25, v0
	;; [unrolled: 2-line block ×3, first 2 shown]
	v_cndmask_b32_e32 v29, v29, v28, vcc
	s_waitcnt lgkmcnt(0)
	v_mul_f32_e32 v31, v29, v30
	s_cbranch_execz .LBB90_528
	s_branch .LBB90_529
.LBB90_527:
                                        ; implicit-def: $vgpr31
.LBB90_528:
	ds_read_b32 v31, v120
.LBB90_529:
	v_cmp_ne_u32_e32 vcc, 12, v0
	s_and_saveexec_b64 s[6:7], vcc
	s_cbranch_execz .LBB90_533
; %bb.530:
	v_mov_b32_e32 v29, 0x74
	v_lshl_add_u32 v32, v0, 2, v29
	v_mov_b32_e32 v30, v1
	s_mov_b64 s[8:9], 0
	v_mov_b32_e32 v29, v0
.LBB90_531:                             ; =>This Inner Loop Header: Depth=1
	v_add_co_u32_e32 v29, vcc, 1, v29
	v_addc_co_u32_e32 v30, vcc, 0, v30, vcc
	v_cmp_eq_u32_e32 vcc, 1, v29
	v_cndmask_b32_e32 v34, v2, v3, vcc
	v_cmp_lt_u32_e32 vcc, 11, v29
	v_cmp_eq_u32_e64 s[2:3], 2, v29
	v_cndmask_b32_e64 v34, v34, v4, s[2:3]
	s_or_b64 s[8:9], vcc, s[8:9]
	v_cmp_eq_u32_e32 vcc, 3, v29
	v_cndmask_b32_e32 v34, v34, v5, vcc
	v_cmp_eq_u32_e32 vcc, 4, v29
	v_cndmask_b32_e32 v34, v34, v6, vcc
	;; [unrolled: 2-line block ×19, first 2 shown]
	v_cmp_eq_u32_e32 vcc, 22, v29
	ds_read_b32 v33, v32
	v_cndmask_b32_e32 v34, v34, v24, vcc
	v_cmp_eq_u32_e32 vcc, 23, v29
	v_cndmask_b32_e32 v34, v34, v25, vcc
	v_cmp_eq_u32_e32 vcc, 24, v29
	;; [unrolled: 2-line block ×4, first 2 shown]
	v_cndmask_b32_e32 v34, v34, v28, vcc
	v_add_u32_e32 v32, 4, v32
	s_waitcnt lgkmcnt(0)
	v_fmac_f32_e32 v31, v34, v33
	s_andn2_b64 exec, exec, s[8:9]
	s_cbranch_execnz .LBB90_531
; %bb.532:
	s_or_b64 exec, exec, s[8:9]
.LBB90_533:
	s_or_b64 exec, exec, s[6:7]
	v_mov_b32_e32 v15, 0
	ds_read_b32 v15, v15 offset:52
	s_waitcnt lgkmcnt(0)
	v_mul_f32_e32 v15, v31, v15
.LBB90_534:
	s_or_b64 exec, exec, s[4:5]
	v_cmp_gt_u32_e32 vcc, 14, v0
	ds_write_b32 v120, v16
	s_waitcnt lgkmcnt(0)
	; wave barrier
	s_and_saveexec_b64 s[4:5], vcc
	s_cbranch_execz .LBB90_544
; %bb.535:
	s_and_b64 vcc, exec, s[0:1]
	s_cbranch_vccnz .LBB90_537
; %bb.536:
	v_cmp_eq_u32_e32 vcc, 1, v0
	v_cndmask_b32_e32 v29, v2, v3, vcc
	v_cmp_eq_u32_e32 vcc, 2, v0
	v_cndmask_b32_e32 v29, v29, v4, vcc
	;; [unrolled: 2-line block ×22, first 2 shown]
	v_cmp_eq_u32_e32 vcc, 23, v0
	ds_read_b32 v30, v120
	v_cndmask_b32_e32 v29, v29, v25, vcc
	v_cmp_eq_u32_e32 vcc, 24, v0
	v_cndmask_b32_e32 v29, v29, v26, vcc
	v_cmp_eq_u32_e32 vcc, 25, v0
	;; [unrolled: 2-line block ×3, first 2 shown]
	v_cndmask_b32_e32 v29, v29, v28, vcc
	s_waitcnt lgkmcnt(0)
	v_mul_f32_e32 v31, v29, v30
	s_cbranch_execz .LBB90_538
	s_branch .LBB90_539
.LBB90_537:
                                        ; implicit-def: $vgpr31
.LBB90_538:
	ds_read_b32 v31, v120
.LBB90_539:
	v_cmp_ne_u32_e32 vcc, 13, v0
	s_and_saveexec_b64 s[6:7], vcc
	s_cbranch_execz .LBB90_543
; %bb.540:
	v_mov_b32_e32 v29, 0x74
	v_lshl_add_u32 v32, v0, 2, v29
	v_mov_b32_e32 v30, v1
	s_mov_b64 s[8:9], 0
	v_mov_b32_e32 v29, v0
.LBB90_541:                             ; =>This Inner Loop Header: Depth=1
	v_add_co_u32_e32 v29, vcc, 1, v29
	v_addc_co_u32_e32 v30, vcc, 0, v30, vcc
	v_cmp_eq_u32_e32 vcc, 1, v29
	v_cndmask_b32_e32 v34, v2, v3, vcc
	v_cmp_lt_u32_e32 vcc, 12, v29
	v_cmp_eq_u32_e64 s[2:3], 2, v29
	v_cndmask_b32_e64 v34, v34, v4, s[2:3]
	s_or_b64 s[8:9], vcc, s[8:9]
	v_cmp_eq_u32_e32 vcc, 3, v29
	v_cndmask_b32_e32 v34, v34, v5, vcc
	v_cmp_eq_u32_e32 vcc, 4, v29
	v_cndmask_b32_e32 v34, v34, v6, vcc
	;; [unrolled: 2-line block ×19, first 2 shown]
	v_cmp_eq_u32_e32 vcc, 22, v29
	ds_read_b32 v33, v32
	v_cndmask_b32_e32 v34, v34, v24, vcc
	v_cmp_eq_u32_e32 vcc, 23, v29
	v_cndmask_b32_e32 v34, v34, v25, vcc
	v_cmp_eq_u32_e32 vcc, 24, v29
	;; [unrolled: 2-line block ×4, first 2 shown]
	v_cndmask_b32_e32 v34, v34, v28, vcc
	v_add_u32_e32 v32, 4, v32
	s_waitcnt lgkmcnt(0)
	v_fmac_f32_e32 v31, v34, v33
	s_andn2_b64 exec, exec, s[8:9]
	s_cbranch_execnz .LBB90_541
; %bb.542:
	s_or_b64 exec, exec, s[8:9]
.LBB90_543:
	s_or_b64 exec, exec, s[6:7]
	v_mov_b32_e32 v16, 0
	ds_read_b32 v16, v16 offset:56
	s_waitcnt lgkmcnt(0)
	v_mul_f32_e32 v16, v31, v16
.LBB90_544:
	s_or_b64 exec, exec, s[4:5]
	v_cmp_gt_u32_e32 vcc, 15, v0
	ds_write_b32 v120, v17
	s_waitcnt lgkmcnt(0)
	; wave barrier
	s_and_saveexec_b64 s[4:5], vcc
	s_cbranch_execz .LBB90_554
; %bb.545:
	s_and_b64 vcc, exec, s[0:1]
	s_cbranch_vccnz .LBB90_547
; %bb.546:
	v_cmp_eq_u32_e32 vcc, 1, v0
	v_cndmask_b32_e32 v29, v2, v3, vcc
	v_cmp_eq_u32_e32 vcc, 2, v0
	v_cndmask_b32_e32 v29, v29, v4, vcc
	v_cmp_eq_u32_e32 vcc, 3, v0
	v_cndmask_b32_e32 v29, v29, v5, vcc
	v_cmp_eq_u32_e32 vcc, 4, v0
	v_cndmask_b32_e32 v29, v29, v6, vcc
	v_cmp_eq_u32_e32 vcc, 5, v0
	v_cndmask_b32_e32 v29, v29, v7, vcc
	v_cmp_eq_u32_e32 vcc, 6, v0
	v_cndmask_b32_e32 v29, v29, v8, vcc
	v_cmp_eq_u32_e32 vcc, 7, v0
	v_cndmask_b32_e32 v29, v29, v9, vcc
	v_cmp_eq_u32_e32 vcc, 8, v0
	v_cndmask_b32_e32 v29, v29, v10, vcc
	v_cmp_eq_u32_e32 vcc, 9, v0
	v_cndmask_b32_e32 v29, v29, v11, vcc
	v_cmp_eq_u32_e32 vcc, 10, v0
	v_cndmask_b32_e32 v29, v29, v12, vcc
	v_cmp_eq_u32_e32 vcc, 11, v0
	v_cndmask_b32_e32 v29, v29, v13, vcc
	v_cmp_eq_u32_e32 vcc, 12, v0
	v_cndmask_b32_e32 v29, v29, v14, vcc
	v_cmp_eq_u32_e32 vcc, 13, v0
	v_cndmask_b32_e32 v29, v29, v15, vcc
	v_cmp_eq_u32_e32 vcc, 14, v0
	v_cndmask_b32_e32 v29, v29, v16, vcc
	v_cmp_eq_u32_e32 vcc, 15, v0
	v_cndmask_b32_e32 v29, v29, v17, vcc
	v_cmp_eq_u32_e32 vcc, 16, v0
	v_cndmask_b32_e32 v29, v29, v18, vcc
	v_cmp_eq_u32_e32 vcc, 17, v0
	v_cndmask_b32_e32 v29, v29, v19, vcc
	v_cmp_eq_u32_e32 vcc, 18, v0
	v_cndmask_b32_e32 v29, v29, v20, vcc
	v_cmp_eq_u32_e32 vcc, 19, v0
	v_cndmask_b32_e32 v29, v29, v21, vcc
	v_cmp_eq_u32_e32 vcc, 20, v0
	v_cndmask_b32_e32 v29, v29, v22, vcc
	v_cmp_eq_u32_e32 vcc, 21, v0
	v_cndmask_b32_e32 v29, v29, v23, vcc
	v_cmp_eq_u32_e32 vcc, 22, v0
	v_cndmask_b32_e32 v29, v29, v24, vcc
	v_cmp_eq_u32_e32 vcc, 23, v0
	ds_read_b32 v30, v120
	v_cndmask_b32_e32 v29, v29, v25, vcc
	v_cmp_eq_u32_e32 vcc, 24, v0
	v_cndmask_b32_e32 v29, v29, v26, vcc
	v_cmp_eq_u32_e32 vcc, 25, v0
	;; [unrolled: 2-line block ×3, first 2 shown]
	v_cndmask_b32_e32 v29, v29, v28, vcc
	s_waitcnt lgkmcnt(0)
	v_mul_f32_e32 v31, v29, v30
	s_cbranch_execz .LBB90_548
	s_branch .LBB90_549
.LBB90_547:
                                        ; implicit-def: $vgpr31
.LBB90_548:
	ds_read_b32 v31, v120
.LBB90_549:
	v_cmp_ne_u32_e32 vcc, 14, v0
	s_and_saveexec_b64 s[6:7], vcc
	s_cbranch_execz .LBB90_553
; %bb.550:
	v_mov_b32_e32 v29, 0x74
	v_lshl_add_u32 v32, v0, 2, v29
	v_mov_b32_e32 v30, v1
	s_mov_b64 s[8:9], 0
	v_mov_b32_e32 v29, v0
.LBB90_551:                             ; =>This Inner Loop Header: Depth=1
	v_add_co_u32_e32 v29, vcc, 1, v29
	v_addc_co_u32_e32 v30, vcc, 0, v30, vcc
	v_cmp_eq_u32_e32 vcc, 1, v29
	v_cndmask_b32_e32 v34, v2, v3, vcc
	v_cmp_lt_u32_e32 vcc, 13, v29
	v_cmp_eq_u32_e64 s[2:3], 2, v29
	v_cndmask_b32_e64 v34, v34, v4, s[2:3]
	s_or_b64 s[8:9], vcc, s[8:9]
	v_cmp_eq_u32_e32 vcc, 3, v29
	v_cndmask_b32_e32 v34, v34, v5, vcc
	v_cmp_eq_u32_e32 vcc, 4, v29
	v_cndmask_b32_e32 v34, v34, v6, vcc
	;; [unrolled: 2-line block ×19, first 2 shown]
	v_cmp_eq_u32_e32 vcc, 22, v29
	ds_read_b32 v33, v32
	v_cndmask_b32_e32 v34, v34, v24, vcc
	v_cmp_eq_u32_e32 vcc, 23, v29
	v_cndmask_b32_e32 v34, v34, v25, vcc
	v_cmp_eq_u32_e32 vcc, 24, v29
	;; [unrolled: 2-line block ×4, first 2 shown]
	v_cndmask_b32_e32 v34, v34, v28, vcc
	v_add_u32_e32 v32, 4, v32
	s_waitcnt lgkmcnt(0)
	v_fmac_f32_e32 v31, v34, v33
	s_andn2_b64 exec, exec, s[8:9]
	s_cbranch_execnz .LBB90_551
; %bb.552:
	s_or_b64 exec, exec, s[8:9]
.LBB90_553:
	s_or_b64 exec, exec, s[6:7]
	v_mov_b32_e32 v17, 0
	ds_read_b32 v17, v17 offset:60
	s_waitcnt lgkmcnt(0)
	v_mul_f32_e32 v17, v31, v17
.LBB90_554:
	s_or_b64 exec, exec, s[4:5]
	v_cmp_gt_u32_e32 vcc, 16, v0
	ds_write_b32 v120, v18
	s_waitcnt lgkmcnt(0)
	; wave barrier
	s_and_saveexec_b64 s[4:5], vcc
	s_cbranch_execz .LBB90_564
; %bb.555:
	s_and_b64 vcc, exec, s[0:1]
	s_cbranch_vccnz .LBB90_557
; %bb.556:
	v_cmp_eq_u32_e32 vcc, 1, v0
	v_cndmask_b32_e32 v29, v2, v3, vcc
	v_cmp_eq_u32_e32 vcc, 2, v0
	v_cndmask_b32_e32 v29, v29, v4, vcc
	;; [unrolled: 2-line block ×22, first 2 shown]
	v_cmp_eq_u32_e32 vcc, 23, v0
	ds_read_b32 v30, v120
	v_cndmask_b32_e32 v29, v29, v25, vcc
	v_cmp_eq_u32_e32 vcc, 24, v0
	v_cndmask_b32_e32 v29, v29, v26, vcc
	v_cmp_eq_u32_e32 vcc, 25, v0
	;; [unrolled: 2-line block ×3, first 2 shown]
	v_cndmask_b32_e32 v29, v29, v28, vcc
	s_waitcnt lgkmcnt(0)
	v_mul_f32_e32 v31, v29, v30
	s_cbranch_execz .LBB90_558
	s_branch .LBB90_559
.LBB90_557:
                                        ; implicit-def: $vgpr31
.LBB90_558:
	ds_read_b32 v31, v120
.LBB90_559:
	v_cmp_ne_u32_e32 vcc, 15, v0
	s_and_saveexec_b64 s[6:7], vcc
	s_cbranch_execz .LBB90_563
; %bb.560:
	v_mov_b32_e32 v29, 0x74
	v_lshl_add_u32 v32, v0, 2, v29
	v_mov_b32_e32 v30, v1
	s_mov_b64 s[8:9], 0
	v_mov_b32_e32 v29, v0
.LBB90_561:                             ; =>This Inner Loop Header: Depth=1
	v_add_co_u32_e32 v29, vcc, 1, v29
	v_addc_co_u32_e32 v30, vcc, 0, v30, vcc
	v_cmp_eq_u32_e32 vcc, 1, v29
	v_cndmask_b32_e32 v34, v2, v3, vcc
	v_cmp_lt_u32_e32 vcc, 14, v29
	v_cmp_eq_u32_e64 s[2:3], 2, v29
	v_cndmask_b32_e64 v34, v34, v4, s[2:3]
	s_or_b64 s[8:9], vcc, s[8:9]
	v_cmp_eq_u32_e32 vcc, 3, v29
	v_cndmask_b32_e32 v34, v34, v5, vcc
	v_cmp_eq_u32_e32 vcc, 4, v29
	v_cndmask_b32_e32 v34, v34, v6, vcc
	;; [unrolled: 2-line block ×19, first 2 shown]
	v_cmp_eq_u32_e32 vcc, 22, v29
	ds_read_b32 v33, v32
	v_cndmask_b32_e32 v34, v34, v24, vcc
	v_cmp_eq_u32_e32 vcc, 23, v29
	v_cndmask_b32_e32 v34, v34, v25, vcc
	v_cmp_eq_u32_e32 vcc, 24, v29
	;; [unrolled: 2-line block ×4, first 2 shown]
	v_cndmask_b32_e32 v34, v34, v28, vcc
	v_add_u32_e32 v32, 4, v32
	s_waitcnt lgkmcnt(0)
	v_fmac_f32_e32 v31, v34, v33
	s_andn2_b64 exec, exec, s[8:9]
	s_cbranch_execnz .LBB90_561
; %bb.562:
	s_or_b64 exec, exec, s[8:9]
.LBB90_563:
	s_or_b64 exec, exec, s[6:7]
	v_mov_b32_e32 v18, 0
	ds_read_b32 v18, v18 offset:64
	s_waitcnt lgkmcnt(0)
	v_mul_f32_e32 v18, v31, v18
.LBB90_564:
	s_or_b64 exec, exec, s[4:5]
	v_cmp_gt_u32_e32 vcc, 17, v0
	ds_write_b32 v120, v19
	s_waitcnt lgkmcnt(0)
	; wave barrier
	s_and_saveexec_b64 s[4:5], vcc
	s_cbranch_execz .LBB90_574
; %bb.565:
	s_and_b64 vcc, exec, s[0:1]
	s_cbranch_vccnz .LBB90_567
; %bb.566:
	v_cmp_eq_u32_e32 vcc, 1, v0
	v_cndmask_b32_e32 v29, v2, v3, vcc
	v_cmp_eq_u32_e32 vcc, 2, v0
	v_cndmask_b32_e32 v29, v29, v4, vcc
	;; [unrolled: 2-line block ×22, first 2 shown]
	v_cmp_eq_u32_e32 vcc, 23, v0
	ds_read_b32 v30, v120
	v_cndmask_b32_e32 v29, v29, v25, vcc
	v_cmp_eq_u32_e32 vcc, 24, v0
	v_cndmask_b32_e32 v29, v29, v26, vcc
	v_cmp_eq_u32_e32 vcc, 25, v0
	;; [unrolled: 2-line block ×3, first 2 shown]
	v_cndmask_b32_e32 v29, v29, v28, vcc
	s_waitcnt lgkmcnt(0)
	v_mul_f32_e32 v31, v29, v30
	s_cbranch_execz .LBB90_568
	s_branch .LBB90_569
.LBB90_567:
                                        ; implicit-def: $vgpr31
.LBB90_568:
	ds_read_b32 v31, v120
.LBB90_569:
	v_cmp_ne_u32_e32 vcc, 16, v0
	s_and_saveexec_b64 s[6:7], vcc
	s_cbranch_execz .LBB90_573
; %bb.570:
	v_mov_b32_e32 v29, 0x74
	v_lshl_add_u32 v32, v0, 2, v29
	v_mov_b32_e32 v30, v1
	s_mov_b64 s[8:9], 0
	v_mov_b32_e32 v29, v0
.LBB90_571:                             ; =>This Inner Loop Header: Depth=1
	v_add_co_u32_e32 v29, vcc, 1, v29
	v_addc_co_u32_e32 v30, vcc, 0, v30, vcc
	v_cmp_eq_u32_e32 vcc, 1, v29
	v_cndmask_b32_e32 v34, v2, v3, vcc
	v_cmp_lt_u32_e32 vcc, 15, v29
	v_cmp_eq_u32_e64 s[2:3], 2, v29
	v_cndmask_b32_e64 v34, v34, v4, s[2:3]
	s_or_b64 s[8:9], vcc, s[8:9]
	v_cmp_eq_u32_e32 vcc, 3, v29
	v_cndmask_b32_e32 v34, v34, v5, vcc
	v_cmp_eq_u32_e32 vcc, 4, v29
	v_cndmask_b32_e32 v34, v34, v6, vcc
	;; [unrolled: 2-line block ×19, first 2 shown]
	v_cmp_eq_u32_e32 vcc, 22, v29
	ds_read_b32 v33, v32
	v_cndmask_b32_e32 v34, v34, v24, vcc
	v_cmp_eq_u32_e32 vcc, 23, v29
	v_cndmask_b32_e32 v34, v34, v25, vcc
	v_cmp_eq_u32_e32 vcc, 24, v29
	;; [unrolled: 2-line block ×4, first 2 shown]
	v_cndmask_b32_e32 v34, v34, v28, vcc
	v_add_u32_e32 v32, 4, v32
	s_waitcnt lgkmcnt(0)
	v_fmac_f32_e32 v31, v34, v33
	s_andn2_b64 exec, exec, s[8:9]
	s_cbranch_execnz .LBB90_571
; %bb.572:
	s_or_b64 exec, exec, s[8:9]
.LBB90_573:
	s_or_b64 exec, exec, s[6:7]
	v_mov_b32_e32 v19, 0
	ds_read_b32 v19, v19 offset:68
	s_waitcnt lgkmcnt(0)
	v_mul_f32_e32 v19, v31, v19
.LBB90_574:
	s_or_b64 exec, exec, s[4:5]
	v_cmp_gt_u32_e32 vcc, 18, v0
	ds_write_b32 v120, v20
	s_waitcnt lgkmcnt(0)
	; wave barrier
	s_and_saveexec_b64 s[4:5], vcc
	s_cbranch_execz .LBB90_584
; %bb.575:
	s_and_b64 vcc, exec, s[0:1]
	s_cbranch_vccnz .LBB90_577
; %bb.576:
	v_cmp_eq_u32_e32 vcc, 1, v0
	v_cndmask_b32_e32 v29, v2, v3, vcc
	v_cmp_eq_u32_e32 vcc, 2, v0
	v_cndmask_b32_e32 v29, v29, v4, vcc
	;; [unrolled: 2-line block ×22, first 2 shown]
	v_cmp_eq_u32_e32 vcc, 23, v0
	ds_read_b32 v30, v120
	v_cndmask_b32_e32 v29, v29, v25, vcc
	v_cmp_eq_u32_e32 vcc, 24, v0
	v_cndmask_b32_e32 v29, v29, v26, vcc
	v_cmp_eq_u32_e32 vcc, 25, v0
	;; [unrolled: 2-line block ×3, first 2 shown]
	v_cndmask_b32_e32 v29, v29, v28, vcc
	s_waitcnt lgkmcnt(0)
	v_mul_f32_e32 v31, v29, v30
	s_cbranch_execz .LBB90_578
	s_branch .LBB90_579
.LBB90_577:
                                        ; implicit-def: $vgpr31
.LBB90_578:
	ds_read_b32 v31, v120
.LBB90_579:
	v_cmp_ne_u32_e32 vcc, 17, v0
	s_and_saveexec_b64 s[6:7], vcc
	s_cbranch_execz .LBB90_583
; %bb.580:
	v_mov_b32_e32 v29, 0x74
	v_lshl_add_u32 v32, v0, 2, v29
	v_mov_b32_e32 v30, v1
	s_mov_b64 s[8:9], 0
	v_mov_b32_e32 v29, v0
.LBB90_581:                             ; =>This Inner Loop Header: Depth=1
	v_add_co_u32_e32 v29, vcc, 1, v29
	v_addc_co_u32_e32 v30, vcc, 0, v30, vcc
	v_cmp_eq_u32_e32 vcc, 1, v29
	v_cndmask_b32_e32 v34, v2, v3, vcc
	v_cmp_lt_u32_e32 vcc, 16, v29
	v_cmp_eq_u32_e64 s[2:3], 2, v29
	v_cndmask_b32_e64 v34, v34, v4, s[2:3]
	s_or_b64 s[8:9], vcc, s[8:9]
	v_cmp_eq_u32_e32 vcc, 3, v29
	v_cndmask_b32_e32 v34, v34, v5, vcc
	v_cmp_eq_u32_e32 vcc, 4, v29
	v_cndmask_b32_e32 v34, v34, v6, vcc
	;; [unrolled: 2-line block ×19, first 2 shown]
	v_cmp_eq_u32_e32 vcc, 22, v29
	ds_read_b32 v33, v32
	v_cndmask_b32_e32 v34, v34, v24, vcc
	v_cmp_eq_u32_e32 vcc, 23, v29
	v_cndmask_b32_e32 v34, v34, v25, vcc
	v_cmp_eq_u32_e32 vcc, 24, v29
	;; [unrolled: 2-line block ×4, first 2 shown]
	v_cndmask_b32_e32 v34, v34, v28, vcc
	v_add_u32_e32 v32, 4, v32
	s_waitcnt lgkmcnt(0)
	v_fmac_f32_e32 v31, v34, v33
	s_andn2_b64 exec, exec, s[8:9]
	s_cbranch_execnz .LBB90_581
; %bb.582:
	s_or_b64 exec, exec, s[8:9]
.LBB90_583:
	s_or_b64 exec, exec, s[6:7]
	v_mov_b32_e32 v20, 0
	ds_read_b32 v20, v20 offset:72
	s_waitcnt lgkmcnt(0)
	v_mul_f32_e32 v20, v31, v20
.LBB90_584:
	s_or_b64 exec, exec, s[4:5]
	v_cmp_gt_u32_e32 vcc, 19, v0
	ds_write_b32 v120, v21
	s_waitcnt lgkmcnt(0)
	; wave barrier
	s_and_saveexec_b64 s[4:5], vcc
	s_cbranch_execz .LBB90_594
; %bb.585:
	s_and_b64 vcc, exec, s[0:1]
	s_cbranch_vccnz .LBB90_587
; %bb.586:
	v_cmp_eq_u32_e32 vcc, 1, v0
	v_cndmask_b32_e32 v29, v2, v3, vcc
	v_cmp_eq_u32_e32 vcc, 2, v0
	v_cndmask_b32_e32 v29, v29, v4, vcc
	v_cmp_eq_u32_e32 vcc, 3, v0
	v_cndmask_b32_e32 v29, v29, v5, vcc
	v_cmp_eq_u32_e32 vcc, 4, v0
	v_cndmask_b32_e32 v29, v29, v6, vcc
	v_cmp_eq_u32_e32 vcc, 5, v0
	v_cndmask_b32_e32 v29, v29, v7, vcc
	v_cmp_eq_u32_e32 vcc, 6, v0
	v_cndmask_b32_e32 v29, v29, v8, vcc
	v_cmp_eq_u32_e32 vcc, 7, v0
	v_cndmask_b32_e32 v29, v29, v9, vcc
	v_cmp_eq_u32_e32 vcc, 8, v0
	v_cndmask_b32_e32 v29, v29, v10, vcc
	v_cmp_eq_u32_e32 vcc, 9, v0
	v_cndmask_b32_e32 v29, v29, v11, vcc
	v_cmp_eq_u32_e32 vcc, 10, v0
	v_cndmask_b32_e32 v29, v29, v12, vcc
	v_cmp_eq_u32_e32 vcc, 11, v0
	v_cndmask_b32_e32 v29, v29, v13, vcc
	v_cmp_eq_u32_e32 vcc, 12, v0
	v_cndmask_b32_e32 v29, v29, v14, vcc
	v_cmp_eq_u32_e32 vcc, 13, v0
	v_cndmask_b32_e32 v29, v29, v15, vcc
	v_cmp_eq_u32_e32 vcc, 14, v0
	v_cndmask_b32_e32 v29, v29, v16, vcc
	v_cmp_eq_u32_e32 vcc, 15, v0
	v_cndmask_b32_e32 v29, v29, v17, vcc
	v_cmp_eq_u32_e32 vcc, 16, v0
	v_cndmask_b32_e32 v29, v29, v18, vcc
	v_cmp_eq_u32_e32 vcc, 17, v0
	v_cndmask_b32_e32 v29, v29, v19, vcc
	v_cmp_eq_u32_e32 vcc, 18, v0
	v_cndmask_b32_e32 v29, v29, v20, vcc
	v_cmp_eq_u32_e32 vcc, 19, v0
	v_cndmask_b32_e32 v29, v29, v21, vcc
	v_cmp_eq_u32_e32 vcc, 20, v0
	v_cndmask_b32_e32 v29, v29, v22, vcc
	v_cmp_eq_u32_e32 vcc, 21, v0
	v_cndmask_b32_e32 v29, v29, v23, vcc
	v_cmp_eq_u32_e32 vcc, 22, v0
	v_cndmask_b32_e32 v29, v29, v24, vcc
	v_cmp_eq_u32_e32 vcc, 23, v0
	ds_read_b32 v30, v120
	v_cndmask_b32_e32 v29, v29, v25, vcc
	v_cmp_eq_u32_e32 vcc, 24, v0
	v_cndmask_b32_e32 v29, v29, v26, vcc
	v_cmp_eq_u32_e32 vcc, 25, v0
	v_cndmask_b32_e32 v29, v29, v27, vcc
	v_cmp_eq_u32_e32 vcc, 26, v0
	v_cndmask_b32_e32 v29, v29, v28, vcc
	s_waitcnt lgkmcnt(0)
	v_mul_f32_e32 v31, v29, v30
	s_cbranch_execz .LBB90_588
	s_branch .LBB90_589
.LBB90_587:
                                        ; implicit-def: $vgpr31
.LBB90_588:
	ds_read_b32 v31, v120
.LBB90_589:
	v_cmp_ne_u32_e32 vcc, 18, v0
	s_and_saveexec_b64 s[6:7], vcc
	s_cbranch_execz .LBB90_593
; %bb.590:
	v_mov_b32_e32 v29, 0x74
	v_lshl_add_u32 v32, v0, 2, v29
	v_mov_b32_e32 v30, v1
	s_mov_b64 s[8:9], 0
	v_mov_b32_e32 v29, v0
.LBB90_591:                             ; =>This Inner Loop Header: Depth=1
	v_add_co_u32_e32 v29, vcc, 1, v29
	v_addc_co_u32_e32 v30, vcc, 0, v30, vcc
	v_cmp_eq_u32_e32 vcc, 1, v29
	v_cndmask_b32_e32 v34, v2, v3, vcc
	v_cmp_lt_u32_e32 vcc, 17, v29
	v_cmp_eq_u32_e64 s[2:3], 2, v29
	v_cndmask_b32_e64 v34, v34, v4, s[2:3]
	s_or_b64 s[8:9], vcc, s[8:9]
	v_cmp_eq_u32_e32 vcc, 3, v29
	v_cndmask_b32_e32 v34, v34, v5, vcc
	v_cmp_eq_u32_e32 vcc, 4, v29
	v_cndmask_b32_e32 v34, v34, v6, vcc
	;; [unrolled: 2-line block ×19, first 2 shown]
	v_cmp_eq_u32_e32 vcc, 22, v29
	ds_read_b32 v33, v32
	v_cndmask_b32_e32 v34, v34, v24, vcc
	v_cmp_eq_u32_e32 vcc, 23, v29
	v_cndmask_b32_e32 v34, v34, v25, vcc
	v_cmp_eq_u32_e32 vcc, 24, v29
	;; [unrolled: 2-line block ×4, first 2 shown]
	v_cndmask_b32_e32 v34, v34, v28, vcc
	v_add_u32_e32 v32, 4, v32
	s_waitcnt lgkmcnt(0)
	v_fmac_f32_e32 v31, v34, v33
	s_andn2_b64 exec, exec, s[8:9]
	s_cbranch_execnz .LBB90_591
; %bb.592:
	s_or_b64 exec, exec, s[8:9]
.LBB90_593:
	s_or_b64 exec, exec, s[6:7]
	v_mov_b32_e32 v21, 0
	ds_read_b32 v21, v21 offset:76
	s_waitcnt lgkmcnt(0)
	v_mul_f32_e32 v21, v31, v21
.LBB90_594:
	s_or_b64 exec, exec, s[4:5]
	v_cmp_gt_u32_e32 vcc, 20, v0
	ds_write_b32 v120, v22
	s_waitcnt lgkmcnt(0)
	; wave barrier
	s_and_saveexec_b64 s[4:5], vcc
	s_cbranch_execz .LBB90_604
; %bb.595:
	s_and_b64 vcc, exec, s[0:1]
	s_cbranch_vccnz .LBB90_597
; %bb.596:
	v_cmp_eq_u32_e32 vcc, 1, v0
	v_cndmask_b32_e32 v29, v2, v3, vcc
	v_cmp_eq_u32_e32 vcc, 2, v0
	v_cndmask_b32_e32 v29, v29, v4, vcc
	;; [unrolled: 2-line block ×22, first 2 shown]
	v_cmp_eq_u32_e32 vcc, 23, v0
	ds_read_b32 v30, v120
	v_cndmask_b32_e32 v29, v29, v25, vcc
	v_cmp_eq_u32_e32 vcc, 24, v0
	v_cndmask_b32_e32 v29, v29, v26, vcc
	v_cmp_eq_u32_e32 vcc, 25, v0
	;; [unrolled: 2-line block ×3, first 2 shown]
	v_cndmask_b32_e32 v29, v29, v28, vcc
	s_waitcnt lgkmcnt(0)
	v_mul_f32_e32 v31, v29, v30
	s_cbranch_execz .LBB90_598
	s_branch .LBB90_599
.LBB90_597:
                                        ; implicit-def: $vgpr31
.LBB90_598:
	ds_read_b32 v31, v120
.LBB90_599:
	v_cmp_ne_u32_e32 vcc, 19, v0
	s_and_saveexec_b64 s[6:7], vcc
	s_cbranch_execz .LBB90_603
; %bb.600:
	v_mov_b32_e32 v29, 0x74
	v_lshl_add_u32 v32, v0, 2, v29
	v_mov_b32_e32 v30, v1
	s_mov_b64 s[8:9], 0
	v_mov_b32_e32 v29, v0
.LBB90_601:                             ; =>This Inner Loop Header: Depth=1
	v_add_co_u32_e32 v29, vcc, 1, v29
	v_addc_co_u32_e32 v30, vcc, 0, v30, vcc
	v_cmp_eq_u32_e32 vcc, 1, v29
	v_cndmask_b32_e32 v34, v2, v3, vcc
	v_cmp_lt_u32_e32 vcc, 18, v29
	v_cmp_eq_u32_e64 s[2:3], 2, v29
	v_cndmask_b32_e64 v34, v34, v4, s[2:3]
	s_or_b64 s[8:9], vcc, s[8:9]
	v_cmp_eq_u32_e32 vcc, 3, v29
	v_cndmask_b32_e32 v34, v34, v5, vcc
	v_cmp_eq_u32_e32 vcc, 4, v29
	v_cndmask_b32_e32 v34, v34, v6, vcc
	;; [unrolled: 2-line block ×19, first 2 shown]
	v_cmp_eq_u32_e32 vcc, 22, v29
	ds_read_b32 v33, v32
	v_cndmask_b32_e32 v34, v34, v24, vcc
	v_cmp_eq_u32_e32 vcc, 23, v29
	v_cndmask_b32_e32 v34, v34, v25, vcc
	v_cmp_eq_u32_e32 vcc, 24, v29
	;; [unrolled: 2-line block ×4, first 2 shown]
	v_cndmask_b32_e32 v34, v34, v28, vcc
	v_add_u32_e32 v32, 4, v32
	s_waitcnt lgkmcnt(0)
	v_fmac_f32_e32 v31, v34, v33
	s_andn2_b64 exec, exec, s[8:9]
	s_cbranch_execnz .LBB90_601
; %bb.602:
	s_or_b64 exec, exec, s[8:9]
.LBB90_603:
	s_or_b64 exec, exec, s[6:7]
	v_mov_b32_e32 v22, 0
	ds_read_b32 v22, v22 offset:80
	s_waitcnt lgkmcnt(0)
	v_mul_f32_e32 v22, v31, v22
.LBB90_604:
	s_or_b64 exec, exec, s[4:5]
	v_cmp_gt_u32_e32 vcc, 21, v0
	ds_write_b32 v120, v23
	s_waitcnt lgkmcnt(0)
	; wave barrier
	s_and_saveexec_b64 s[4:5], vcc
	s_cbranch_execz .LBB90_614
; %bb.605:
	s_and_b64 vcc, exec, s[0:1]
	s_cbranch_vccnz .LBB90_607
; %bb.606:
	v_cmp_eq_u32_e32 vcc, 1, v0
	v_cndmask_b32_e32 v29, v2, v3, vcc
	v_cmp_eq_u32_e32 vcc, 2, v0
	v_cndmask_b32_e32 v29, v29, v4, vcc
	;; [unrolled: 2-line block ×22, first 2 shown]
	v_cmp_eq_u32_e32 vcc, 23, v0
	ds_read_b32 v30, v120
	v_cndmask_b32_e32 v29, v29, v25, vcc
	v_cmp_eq_u32_e32 vcc, 24, v0
	v_cndmask_b32_e32 v29, v29, v26, vcc
	v_cmp_eq_u32_e32 vcc, 25, v0
	;; [unrolled: 2-line block ×3, first 2 shown]
	v_cndmask_b32_e32 v29, v29, v28, vcc
	s_waitcnt lgkmcnt(0)
	v_mul_f32_e32 v31, v29, v30
	s_cbranch_execz .LBB90_608
	s_branch .LBB90_609
.LBB90_607:
                                        ; implicit-def: $vgpr31
.LBB90_608:
	ds_read_b32 v31, v120
.LBB90_609:
	v_cmp_ne_u32_e32 vcc, 20, v0
	s_and_saveexec_b64 s[6:7], vcc
	s_cbranch_execz .LBB90_613
; %bb.610:
	v_mov_b32_e32 v29, 0x74
	v_lshl_add_u32 v32, v0, 2, v29
	v_mov_b32_e32 v30, v1
	s_mov_b64 s[8:9], 0
	v_mov_b32_e32 v29, v0
.LBB90_611:                             ; =>This Inner Loop Header: Depth=1
	v_add_co_u32_e32 v29, vcc, 1, v29
	v_addc_co_u32_e32 v30, vcc, 0, v30, vcc
	v_cmp_eq_u32_e32 vcc, 1, v29
	v_cndmask_b32_e32 v34, v2, v3, vcc
	v_cmp_lt_u32_e32 vcc, 19, v29
	v_cmp_eq_u32_e64 s[2:3], 2, v29
	v_cndmask_b32_e64 v34, v34, v4, s[2:3]
	s_or_b64 s[8:9], vcc, s[8:9]
	v_cmp_eq_u32_e32 vcc, 3, v29
	v_cndmask_b32_e32 v34, v34, v5, vcc
	v_cmp_eq_u32_e32 vcc, 4, v29
	v_cndmask_b32_e32 v34, v34, v6, vcc
	;; [unrolled: 2-line block ×19, first 2 shown]
	v_cmp_eq_u32_e32 vcc, 22, v29
	ds_read_b32 v33, v32
	v_cndmask_b32_e32 v34, v34, v24, vcc
	v_cmp_eq_u32_e32 vcc, 23, v29
	v_cndmask_b32_e32 v34, v34, v25, vcc
	v_cmp_eq_u32_e32 vcc, 24, v29
	;; [unrolled: 2-line block ×4, first 2 shown]
	v_cndmask_b32_e32 v34, v34, v28, vcc
	v_add_u32_e32 v32, 4, v32
	s_waitcnt lgkmcnt(0)
	v_fmac_f32_e32 v31, v34, v33
	s_andn2_b64 exec, exec, s[8:9]
	s_cbranch_execnz .LBB90_611
; %bb.612:
	s_or_b64 exec, exec, s[8:9]
.LBB90_613:
	s_or_b64 exec, exec, s[6:7]
	v_mov_b32_e32 v23, 0
	ds_read_b32 v23, v23 offset:84
	s_waitcnt lgkmcnt(0)
	v_mul_f32_e32 v23, v31, v23
.LBB90_614:
	s_or_b64 exec, exec, s[4:5]
	v_cmp_gt_u32_e32 vcc, 22, v0
	ds_write_b32 v120, v24
	s_waitcnt lgkmcnt(0)
	; wave barrier
	s_and_saveexec_b64 s[4:5], vcc
	s_cbranch_execz .LBB90_624
; %bb.615:
	s_and_b64 vcc, exec, s[0:1]
	s_cbranch_vccnz .LBB90_617
; %bb.616:
	v_cmp_eq_u32_e32 vcc, 1, v0
	v_cndmask_b32_e32 v29, v2, v3, vcc
	v_cmp_eq_u32_e32 vcc, 2, v0
	v_cndmask_b32_e32 v29, v29, v4, vcc
	;; [unrolled: 2-line block ×22, first 2 shown]
	v_cmp_eq_u32_e32 vcc, 23, v0
	ds_read_b32 v30, v120
	v_cndmask_b32_e32 v29, v29, v25, vcc
	v_cmp_eq_u32_e32 vcc, 24, v0
	v_cndmask_b32_e32 v29, v29, v26, vcc
	v_cmp_eq_u32_e32 vcc, 25, v0
	;; [unrolled: 2-line block ×3, first 2 shown]
	v_cndmask_b32_e32 v29, v29, v28, vcc
	s_waitcnt lgkmcnt(0)
	v_mul_f32_e32 v31, v29, v30
	s_cbranch_execz .LBB90_618
	s_branch .LBB90_619
.LBB90_617:
                                        ; implicit-def: $vgpr31
.LBB90_618:
	ds_read_b32 v31, v120
.LBB90_619:
	v_cmp_ne_u32_e32 vcc, 21, v0
	s_and_saveexec_b64 s[6:7], vcc
	s_cbranch_execz .LBB90_623
; %bb.620:
	v_mov_b32_e32 v29, 0x74
	v_lshl_add_u32 v32, v0, 2, v29
	v_mov_b32_e32 v30, v1
	s_mov_b64 s[8:9], 0
	v_mov_b32_e32 v29, v0
.LBB90_621:                             ; =>This Inner Loop Header: Depth=1
	v_add_co_u32_e32 v29, vcc, 1, v29
	v_addc_co_u32_e32 v30, vcc, 0, v30, vcc
	v_cmp_eq_u32_e32 vcc, 1, v29
	v_cndmask_b32_e32 v34, v2, v3, vcc
	v_cmp_lt_u32_e32 vcc, 20, v29
	v_cmp_eq_u32_e64 s[2:3], 2, v29
	v_cndmask_b32_e64 v34, v34, v4, s[2:3]
	s_or_b64 s[8:9], vcc, s[8:9]
	v_cmp_eq_u32_e32 vcc, 3, v29
	v_cndmask_b32_e32 v34, v34, v5, vcc
	v_cmp_eq_u32_e32 vcc, 4, v29
	v_cndmask_b32_e32 v34, v34, v6, vcc
	;; [unrolled: 2-line block ×19, first 2 shown]
	v_cmp_eq_u32_e32 vcc, 22, v29
	ds_read_b32 v33, v32
	v_cndmask_b32_e32 v34, v34, v24, vcc
	v_cmp_eq_u32_e32 vcc, 23, v29
	v_cndmask_b32_e32 v34, v34, v25, vcc
	v_cmp_eq_u32_e32 vcc, 24, v29
	;; [unrolled: 2-line block ×4, first 2 shown]
	v_cndmask_b32_e32 v34, v34, v28, vcc
	v_add_u32_e32 v32, 4, v32
	s_waitcnt lgkmcnt(0)
	v_fmac_f32_e32 v31, v34, v33
	s_andn2_b64 exec, exec, s[8:9]
	s_cbranch_execnz .LBB90_621
; %bb.622:
	s_or_b64 exec, exec, s[8:9]
.LBB90_623:
	s_or_b64 exec, exec, s[6:7]
	v_mov_b32_e32 v24, 0
	ds_read_b32 v24, v24 offset:88
	s_waitcnt lgkmcnt(0)
	v_mul_f32_e32 v24, v31, v24
.LBB90_624:
	s_or_b64 exec, exec, s[4:5]
	v_cmp_gt_u32_e32 vcc, 23, v0
	ds_write_b32 v120, v25
	s_waitcnt lgkmcnt(0)
	; wave barrier
	s_and_saveexec_b64 s[4:5], vcc
	s_cbranch_execz .LBB90_634
; %bb.625:
	s_and_b64 vcc, exec, s[0:1]
	s_cbranch_vccnz .LBB90_627
; %bb.626:
	v_cmp_eq_u32_e32 vcc, 1, v0
	v_cndmask_b32_e32 v29, v2, v3, vcc
	v_cmp_eq_u32_e32 vcc, 2, v0
	v_cndmask_b32_e32 v29, v29, v4, vcc
	;; [unrolled: 2-line block ×22, first 2 shown]
	v_cmp_eq_u32_e32 vcc, 23, v0
	ds_read_b32 v30, v120
	v_cndmask_b32_e32 v29, v29, v25, vcc
	v_cmp_eq_u32_e32 vcc, 24, v0
	v_cndmask_b32_e32 v29, v29, v26, vcc
	v_cmp_eq_u32_e32 vcc, 25, v0
	;; [unrolled: 2-line block ×3, first 2 shown]
	v_cndmask_b32_e32 v29, v29, v28, vcc
	s_waitcnt lgkmcnt(0)
	v_mul_f32_e32 v31, v29, v30
	s_cbranch_execz .LBB90_628
	s_branch .LBB90_629
.LBB90_627:
                                        ; implicit-def: $vgpr31
.LBB90_628:
	ds_read_b32 v31, v120
.LBB90_629:
	v_cmp_ne_u32_e32 vcc, 22, v0
	s_and_saveexec_b64 s[6:7], vcc
	s_cbranch_execz .LBB90_633
; %bb.630:
	v_mov_b32_e32 v29, 0x74
	v_lshl_add_u32 v32, v0, 2, v29
	v_mov_b32_e32 v30, v1
	s_mov_b64 s[8:9], 0
	v_mov_b32_e32 v29, v0
.LBB90_631:                             ; =>This Inner Loop Header: Depth=1
	v_add_co_u32_e32 v29, vcc, 1, v29
	v_addc_co_u32_e32 v30, vcc, 0, v30, vcc
	v_cmp_eq_u32_e32 vcc, 1, v29
	v_cndmask_b32_e32 v34, v2, v3, vcc
	v_cmp_lt_u32_e32 vcc, 21, v29
	v_cmp_eq_u32_e64 s[2:3], 2, v29
	v_cndmask_b32_e64 v34, v34, v4, s[2:3]
	s_or_b64 s[8:9], vcc, s[8:9]
	v_cmp_eq_u32_e32 vcc, 3, v29
	v_cndmask_b32_e32 v34, v34, v5, vcc
	v_cmp_eq_u32_e32 vcc, 4, v29
	v_cndmask_b32_e32 v34, v34, v6, vcc
	;; [unrolled: 2-line block ×19, first 2 shown]
	v_cmp_eq_u32_e32 vcc, 22, v29
	ds_read_b32 v33, v32
	v_cndmask_b32_e32 v34, v34, v24, vcc
	v_cmp_eq_u32_e32 vcc, 23, v29
	v_cndmask_b32_e32 v34, v34, v25, vcc
	v_cmp_eq_u32_e32 vcc, 24, v29
	;; [unrolled: 2-line block ×4, first 2 shown]
	v_cndmask_b32_e32 v34, v34, v28, vcc
	v_add_u32_e32 v32, 4, v32
	s_waitcnt lgkmcnt(0)
	v_fmac_f32_e32 v31, v34, v33
	s_andn2_b64 exec, exec, s[8:9]
	s_cbranch_execnz .LBB90_631
; %bb.632:
	s_or_b64 exec, exec, s[8:9]
.LBB90_633:
	s_or_b64 exec, exec, s[6:7]
	v_mov_b32_e32 v25, 0
	ds_read_b32 v25, v25 offset:92
	s_waitcnt lgkmcnt(0)
	v_mul_f32_e32 v25, v31, v25
.LBB90_634:
	s_or_b64 exec, exec, s[4:5]
	v_cmp_gt_u32_e32 vcc, 24, v0
	ds_write_b32 v120, v26
	s_waitcnt lgkmcnt(0)
	; wave barrier
	s_and_saveexec_b64 s[4:5], vcc
	s_cbranch_execz .LBB90_644
; %bb.635:
	s_and_b64 vcc, exec, s[0:1]
	s_cbranch_vccnz .LBB90_637
; %bb.636:
	v_cmp_eq_u32_e32 vcc, 1, v0
	v_cndmask_b32_e32 v29, v2, v3, vcc
	v_cmp_eq_u32_e32 vcc, 2, v0
	v_cndmask_b32_e32 v29, v29, v4, vcc
	;; [unrolled: 2-line block ×22, first 2 shown]
	v_cmp_eq_u32_e32 vcc, 23, v0
	ds_read_b32 v30, v120
	v_cndmask_b32_e32 v29, v29, v25, vcc
	v_cmp_eq_u32_e32 vcc, 24, v0
	v_cndmask_b32_e32 v29, v29, v26, vcc
	v_cmp_eq_u32_e32 vcc, 25, v0
	v_cndmask_b32_e32 v29, v29, v27, vcc
	v_cmp_eq_u32_e32 vcc, 26, v0
	v_cndmask_b32_e32 v29, v29, v28, vcc
	s_waitcnt lgkmcnt(0)
	v_mul_f32_e32 v31, v29, v30
	s_cbranch_execz .LBB90_638
	s_branch .LBB90_639
.LBB90_637:
                                        ; implicit-def: $vgpr31
.LBB90_638:
	ds_read_b32 v31, v120
.LBB90_639:
	v_cmp_ne_u32_e32 vcc, 23, v0
	s_and_saveexec_b64 s[6:7], vcc
	s_cbranch_execz .LBB90_643
; %bb.640:
	v_mov_b32_e32 v29, 0x74
	v_lshl_add_u32 v32, v0, 2, v29
	v_mov_b32_e32 v30, v1
	s_mov_b64 s[8:9], 0
	v_mov_b32_e32 v29, v0
.LBB90_641:                             ; =>This Inner Loop Header: Depth=1
	v_add_co_u32_e32 v29, vcc, 1, v29
	v_addc_co_u32_e32 v30, vcc, 0, v30, vcc
	v_cmp_eq_u32_e32 vcc, 1, v29
	v_cndmask_b32_e32 v34, v2, v3, vcc
	v_cmp_lt_u32_e32 vcc, 22, v29
	v_cmp_eq_u32_e64 s[2:3], 2, v29
	v_cndmask_b32_e64 v34, v34, v4, s[2:3]
	s_or_b64 s[8:9], vcc, s[8:9]
	v_cmp_eq_u32_e32 vcc, 3, v29
	v_cndmask_b32_e32 v34, v34, v5, vcc
	v_cmp_eq_u32_e32 vcc, 4, v29
	v_cndmask_b32_e32 v34, v34, v6, vcc
	;; [unrolled: 2-line block ×19, first 2 shown]
	v_cmp_eq_u32_e32 vcc, 22, v29
	ds_read_b32 v33, v32
	v_cndmask_b32_e32 v34, v34, v24, vcc
	v_cmp_eq_u32_e32 vcc, 23, v29
	v_cndmask_b32_e32 v34, v34, v25, vcc
	v_cmp_eq_u32_e32 vcc, 24, v29
	;; [unrolled: 2-line block ×4, first 2 shown]
	v_cndmask_b32_e32 v34, v34, v28, vcc
	v_add_u32_e32 v32, 4, v32
	s_waitcnt lgkmcnt(0)
	v_fmac_f32_e32 v31, v34, v33
	s_andn2_b64 exec, exec, s[8:9]
	s_cbranch_execnz .LBB90_641
; %bb.642:
	s_or_b64 exec, exec, s[8:9]
.LBB90_643:
	s_or_b64 exec, exec, s[6:7]
	v_mov_b32_e32 v26, 0
	ds_read_b32 v26, v26 offset:96
	s_waitcnt lgkmcnt(0)
	v_mul_f32_e32 v26, v31, v26
.LBB90_644:
	s_or_b64 exec, exec, s[4:5]
	v_cmp_gt_u32_e64 s[2:3], 25, v0
	ds_write_b32 v120, v27
	s_waitcnt lgkmcnt(0)
	; wave barrier
	s_and_saveexec_b64 s[6:7], s[2:3]
	s_cbranch_execz .LBB90_654
; %bb.645:
	s_and_b64 vcc, exec, s[0:1]
	s_cbranch_vccnz .LBB90_647
; %bb.646:
	v_cmp_eq_u32_e32 vcc, 1, v0
	v_cndmask_b32_e32 v29, v2, v3, vcc
	v_cmp_eq_u32_e32 vcc, 2, v0
	v_cndmask_b32_e32 v29, v29, v4, vcc
	;; [unrolled: 2-line block ×22, first 2 shown]
	v_cmp_eq_u32_e32 vcc, 23, v0
	ds_read_b32 v30, v120
	v_cndmask_b32_e32 v29, v29, v25, vcc
	v_cmp_eq_u32_e32 vcc, 24, v0
	v_cndmask_b32_e32 v29, v29, v26, vcc
	v_cmp_eq_u32_e32 vcc, 25, v0
	;; [unrolled: 2-line block ×3, first 2 shown]
	v_cndmask_b32_e32 v29, v29, v28, vcc
	s_waitcnt lgkmcnt(0)
	v_mul_f32_e32 v31, v29, v30
	s_cbranch_execz .LBB90_648
	s_branch .LBB90_649
.LBB90_647:
                                        ; implicit-def: $vgpr31
.LBB90_648:
	ds_read_b32 v31, v120
.LBB90_649:
	v_cmp_ne_u32_e32 vcc, 24, v0
	s_and_saveexec_b64 s[8:9], vcc
	s_cbranch_execz .LBB90_653
; %bb.650:
	v_mov_b32_e32 v29, 0x74
	v_lshl_add_u32 v32, v0, 2, v29
	v_mov_b32_e32 v30, v1
	s_mov_b64 s[10:11], 0
	v_mov_b32_e32 v29, v0
.LBB90_651:                             ; =>This Inner Loop Header: Depth=1
	v_add_co_u32_e32 v29, vcc, 1, v29
	v_addc_co_u32_e32 v30, vcc, 0, v30, vcc
	v_cmp_eq_u32_e32 vcc, 1, v29
	v_cndmask_b32_e32 v34, v2, v3, vcc
	v_cmp_lt_u32_e32 vcc, 23, v29
	v_cmp_eq_u32_e64 s[4:5], 2, v29
	v_cndmask_b32_e64 v34, v34, v4, s[4:5]
	s_or_b64 s[10:11], vcc, s[10:11]
	v_cmp_eq_u32_e32 vcc, 3, v29
	v_cndmask_b32_e32 v34, v34, v5, vcc
	v_cmp_eq_u32_e32 vcc, 4, v29
	v_cndmask_b32_e32 v34, v34, v6, vcc
	;; [unrolled: 2-line block ×19, first 2 shown]
	v_cmp_eq_u32_e32 vcc, 22, v29
	ds_read_b32 v33, v32
	v_cndmask_b32_e32 v34, v34, v24, vcc
	v_cmp_eq_u32_e32 vcc, 23, v29
	v_cndmask_b32_e32 v34, v34, v25, vcc
	v_cmp_eq_u32_e32 vcc, 24, v29
	;; [unrolled: 2-line block ×4, first 2 shown]
	v_cndmask_b32_e32 v34, v34, v28, vcc
	v_add_u32_e32 v32, 4, v32
	s_waitcnt lgkmcnt(0)
	v_fmac_f32_e32 v31, v34, v33
	s_andn2_b64 exec, exec, s[10:11]
	s_cbranch_execnz .LBB90_651
; %bb.652:
	s_or_b64 exec, exec, s[10:11]
.LBB90_653:
	s_or_b64 exec, exec, s[8:9]
	v_mov_b32_e32 v27, 0
	ds_read_b32 v27, v27 offset:100
	s_waitcnt lgkmcnt(0)
	v_mul_f32_e32 v27, v31, v27
.LBB90_654:
	s_or_b64 exec, exec, s[6:7]
	v_cmp_ne_u32_e32 vcc, 26, v0
	ds_write_b32 v120, v28
	s_waitcnt lgkmcnt(0)
	; wave barrier
	s_and_saveexec_b64 s[4:5], vcc
	s_cbranch_execz .LBB90_664
; %bb.655:
	s_and_b64 vcc, exec, s[0:1]
	s_cbranch_vccnz .LBB90_657
; %bb.656:
	v_cmp_eq_u32_e32 vcc, 1, v0
	v_cndmask_b32_e32 v29, v2, v3, vcc
	v_cmp_eq_u32_e32 vcc, 2, v0
	v_cndmask_b32_e32 v29, v29, v4, vcc
	;; [unrolled: 2-line block ×22, first 2 shown]
	v_cmp_eq_u32_e32 vcc, 23, v0
	ds_read_b32 v30, v120
	v_cndmask_b32_e32 v29, v29, v25, vcc
	v_cmp_eq_u32_e32 vcc, 24, v0
	v_cndmask_b32_e32 v29, v29, v26, vcc
	v_cmp_eq_u32_e32 vcc, 25, v0
	;; [unrolled: 2-line block ×3, first 2 shown]
	v_cndmask_b32_e32 v29, v29, v28, vcc
	s_waitcnt lgkmcnt(0)
	v_mul_f32_e32 v29, v29, v30
	s_cbranch_execz .LBB90_658
	s_branch .LBB90_659
.LBB90_657:
                                        ; implicit-def: $vgpr29
.LBB90_658:
	ds_read_b32 v29, v120
.LBB90_659:
	s_and_saveexec_b64 s[6:7], s[2:3]
	s_cbranch_execz .LBB90_663
; %bb.660:
	v_mov_b32_e32 v30, 0x74
	v_lshl_add_u32 v30, v0, 2, v30
	s_mov_b64 s[2:3], 0
.LBB90_661:                             ; =>This Inner Loop Header: Depth=1
	v_add_co_u32_e32 v0, vcc, 1, v0
	v_addc_co_u32_e32 v1, vcc, 0, v1, vcc
	v_cmp_eq_u32_e32 vcc, 1, v0
	v_cndmask_b32_e32 v32, v2, v3, vcc
	v_cmp_lt_u32_e32 vcc, 24, v0
	v_cmp_eq_u32_e64 s[0:1], 2, v0
	v_cndmask_b32_e64 v32, v32, v4, s[0:1]
	s_or_b64 s[2:3], vcc, s[2:3]
	v_cmp_eq_u32_e32 vcc, 3, v0
	v_cndmask_b32_e32 v32, v32, v5, vcc
	v_cmp_eq_u32_e32 vcc, 4, v0
	v_cndmask_b32_e32 v32, v32, v6, vcc
	;; [unrolled: 2-line block ×19, first 2 shown]
	v_cmp_eq_u32_e32 vcc, 22, v0
	ds_read_b32 v31, v30
	v_cndmask_b32_e32 v32, v32, v24, vcc
	v_cmp_eq_u32_e32 vcc, 23, v0
	v_cndmask_b32_e32 v32, v32, v25, vcc
	v_cmp_eq_u32_e32 vcc, 24, v0
	;; [unrolled: 2-line block ×4, first 2 shown]
	v_cndmask_b32_e32 v32, v32, v28, vcc
	v_add_u32_e32 v30, 4, v30
	s_waitcnt lgkmcnt(0)
	v_fmac_f32_e32 v29, v32, v31
	s_andn2_b64 exec, exec, s[2:3]
	s_cbranch_execnz .LBB90_661
; %bb.662:
	s_or_b64 exec, exec, s[2:3]
.LBB90_663:
	s_or_b64 exec, exec, s[6:7]
	v_mov_b32_e32 v0, 0
	ds_read_b32 v0, v0 offset:104
	s_waitcnt lgkmcnt(0)
	v_mul_f32_e32 v28, v29, v0
.LBB90_664:
	s_or_b64 exec, exec, s[4:5]
	v_mov_b32_e32 v65, v33
	v_mov_b32_e32 v64, v32
	;; [unrolled: 1-line block ×32, first 2 shown]
.LBB90_665:
	flat_store_dword v[116:117], v34
	flat_store_dword v[118:119], v35
	;; [unrolled: 1-line block ×27, first 2 shown]
.LBB90_666:
	s_endpgm
	.section	.rodata,"a",@progbits
	.p2align	6, 0x0
	.amdhsa_kernel _ZN9rocsolver6v33100L18trti2_kernel_smallILi27EfPKPfEEv13rocblas_fill_17rocblas_diagonal_T1_iil
		.amdhsa_group_segment_fixed_size 220
		.amdhsa_private_segment_fixed_size 0
		.amdhsa_kernarg_size 32
		.amdhsa_user_sgpr_count 6
		.amdhsa_user_sgpr_private_segment_buffer 1
		.amdhsa_user_sgpr_dispatch_ptr 0
		.amdhsa_user_sgpr_queue_ptr 0
		.amdhsa_user_sgpr_kernarg_segment_ptr 1
		.amdhsa_user_sgpr_dispatch_id 0
		.amdhsa_user_sgpr_flat_scratch_init 0
		.amdhsa_user_sgpr_private_segment_size 0
		.amdhsa_uses_dynamic_stack 0
		.amdhsa_system_sgpr_private_segment_wavefront_offset 0
		.amdhsa_system_sgpr_workgroup_id_x 1
		.amdhsa_system_sgpr_workgroup_id_y 0
		.amdhsa_system_sgpr_workgroup_id_z 0
		.amdhsa_system_sgpr_workgroup_info 0
		.amdhsa_system_vgpr_workitem_id 0
		.amdhsa_next_free_vgpr 138
		.amdhsa_next_free_sgpr 62
		.amdhsa_reserve_vcc 1
		.amdhsa_reserve_flat_scratch 0
		.amdhsa_float_round_mode_32 0
		.amdhsa_float_round_mode_16_64 0
		.amdhsa_float_denorm_mode_32 3
		.amdhsa_float_denorm_mode_16_64 3
		.amdhsa_dx10_clamp 1
		.amdhsa_ieee_mode 1
		.amdhsa_fp16_overflow 0
		.amdhsa_exception_fp_ieee_invalid_op 0
		.amdhsa_exception_fp_denorm_src 0
		.amdhsa_exception_fp_ieee_div_zero 0
		.amdhsa_exception_fp_ieee_overflow 0
		.amdhsa_exception_fp_ieee_underflow 0
		.amdhsa_exception_fp_ieee_inexact 0
		.amdhsa_exception_int_div_zero 0
	.end_amdhsa_kernel
	.section	.text._ZN9rocsolver6v33100L18trti2_kernel_smallILi27EfPKPfEEv13rocblas_fill_17rocblas_diagonal_T1_iil,"axG",@progbits,_ZN9rocsolver6v33100L18trti2_kernel_smallILi27EfPKPfEEv13rocblas_fill_17rocblas_diagonal_T1_iil,comdat
.Lfunc_end90:
	.size	_ZN9rocsolver6v33100L18trti2_kernel_smallILi27EfPKPfEEv13rocblas_fill_17rocblas_diagonal_T1_iil, .Lfunc_end90-_ZN9rocsolver6v33100L18trti2_kernel_smallILi27EfPKPfEEv13rocblas_fill_17rocblas_diagonal_T1_iil
                                        ; -- End function
	.set _ZN9rocsolver6v33100L18trti2_kernel_smallILi27EfPKPfEEv13rocblas_fill_17rocblas_diagonal_T1_iil.num_vgpr, 138
	.set _ZN9rocsolver6v33100L18trti2_kernel_smallILi27EfPKPfEEv13rocblas_fill_17rocblas_diagonal_T1_iil.num_agpr, 0
	.set _ZN9rocsolver6v33100L18trti2_kernel_smallILi27EfPKPfEEv13rocblas_fill_17rocblas_diagonal_T1_iil.numbered_sgpr, 62
	.set _ZN9rocsolver6v33100L18trti2_kernel_smallILi27EfPKPfEEv13rocblas_fill_17rocblas_diagonal_T1_iil.num_named_barrier, 0
	.set _ZN9rocsolver6v33100L18trti2_kernel_smallILi27EfPKPfEEv13rocblas_fill_17rocblas_diagonal_T1_iil.private_seg_size, 0
	.set _ZN9rocsolver6v33100L18trti2_kernel_smallILi27EfPKPfEEv13rocblas_fill_17rocblas_diagonal_T1_iil.uses_vcc, 1
	.set _ZN9rocsolver6v33100L18trti2_kernel_smallILi27EfPKPfEEv13rocblas_fill_17rocblas_diagonal_T1_iil.uses_flat_scratch, 0
	.set _ZN9rocsolver6v33100L18trti2_kernel_smallILi27EfPKPfEEv13rocblas_fill_17rocblas_diagonal_T1_iil.has_dyn_sized_stack, 0
	.set _ZN9rocsolver6v33100L18trti2_kernel_smallILi27EfPKPfEEv13rocblas_fill_17rocblas_diagonal_T1_iil.has_recursion, 0
	.set _ZN9rocsolver6v33100L18trti2_kernel_smallILi27EfPKPfEEv13rocblas_fill_17rocblas_diagonal_T1_iil.has_indirect_call, 0
	.section	.AMDGPU.csdata,"",@progbits
; Kernel info:
; codeLenInByte = 41508
; TotalNumSgprs: 66
; NumVgprs: 138
; ScratchSize: 0
; MemoryBound: 0
; FloatMode: 240
; IeeeMode: 1
; LDSByteSize: 220 bytes/workgroup (compile time only)
; SGPRBlocks: 8
; VGPRBlocks: 34
; NumSGPRsForWavesPerEU: 66
; NumVGPRsForWavesPerEU: 138
; Occupancy: 1
; WaveLimiterHint : 1
; COMPUTE_PGM_RSRC2:SCRATCH_EN: 0
; COMPUTE_PGM_RSRC2:USER_SGPR: 6
; COMPUTE_PGM_RSRC2:TRAP_HANDLER: 0
; COMPUTE_PGM_RSRC2:TGID_X_EN: 1
; COMPUTE_PGM_RSRC2:TGID_Y_EN: 0
; COMPUTE_PGM_RSRC2:TGID_Z_EN: 0
; COMPUTE_PGM_RSRC2:TIDIG_COMP_CNT: 0
	.section	.text._ZN9rocsolver6v33100L18trti2_kernel_smallILi28EfPKPfEEv13rocblas_fill_17rocblas_diagonal_T1_iil,"axG",@progbits,_ZN9rocsolver6v33100L18trti2_kernel_smallILi28EfPKPfEEv13rocblas_fill_17rocblas_diagonal_T1_iil,comdat
	.globl	_ZN9rocsolver6v33100L18trti2_kernel_smallILi28EfPKPfEEv13rocblas_fill_17rocblas_diagonal_T1_iil ; -- Begin function _ZN9rocsolver6v33100L18trti2_kernel_smallILi28EfPKPfEEv13rocblas_fill_17rocblas_diagonal_T1_iil
	.p2align	8
	.type	_ZN9rocsolver6v33100L18trti2_kernel_smallILi28EfPKPfEEv13rocblas_fill_17rocblas_diagonal_T1_iil,@function
_ZN9rocsolver6v33100L18trti2_kernel_smallILi28EfPKPfEEv13rocblas_fill_17rocblas_diagonal_T1_iil: ; @_ZN9rocsolver6v33100L18trti2_kernel_smallILi28EfPKPfEEv13rocblas_fill_17rocblas_diagonal_T1_iil
; %bb.0:
	v_cmp_gt_u32_e32 vcc, 28, v0
	s_and_saveexec_b64 s[0:1], vcc
	s_cbranch_execz .LBB91_692
; %bb.1:
	s_load_dwordx2 s[0:1], s[4:5], 0x10
	s_load_dwordx4 s[60:63], s[4:5], 0x0
	s_ashr_i32 s7, s6, 31
	s_lshl_b64 s[2:3], s[6:7], 3
	v_lshlrev_b32_e32 v34, 2, v0
	s_waitcnt lgkmcnt(0)
	s_ashr_i32 s5, s0, 31
	s_add_u32 s2, s62, s2
	s_addc_u32 s3, s63, s3
	s_load_dwordx2 s[2:3], s[2:3], 0x0
	s_mov_b32 s4, s0
	s_lshl_b64 s[4:5], s[4:5], 2
	v_mov_b32_e32 v35, -1.0
	s_waitcnt lgkmcnt(0)
	s_add_u32 s0, s2, s4
	s_addc_u32 s2, s3, s5
	s_add_i32 s3, s1, s1
	v_add_u32_e32 v1, s3, v0
	v_ashrrev_i32_e32 v2, 31, v1
	v_lshlrev_b64 v[2:3], 2, v[1:2]
	v_add_u32_e32 v1, s1, v1
	v_mov_b32_e32 v4, s2
	v_add_co_u32_e32 v66, vcc, s0, v2
	v_ashrrev_i32_e32 v2, 31, v1
	v_addc_co_u32_e32 v67, vcc, v4, v3, vcc
	v_lshlrev_b64 v[2:3], 2, v[1:2]
	v_add_u32_e32 v1, s1, v1
	v_add_co_u32_e32 v68, vcc, s0, v2
	v_ashrrev_i32_e32 v2, 31, v1
	v_addc_co_u32_e32 v69, vcc, v4, v3, vcc
	v_lshlrev_b64 v[2:3], 2, v[1:2]
	v_add_u32_e32 v1, s1, v1
	;; [unrolled: 5-line block ×24, first 2 shown]
	v_add_co_u32_e32 v114, vcc, s0, v2
	v_ashrrev_i32_e32 v2, 31, v1
	v_lshlrev_b64 v[1:2], 2, v[1:2]
	v_addc_co_u32_e32 v115, vcc, v4, v3, vcc
	v_mov_b32_e32 v3, s2
	v_add_co_u32_e32 v116, vcc, s0, v1
	v_addc_co_u32_e32 v117, vcc, v3, v2, vcc
	v_mov_b32_e32 v1, s2
	v_add_co_u32_e32 v118, vcc, s0, v34
	s_ashr_i32 s3, s1, 31
	s_mov_b32 s2, s1
	v_addc_co_u32_e32 v119, vcc, 0, v1, vcc
	s_lshl_b64 s[0:1], s[2:3], 2
	v_mov_b32_e32 v1, s1
	v_add_co_u32_e32 v120, vcc, s0, v118
	v_addc_co_u32_e32 v121, vcc, v119, v1, vcc
	flat_load_dword v2, v[118:119]
	flat_load_dword v3, v[120:121]
	;; [unrolled: 1-line block ×28, first 2 shown]
	s_cmpk_lg_i32 s61, 0x84
	v_mov_b32_e32 v1, 0
	s_cselect_b64 s[58:59], -1, 0
	s_cmpk_eq_i32 s61, 0x84
	v_cmp_eq_u32_e64 s[0:1], 0, v0
	s_cbranch_scc1 .LBB91_3
; %bb.2:
	v_cmp_eq_u32_e64 s[2:3], 1, v0
	s_waitcnt vmcnt(0) lgkmcnt(0)
	v_cndmask_b32_e64 v30, v2, v3, s[2:3]
	v_cmp_eq_u32_e64 s[4:5], 2, v0
	v_cndmask_b32_e64 v30, v30, v4, s[4:5]
	v_cmp_eq_u32_e64 s[6:7], 3, v0
	;; [unrolled: 2-line block ×26, first 2 shown]
	v_cndmask_b32_e64 v30, v30, v29, s[56:57]
	v_div_scale_f32 v31, s[62:63], v30, v30, 1.0
	v_div_scale_f32 v32, vcc, 1.0, v30, 1.0
	v_rcp_f32_e32 v33, v31
	v_fma_f32 v35, -v31, v33, 1.0
	v_fmac_f32_e32 v33, v35, v33
	v_mul_f32_e32 v35, v32, v33
	v_fma_f32 v36, -v31, v35, v32
	v_fmac_f32_e32 v35, v36, v33
	v_fma_f32 v31, -v31, v35, v32
	v_div_fmas_f32 v31, v31, v33, v35
	v_div_fixup_f32 v30, v31, v30, 1.0
	v_cndmask_b32_e64 v29, v29, v30, s[56:57]
	v_cndmask_b32_e64 v28, v28, v30, s[54:55]
	;; [unrolled: 1-line block ×28, first 2 shown]
	v_xor_b32_e32 v35, 0x80000000, v30
.LBB91_3:
	s_cmpk_eq_i32 s60, 0x79
	v_add_u32_e32 v122, 0x70, v34
	ds_write_b32 v34, v35
	s_cbranch_scc1 .LBB91_7
; %bb.4:
	s_waitcnt vmcnt(0) lgkmcnt(0)
	v_mov_b32_e32 v65, v33
	v_mov_b32_e32 v64, v32
	;; [unrolled: 1-line block ×32, first 2 shown]
	v_cmp_eq_u32_e64 s[0:1], 27, v0
	ds_write_b32 v122, v28
	s_waitcnt lgkmcnt(0)
	; wave barrier
	s_and_saveexec_b64 s[2:3], s[0:1]
	s_cbranch_execz .LBB91_11
; %bb.5:
	s_and_b64 vcc, exec, s[58:59]
	s_cbranch_vccz .LBB91_8
; %bb.6:
	v_cmp_eq_u32_e32 vcc, 1, v0
	v_cndmask_b32_e32 v34, v2, v3, vcc
	v_cmp_eq_u32_e32 vcc, 2, v0
	v_cndmask_b32_e32 v34, v34, v4, vcc
	;; [unrolled: 2-line block ×23, first 2 shown]
	v_cmp_eq_u32_e32 vcc, 24, v0
	ds_read_b32 v35, v122
	v_cndmask_b32_e32 v34, v34, v26, vcc
	v_cmp_eq_u32_e32 vcc, 25, v0
	v_cndmask_b32_e32 v34, v34, v27, vcc
	v_cmp_eq_u32_e32 vcc, 26, v0
	;; [unrolled: 2-line block ×3, first 2 shown]
	v_cndmask_b32_e32 v34, v34, v29, vcc
	s_waitcnt lgkmcnt(0)
	v_mul_f32_e32 v38, v34, v35
	s_cbranch_execz .LBB91_9
	s_branch .LBB91_10
.LBB91_7:
                                        ; implicit-def: $vgpr34_vgpr35_vgpr36_vgpr37_vgpr38_vgpr39_vgpr40_vgpr41_vgpr42_vgpr43_vgpr44_vgpr45_vgpr46_vgpr47_vgpr48_vgpr49_vgpr50_vgpr51_vgpr52_vgpr53_vgpr54_vgpr55_vgpr56_vgpr57_vgpr58_vgpr59_vgpr60_vgpr61_vgpr62_vgpr63_vgpr64_vgpr65
	s_cbranch_execnz .LBB91_418
	s_branch .LBB91_691
.LBB91_8:
                                        ; implicit-def: $vgpr38
.LBB91_9:
	ds_read_b32 v38, v122
.LBB91_10:
	v_mov_b32_e32 v34, 0
	ds_read_b32 v39, v34 offset:104
	v_mov_b32_e32 v34, v2
	v_mov_b32_e32 v35, v3
	;; [unrolled: 1-line block ×4, first 2 shown]
	s_waitcnt lgkmcnt(0)
	v_mul_f32_e32 v60, v38, v39
	v_mov_b32_e32 v38, v6
	v_mov_b32_e32 v39, v7
	;; [unrolled: 1-line block ×23, first 2 shown]
.LBB91_11:
	s_or_b64 exec, exec, s[2:3]
	v_cmp_lt_u32_e64 s[2:3], 25, v0
	ds_write_b32 v122, v59
	s_waitcnt lgkmcnt(0)
	; wave barrier
	s_and_saveexec_b64 s[4:5], s[2:3]
	s_cbranch_execz .LBB91_17
; %bb.12:
	s_andn2_b64 vcc, exec, s[58:59]
	s_cbranch_vccnz .LBB91_14
; %bb.13:
	v_cmp_eq_u32_e32 vcc, 1, v0
	v_cndmask_b32_e32 v62, v34, v35, vcc
	v_cmp_eq_u32_e32 vcc, 2, v0
	v_cndmask_b32_e32 v62, v62, v36, vcc
	;; [unrolled: 2-line block ×25, first 2 shown]
	ds_read_b32 v62, v122
	v_cmp_eq_u32_e32 vcc, 26, v0
	v_cndmask_b32_e32 v59, v59, v60, vcc
	v_cmp_eq_u32_e32 vcc, 27, v0
	v_cndmask_b32_e32 v59, v59, v61, vcc
	s_waitcnt lgkmcnt(0)
	v_mul_f32_e32 v59, v59, v62
	s_cbranch_execz .LBB91_15
	s_branch .LBB91_16
.LBB91_14:
                                        ; implicit-def: $vgpr59
.LBB91_15:
	ds_read_b32 v59, v122
.LBB91_16:
	v_mov_b32_e32 v62, 0
	ds_read2_b32 v[62:63], v62 offset0:25 offset1:54
	s_waitcnt lgkmcnt(0)
	v_fma_f32 v63, v60, v63, v59
	v_cndmask_b32_e64 v59, v59, v63, s[0:1]
	v_mul_f32_e32 v59, v59, v62
.LBB91_17:
	s_or_b64 exec, exec, s[4:5]
	v_cmp_lt_u32_e64 s[0:1], 24, v0
	ds_write_b32 v122, v58
	s_waitcnt lgkmcnt(0)
	; wave barrier
	s_and_saveexec_b64 s[4:5], s[0:1]
	s_cbranch_execz .LBB91_33
; %bb.18:
	s_andn2_b64 vcc, exec, s[58:59]
	s_cbranch_vccnz .LBB91_20
; %bb.19:
	v_cmp_eq_u32_e32 vcc, 1, v0
	v_cndmask_b32_e32 v123, v34, v35, vcc
	v_cmp_eq_u32_e32 vcc, 2, v0
	v_cndmask_b32_e32 v123, v123, v36, vcc
	;; [unrolled: 2-line block ×23, first 2 shown]
	v_cmp_eq_u32_e32 vcc, 24, v0
	ds_read_b32 v124, v122
	v_cndmask_b32_e32 v123, v123, v58, vcc
	v_cmp_eq_u32_e32 vcc, 25, v0
	v_cndmask_b32_e32 v123, v123, v59, vcc
	v_cmp_eq_u32_e32 vcc, 26, v0
	;; [unrolled: 2-line block ×3, first 2 shown]
	v_cndmask_b32_e32 v123, v123, v61, vcc
	s_waitcnt lgkmcnt(0)
	v_mul_f32_e32 v123, v123, v124
	s_cbranch_execz .LBB91_21
	s_branch .LBB91_22
.LBB91_20:
                                        ; implicit-def: $vgpr123
.LBB91_21:
	ds_read_b32 v123, v122
.LBB91_22:
	s_and_saveexec_b64 s[6:7], s[2:3]
	s_cbranch_execz .LBB91_32
; %bb.23:
	v_subrev_u32_e32 v126, 26, v0
	v_mov_b32_e32 v124, 25
	v_subrev_u32_e32 v125, 25, v0
	v_cmp_lt_u32_e32 vcc, 6, v126
	s_and_saveexec_b64 s[2:3], vcc
	s_cbranch_execz .LBB91_27
; %bb.24:
	v_and_b32_e32 v124, -8, v125
	v_sub_u32_e32 v126, 0, v124
	s_mov_b64 s[8:9], 32
	s_movk_i32 s12, 0xd4
	s_mov_b64 s[10:11], 0
.LBB91_25:                              ; =>This Inner Loop Header: Depth=1
	s_add_i32 s13, s8, -7
	v_mov_b32_e32 v124, s12
	s_add_i32 s14, s8, -6
	s_set_gpr_idx_on s13, gpr_idx(SRC0)
	v_mov_b32_e32 v133, v34
	s_set_gpr_idx_off
	ds_read2_b32 v[127:128], v124 offset1:1
	s_add_i32 s15, s8, -5
	s_set_gpr_idx_on s14, gpr_idx(SRC0)
	v_mov_b32_e32 v134, v34
	s_set_gpr_idx_off
	s_add_i32 s16, s8, -4
	s_set_gpr_idx_on s15, gpr_idx(SRC0)
	v_mov_b32_e32 v135, v34
	s_set_gpr_idx_off
	ds_read2_b32 v[129:130], v124 offset0:2 offset1:3
	s_add_i32 s17, s8, -3
	s_set_gpr_idx_on s16, gpr_idx(SRC0)
	v_mov_b32_e32 v136, v34
	s_set_gpr_idx_off
	s_add_i32 s18, s8, -2
	s_set_gpr_idx_on s17, gpr_idx(SRC0)
	v_mov_b32_e32 v137, v34
	s_set_gpr_idx_off
	ds_read2_b32 v[131:132], v124 offset0:4 offset1:5
	s_add_i32 s19, s8, -1
	s_waitcnt lgkmcnt(2)
	v_fmac_f32_e32 v123, v133, v127
	s_set_gpr_idx_on s18, gpr_idx(SRC0)
	v_mov_b32_e32 v133, v34
	s_set_gpr_idx_off
	v_fmac_f32_e32 v123, v134, v128
	s_set_gpr_idx_on s19, gpr_idx(SRC0)
	v_mov_b32_e32 v134, v34
	s_set_gpr_idx_off
	ds_read2_b32 v[127:128], v124 offset0:6 offset1:7
	s_waitcnt lgkmcnt(2)
	v_fmac_f32_e32 v123, v135, v129
	s_set_gpr_idx_on s8, gpr_idx(SRC0)
	v_mov_b32_e32 v129, v34
	s_set_gpr_idx_off
	v_fmac_f32_e32 v123, v136, v130
	s_add_u32 s8, s8, 8
	s_waitcnt lgkmcnt(1)
	v_fmac_f32_e32 v123, v137, v131
	v_add_u32_e32 v124, s8, v126
	v_fmac_f32_e32 v123, v133, v132
	s_addc_u32 s9, s9, 0
	s_add_i32 s12, s12, 32
	s_add_i32 s13, s8, -7
	v_cmp_eq_u32_e32 vcc, 32, v124
	s_waitcnt lgkmcnt(0)
	v_fmac_f32_e32 v123, v134, v127
	v_mov_b32_e32 v124, s13
	s_or_b64 s[10:11], vcc, s[10:11]
	v_fmac_f32_e32 v123, v129, v128
	s_andn2_b64 exec, exec, s[10:11]
	s_cbranch_execnz .LBB91_25
; %bb.26:
	s_or_b64 exec, exec, s[10:11]
.LBB91_27:
	s_or_b64 exec, exec, s[2:3]
	v_and_b32_e32 v62, 7, v125
	v_cmp_ne_u32_e32 vcc, 0, v62
	s_and_saveexec_b64 s[8:9], vcc
	s_cbranch_execz .LBB91_31
; %bb.28:
	v_mov_b32_e32 v63, 0x70
	v_lshl_add_u32 v63, v124, 2, v63
	v_mov_b32_e32 v64, 0
	s_mov_b64 s[10:11], 0
.LBB91_29:                              ; =>This Inner Loop Header: Depth=1
	v_cmp_eq_u32_e32 vcc, 1, v124
	v_cndmask_b32_e32 v65, v34, v35, vcc
	v_add_u32_e32 v62, -1, v62
	v_cmp_eq_u32_e32 vcc, 2, v124
	v_cndmask_b32_e32 v65, v65, v36, vcc
	v_cmp_eq_u32_e32 vcc, 0, v62
	v_cmp_eq_u32_e64 s[2:3], 3, v124
	v_cndmask_b32_e64 v65, v65, v37, s[2:3]
	s_or_b64 s[10:11], vcc, s[10:11]
	v_cmp_eq_u32_e32 vcc, 4, v124
	v_cndmask_b32_e32 v65, v65, v38, vcc
	v_cmp_eq_u32_e32 vcc, 5, v124
	v_cndmask_b32_e32 v65, v65, v39, vcc
	v_cmp_eq_u32_e32 vcc, 6, v124
	v_cndmask_b32_e32 v65, v65, v40, vcc
	v_cmp_eq_u32_e32 vcc, 7, v124
	v_cndmask_b32_e32 v65, v65, v41, vcc
	v_cmp_eq_u32_e32 vcc, 8, v124
	v_cndmask_b32_e32 v65, v65, v42, vcc
	v_cmp_eq_u32_e32 vcc, 9, v124
	v_cndmask_b32_e32 v65, v65, v43, vcc
	v_cmp_eq_u32_e32 vcc, 10, v124
	v_cndmask_b32_e32 v65, v65, v44, vcc
	v_cmp_eq_u32_e32 vcc, 11, v124
	v_cndmask_b32_e32 v65, v65, v45, vcc
	v_cmp_eq_u32_e32 vcc, 12, v124
	v_cndmask_b32_e32 v65, v65, v46, vcc
	v_cmp_eq_u32_e32 vcc, 13, v124
	v_cndmask_b32_e32 v65, v65, v47, vcc
	v_cmp_eq_u32_e32 vcc, 14, v124
	v_cndmask_b32_e32 v65, v65, v48, vcc
	v_cmp_eq_u32_e32 vcc, 15, v124
	v_cndmask_b32_e32 v65, v65, v49, vcc
	v_cmp_eq_u32_e32 vcc, 16, v124
	v_cndmask_b32_e32 v65, v65, v50, vcc
	v_cmp_eq_u32_e32 vcc, 17, v124
	v_cndmask_b32_e32 v65, v65, v51, vcc
	v_cmp_eq_u32_e32 vcc, 18, v124
	v_cndmask_b32_e32 v65, v65, v52, vcc
	v_cmp_eq_u32_e32 vcc, 19, v124
	v_cndmask_b32_e32 v65, v65, v53, vcc
	v_cmp_eq_u32_e32 vcc, 20, v124
	v_cndmask_b32_e32 v65, v65, v54, vcc
	v_cmp_eq_u32_e32 vcc, 21, v124
	v_cndmask_b32_e32 v65, v65, v55, vcc
	v_cmp_eq_u32_e32 vcc, 22, v124
	v_cndmask_b32_e32 v65, v65, v56, vcc
	v_cmp_eq_u32_e32 vcc, 23, v124
	ds_read_b32 v125, v63
	v_cndmask_b32_e32 v65, v65, v57, vcc
	v_cmp_eq_u32_e32 vcc, 24, v124
	v_cndmask_b32_e32 v65, v65, v58, vcc
	v_cmp_eq_u32_e32 vcc, 25, v124
	;; [unrolled: 2-line block ×4, first 2 shown]
	v_add_co_u32_e64 v124, s[2:3], 1, v124
	v_cndmask_b32_e32 v65, v65, v61, vcc
	v_add_u32_e32 v63, 4, v63
	v_addc_co_u32_e64 v64, s[2:3], 0, v64, s[2:3]
	s_waitcnt lgkmcnt(0)
	v_fmac_f32_e32 v123, v65, v125
	s_andn2_b64 exec, exec, s[10:11]
	s_cbranch_execnz .LBB91_29
; %bb.30:
	s_or_b64 exec, exec, s[10:11]
.LBB91_31:
	s_or_b64 exec, exec, s[8:9]
.LBB91_32:
	s_or_b64 exec, exec, s[6:7]
	v_mov_b32_e32 v58, 0
	ds_read_b32 v58, v58 offset:96
	s_waitcnt lgkmcnt(0)
	v_mul_f32_e32 v58, v123, v58
.LBB91_33:
	s_or_b64 exec, exec, s[4:5]
	v_cmp_lt_u32_e64 s[2:3], 23, v0
	ds_write_b32 v122, v57
	s_waitcnt lgkmcnt(0)
	; wave barrier
	s_and_saveexec_b64 s[4:5], s[2:3]
	s_cbranch_execz .LBB91_49
; %bb.34:
	s_andn2_b64 vcc, exec, s[58:59]
	s_cbranch_vccnz .LBB91_36
; %bb.35:
	v_cmp_eq_u32_e32 vcc, 1, v0
	v_cndmask_b32_e32 v123, v34, v35, vcc
	v_cmp_eq_u32_e32 vcc, 2, v0
	v_cndmask_b32_e32 v123, v123, v36, vcc
	;; [unrolled: 2-line block ×23, first 2 shown]
	v_cmp_eq_u32_e32 vcc, 24, v0
	ds_read_b32 v124, v122
	v_cndmask_b32_e32 v123, v123, v58, vcc
	v_cmp_eq_u32_e32 vcc, 25, v0
	v_cndmask_b32_e32 v123, v123, v59, vcc
	v_cmp_eq_u32_e32 vcc, 26, v0
	;; [unrolled: 2-line block ×3, first 2 shown]
	v_cndmask_b32_e32 v123, v123, v61, vcc
	s_waitcnt lgkmcnt(0)
	v_mul_f32_e32 v123, v123, v124
	s_cbranch_execz .LBB91_37
	s_branch .LBB91_38
.LBB91_36:
                                        ; implicit-def: $vgpr123
.LBB91_37:
	ds_read_b32 v123, v122
.LBB91_38:
	s_and_saveexec_b64 s[6:7], s[0:1]
	s_cbranch_execz .LBB91_48
; %bb.39:
	v_subrev_u32_e32 v124, 25, v0
	v_cmp_lt_u32_e32 vcc, 6, v124
	v_mov_b32_e32 v124, 24
	s_and_saveexec_b64 s[0:1], vcc
	s_cbranch_execz .LBB91_43
; %bb.40:
	v_and_b32_e32 v124, 24, v0
	v_sub_u32_e32 v125, 0, v124
	s_mov_b64 s[8:9], 31
	s_movk_i32 s12, 0xd0
	s_mov_b64 s[10:11], 0
.LBB91_41:                              ; =>This Inner Loop Header: Depth=1
	s_add_i32 s13, s8, -7
	v_mov_b32_e32 v124, s12
	s_add_i32 s14, s8, -6
	s_set_gpr_idx_on s13, gpr_idx(SRC0)
	v_mov_b32_e32 v134, v34
	s_set_gpr_idx_off
	s_add_i32 s15, s8, -5
	ds_read_b128 v[126:129], v124
	ds_read_b128 v[130:133], v124 offset:16
	s_set_gpr_idx_on s14, gpr_idx(SRC0)
	v_mov_b32_e32 v124, v34
	s_set_gpr_idx_off
	s_add_i32 s16, s8, -4
	s_set_gpr_idx_on s15, gpr_idx(SRC0)
	v_mov_b32_e32 v135, v34
	s_set_gpr_idx_off
	s_add_i32 s17, s8, -3
	;; [unrolled: 4-line block ×4, first 2 shown]
	s_waitcnt lgkmcnt(1)
	v_fmac_f32_e32 v123, v134, v126
	s_set_gpr_idx_on s18, gpr_idx(SRC0)
	v_mov_b32_e32 v126, v34
	s_set_gpr_idx_off
	v_fmac_f32_e32 v123, v124, v127
	s_set_gpr_idx_on s19, gpr_idx(SRC0)
	v_mov_b32_e32 v127, v34
	s_set_gpr_idx_off
	;; [unrolled: 4-line block ×3, first 2 shown]
	v_fmac_f32_e32 v123, v136, v129
	s_add_u32 s8, s8, 8
	s_waitcnt lgkmcnt(0)
	v_fmac_f32_e32 v123, v137, v130
	v_add_u32_e32 v124, s8, v125
	v_fmac_f32_e32 v123, v126, v131
	s_addc_u32 s9, s9, 0
	s_add_i32 s12, s12, 32
	s_add_i32 s13, s8, -7
	v_cmp_eq_u32_e32 vcc, 7, v124
	v_fmac_f32_e32 v123, v127, v132
	v_mov_b32_e32 v124, s13
	s_or_b64 s[10:11], vcc, s[10:11]
	v_fmac_f32_e32 v123, v128, v133
	s_andn2_b64 exec, exec, s[10:11]
	s_cbranch_execnz .LBB91_41
; %bb.42:
	s_or_b64 exec, exec, s[10:11]
.LBB91_43:
	s_or_b64 exec, exec, s[0:1]
	v_and_b32_e32 v62, 7, v0
	v_cmp_ne_u32_e32 vcc, 0, v62
	s_and_saveexec_b64 s[8:9], vcc
	s_cbranch_execz .LBB91_47
; %bb.44:
	v_mov_b32_e32 v63, 0x70
	v_lshl_add_u32 v63, v124, 2, v63
	v_mov_b32_e32 v64, 0
	s_mov_b64 s[10:11], 0
.LBB91_45:                              ; =>This Inner Loop Header: Depth=1
	v_cmp_eq_u32_e32 vcc, 1, v124
	v_cndmask_b32_e32 v65, v34, v35, vcc
	v_add_u32_e32 v62, -1, v62
	v_cmp_eq_u32_e32 vcc, 2, v124
	v_cndmask_b32_e32 v65, v65, v36, vcc
	v_cmp_eq_u32_e32 vcc, 0, v62
	v_cmp_eq_u32_e64 s[0:1], 3, v124
	v_cndmask_b32_e64 v65, v65, v37, s[0:1]
	s_or_b64 s[10:11], vcc, s[10:11]
	v_cmp_eq_u32_e32 vcc, 4, v124
	v_cndmask_b32_e32 v65, v65, v38, vcc
	v_cmp_eq_u32_e32 vcc, 5, v124
	v_cndmask_b32_e32 v65, v65, v39, vcc
	;; [unrolled: 2-line block ×19, first 2 shown]
	v_cmp_eq_u32_e32 vcc, 23, v124
	ds_read_b32 v125, v63
	v_cndmask_b32_e32 v65, v65, v57, vcc
	v_cmp_eq_u32_e32 vcc, 24, v124
	v_cndmask_b32_e32 v65, v65, v58, vcc
	v_cmp_eq_u32_e32 vcc, 25, v124
	;; [unrolled: 2-line block ×4, first 2 shown]
	v_add_co_u32_e64 v124, s[0:1], 1, v124
	v_cndmask_b32_e32 v65, v65, v61, vcc
	v_add_u32_e32 v63, 4, v63
	v_addc_co_u32_e64 v64, s[0:1], 0, v64, s[0:1]
	s_waitcnt lgkmcnt(0)
	v_fmac_f32_e32 v123, v65, v125
	s_andn2_b64 exec, exec, s[10:11]
	s_cbranch_execnz .LBB91_45
; %bb.46:
	s_or_b64 exec, exec, s[10:11]
.LBB91_47:
	s_or_b64 exec, exec, s[8:9]
.LBB91_48:
	s_or_b64 exec, exec, s[6:7]
	v_mov_b32_e32 v57, 0
	ds_read_b32 v57, v57 offset:92
	s_waitcnt lgkmcnt(0)
	v_mul_f32_e32 v57, v123, v57
.LBB91_49:
	s_or_b64 exec, exec, s[4:5]
	v_cmp_lt_u32_e64 s[0:1], 22, v0
	ds_write_b32 v122, v56
	s_waitcnt lgkmcnt(0)
	; wave barrier
	s_and_saveexec_b64 s[4:5], s[0:1]
	s_cbranch_execz .LBB91_65
; %bb.50:
	s_andn2_b64 vcc, exec, s[58:59]
	s_cbranch_vccnz .LBB91_52
; %bb.51:
	v_cmp_eq_u32_e32 vcc, 1, v0
	v_cndmask_b32_e32 v123, v34, v35, vcc
	v_cmp_eq_u32_e32 vcc, 2, v0
	v_cndmask_b32_e32 v123, v123, v36, vcc
	;; [unrolled: 2-line block ×23, first 2 shown]
	v_cmp_eq_u32_e32 vcc, 24, v0
	ds_read_b32 v124, v122
	v_cndmask_b32_e32 v123, v123, v58, vcc
	v_cmp_eq_u32_e32 vcc, 25, v0
	v_cndmask_b32_e32 v123, v123, v59, vcc
	v_cmp_eq_u32_e32 vcc, 26, v0
	;; [unrolled: 2-line block ×3, first 2 shown]
	v_cndmask_b32_e32 v123, v123, v61, vcc
	s_waitcnt lgkmcnt(0)
	v_mul_f32_e32 v123, v123, v124
	s_cbranch_execz .LBB91_53
	s_branch .LBB91_54
.LBB91_52:
                                        ; implicit-def: $vgpr123
.LBB91_53:
	ds_read_b32 v123, v122
.LBB91_54:
	s_and_saveexec_b64 s[6:7], s[2:3]
	s_cbranch_execz .LBB91_64
; %bb.55:
	v_subrev_u32_e32 v126, 24, v0
	v_mov_b32_e32 v124, 23
	v_subrev_u32_e32 v125, 23, v0
	v_cmp_lt_u32_e32 vcc, 6, v126
	s_and_saveexec_b64 s[2:3], vcc
	s_cbranch_execz .LBB91_59
; %bb.56:
	v_and_b32_e32 v124, -8, v125
	v_sub_u32_e32 v126, 0, v124
	s_mov_b64 s[8:9], 30
	s_movk_i32 s12, 0xcc
	s_mov_b64 s[10:11], 0
.LBB91_57:                              ; =>This Inner Loop Header: Depth=1
	s_add_i32 s13, s8, -7
	v_mov_b32_e32 v124, s12
	s_add_i32 s14, s8, -6
	s_set_gpr_idx_on s13, gpr_idx(SRC0)
	v_mov_b32_e32 v133, v34
	s_set_gpr_idx_off
	ds_read2_b32 v[127:128], v124 offset1:1
	s_add_i32 s15, s8, -5
	s_set_gpr_idx_on s14, gpr_idx(SRC0)
	v_mov_b32_e32 v134, v34
	s_set_gpr_idx_off
	s_add_i32 s16, s8, -4
	s_set_gpr_idx_on s15, gpr_idx(SRC0)
	v_mov_b32_e32 v135, v34
	s_set_gpr_idx_off
	ds_read2_b32 v[129:130], v124 offset0:2 offset1:3
	s_add_i32 s17, s8, -3
	s_set_gpr_idx_on s16, gpr_idx(SRC0)
	v_mov_b32_e32 v136, v34
	s_set_gpr_idx_off
	s_add_i32 s18, s8, -2
	s_set_gpr_idx_on s17, gpr_idx(SRC0)
	v_mov_b32_e32 v137, v34
	s_set_gpr_idx_off
	ds_read2_b32 v[131:132], v124 offset0:4 offset1:5
	s_add_i32 s19, s8, -1
	s_waitcnt lgkmcnt(2)
	v_fmac_f32_e32 v123, v133, v127
	s_set_gpr_idx_on s18, gpr_idx(SRC0)
	v_mov_b32_e32 v133, v34
	s_set_gpr_idx_off
	v_fmac_f32_e32 v123, v134, v128
	s_set_gpr_idx_on s19, gpr_idx(SRC0)
	v_mov_b32_e32 v134, v34
	s_set_gpr_idx_off
	ds_read2_b32 v[127:128], v124 offset0:6 offset1:7
	s_waitcnt lgkmcnt(2)
	v_fmac_f32_e32 v123, v135, v129
	s_set_gpr_idx_on s8, gpr_idx(SRC0)
	v_mov_b32_e32 v129, v34
	s_set_gpr_idx_off
	v_fmac_f32_e32 v123, v136, v130
	s_add_u32 s8, s8, 8
	s_waitcnt lgkmcnt(1)
	v_fmac_f32_e32 v123, v137, v131
	v_add_u32_e32 v124, s8, v126
	v_fmac_f32_e32 v123, v133, v132
	s_addc_u32 s9, s9, 0
	s_add_i32 s12, s12, 32
	s_add_i32 s13, s8, -7
	v_cmp_eq_u32_e32 vcc, 30, v124
	s_waitcnt lgkmcnt(0)
	v_fmac_f32_e32 v123, v134, v127
	v_mov_b32_e32 v124, s13
	s_or_b64 s[10:11], vcc, s[10:11]
	v_fmac_f32_e32 v123, v129, v128
	s_andn2_b64 exec, exec, s[10:11]
	s_cbranch_execnz .LBB91_57
; %bb.58:
	s_or_b64 exec, exec, s[10:11]
.LBB91_59:
	s_or_b64 exec, exec, s[2:3]
	v_and_b32_e32 v62, 7, v125
	v_cmp_ne_u32_e32 vcc, 0, v62
	s_and_saveexec_b64 s[8:9], vcc
	s_cbranch_execz .LBB91_63
; %bb.60:
	v_mov_b32_e32 v63, 0x70
	v_lshl_add_u32 v63, v124, 2, v63
	v_mov_b32_e32 v64, 0
	s_mov_b64 s[10:11], 0
.LBB91_61:                              ; =>This Inner Loop Header: Depth=1
	v_cmp_eq_u32_e32 vcc, 1, v124
	v_cndmask_b32_e32 v65, v34, v35, vcc
	v_add_u32_e32 v62, -1, v62
	v_cmp_eq_u32_e32 vcc, 2, v124
	v_cndmask_b32_e32 v65, v65, v36, vcc
	v_cmp_eq_u32_e32 vcc, 0, v62
	v_cmp_eq_u32_e64 s[2:3], 3, v124
	v_cndmask_b32_e64 v65, v65, v37, s[2:3]
	s_or_b64 s[10:11], vcc, s[10:11]
	v_cmp_eq_u32_e32 vcc, 4, v124
	v_cndmask_b32_e32 v65, v65, v38, vcc
	v_cmp_eq_u32_e32 vcc, 5, v124
	v_cndmask_b32_e32 v65, v65, v39, vcc
	;; [unrolled: 2-line block ×19, first 2 shown]
	v_cmp_eq_u32_e32 vcc, 23, v124
	ds_read_b32 v125, v63
	v_cndmask_b32_e32 v65, v65, v57, vcc
	v_cmp_eq_u32_e32 vcc, 24, v124
	v_cndmask_b32_e32 v65, v65, v58, vcc
	v_cmp_eq_u32_e32 vcc, 25, v124
	;; [unrolled: 2-line block ×4, first 2 shown]
	v_add_co_u32_e64 v124, s[2:3], 1, v124
	v_cndmask_b32_e32 v65, v65, v61, vcc
	v_add_u32_e32 v63, 4, v63
	v_addc_co_u32_e64 v64, s[2:3], 0, v64, s[2:3]
	s_waitcnt lgkmcnt(0)
	v_fmac_f32_e32 v123, v65, v125
	s_andn2_b64 exec, exec, s[10:11]
	s_cbranch_execnz .LBB91_61
; %bb.62:
	s_or_b64 exec, exec, s[10:11]
.LBB91_63:
	s_or_b64 exec, exec, s[8:9]
.LBB91_64:
	s_or_b64 exec, exec, s[6:7]
	v_mov_b32_e32 v56, 0
	ds_read_b32 v56, v56 offset:88
	s_waitcnt lgkmcnt(0)
	v_mul_f32_e32 v56, v123, v56
.LBB91_65:
	s_or_b64 exec, exec, s[4:5]
	v_cmp_lt_u32_e64 s[2:3], 21, v0
	ds_write_b32 v122, v55
	s_waitcnt lgkmcnt(0)
	; wave barrier
	s_and_saveexec_b64 s[4:5], s[2:3]
	s_cbranch_execz .LBB91_81
; %bb.66:
	s_andn2_b64 vcc, exec, s[58:59]
	s_cbranch_vccnz .LBB91_68
; %bb.67:
	v_cmp_eq_u32_e32 vcc, 1, v0
	v_cndmask_b32_e32 v123, v34, v35, vcc
	v_cmp_eq_u32_e32 vcc, 2, v0
	v_cndmask_b32_e32 v123, v123, v36, vcc
	;; [unrolled: 2-line block ×23, first 2 shown]
	v_cmp_eq_u32_e32 vcc, 24, v0
	ds_read_b32 v124, v122
	v_cndmask_b32_e32 v123, v123, v58, vcc
	v_cmp_eq_u32_e32 vcc, 25, v0
	v_cndmask_b32_e32 v123, v123, v59, vcc
	v_cmp_eq_u32_e32 vcc, 26, v0
	;; [unrolled: 2-line block ×3, first 2 shown]
	v_cndmask_b32_e32 v123, v123, v61, vcc
	s_waitcnt lgkmcnt(0)
	v_mul_f32_e32 v123, v123, v124
	s_cbranch_execz .LBB91_69
	s_branch .LBB91_70
.LBB91_68:
                                        ; implicit-def: $vgpr123
.LBB91_69:
	ds_read_b32 v123, v122
.LBB91_70:
	s_and_saveexec_b64 s[6:7], s[0:1]
	s_cbranch_execz .LBB91_80
; %bb.71:
	v_subrev_u32_e32 v126, 23, v0
	v_mov_b32_e32 v124, 22
	v_subrev_u32_e32 v125, 22, v0
	v_cmp_lt_u32_e32 vcc, 6, v126
	s_and_saveexec_b64 s[0:1], vcc
	s_cbranch_execz .LBB91_75
; %bb.72:
	v_and_b32_e32 v124, -8, v125
	v_sub_u32_e32 v126, 0, v124
	s_mov_b64 s[8:9], 29
	s_movk_i32 s12, 0xc8
	s_mov_b64 s[10:11], 0
.LBB91_73:                              ; =>This Inner Loop Header: Depth=1
	s_add_i32 s13, s8, -7
	v_mov_b32_e32 v124, s12
	s_add_i32 s14, s8, -6
	s_set_gpr_idx_on s13, gpr_idx(SRC0)
	v_mov_b32_e32 v135, v34
	s_set_gpr_idx_off
	ds_read2_b64 v[127:130], v124 offset1:1
	s_add_i32 s15, s8, -5
	s_set_gpr_idx_on s14, gpr_idx(SRC0)
	v_mov_b32_e32 v136, v34
	s_set_gpr_idx_off
	s_add_i32 s16, s8, -4
	s_set_gpr_idx_on s15, gpr_idx(SRC0)
	v_mov_b32_e32 v137, v34
	s_set_gpr_idx_off
	;; [unrolled: 4-line block ×4, first 2 shown]
	ds_read2_b64 v[131:134], v124 offset0:2 offset1:3
	s_add_i32 s19, s8, -1
	s_waitcnt lgkmcnt(1)
	v_fmac_f32_e32 v123, v135, v127
	s_set_gpr_idx_on s18, gpr_idx(SRC0)
	v_mov_b32_e32 v127, v34
	s_set_gpr_idx_off
	v_fmac_f32_e32 v123, v136, v128
	s_set_gpr_idx_on s19, gpr_idx(SRC0)
	v_mov_b32_e32 v128, v34
	s_set_gpr_idx_off
	;; [unrolled: 4-line block ×3, first 2 shown]
	v_fmac_f32_e32 v123, v138, v130
	s_add_u32 s8, s8, 8
	s_waitcnt lgkmcnt(0)
	v_fmac_f32_e32 v123, v139, v131
	v_add_u32_e32 v124, s8, v126
	v_fmac_f32_e32 v123, v127, v132
	s_addc_u32 s9, s9, 0
	s_add_i32 s12, s12, 32
	s_add_i32 s13, s8, -7
	v_cmp_eq_u32_e32 vcc, 29, v124
	v_fmac_f32_e32 v123, v128, v133
	v_mov_b32_e32 v124, s13
	s_or_b64 s[10:11], vcc, s[10:11]
	v_fmac_f32_e32 v123, v129, v134
	s_andn2_b64 exec, exec, s[10:11]
	s_cbranch_execnz .LBB91_73
; %bb.74:
	s_or_b64 exec, exec, s[10:11]
.LBB91_75:
	s_or_b64 exec, exec, s[0:1]
	v_and_b32_e32 v62, 7, v125
	v_cmp_ne_u32_e32 vcc, 0, v62
	s_and_saveexec_b64 s[8:9], vcc
	s_cbranch_execz .LBB91_79
; %bb.76:
	v_mov_b32_e32 v63, 0x70
	v_lshl_add_u32 v63, v124, 2, v63
	v_mov_b32_e32 v64, 0
	s_mov_b64 s[10:11], 0
.LBB91_77:                              ; =>This Inner Loop Header: Depth=1
	v_cmp_eq_u32_e32 vcc, 1, v124
	v_cndmask_b32_e32 v65, v34, v35, vcc
	v_add_u32_e32 v62, -1, v62
	v_cmp_eq_u32_e32 vcc, 2, v124
	v_cndmask_b32_e32 v65, v65, v36, vcc
	v_cmp_eq_u32_e32 vcc, 0, v62
	v_cmp_eq_u32_e64 s[0:1], 3, v124
	v_cndmask_b32_e64 v65, v65, v37, s[0:1]
	s_or_b64 s[10:11], vcc, s[10:11]
	v_cmp_eq_u32_e32 vcc, 4, v124
	v_cndmask_b32_e32 v65, v65, v38, vcc
	v_cmp_eq_u32_e32 vcc, 5, v124
	v_cndmask_b32_e32 v65, v65, v39, vcc
	;; [unrolled: 2-line block ×19, first 2 shown]
	v_cmp_eq_u32_e32 vcc, 23, v124
	ds_read_b32 v125, v63
	v_cndmask_b32_e32 v65, v65, v57, vcc
	v_cmp_eq_u32_e32 vcc, 24, v124
	v_cndmask_b32_e32 v65, v65, v58, vcc
	v_cmp_eq_u32_e32 vcc, 25, v124
	;; [unrolled: 2-line block ×4, first 2 shown]
	v_add_co_u32_e64 v124, s[0:1], 1, v124
	v_cndmask_b32_e32 v65, v65, v61, vcc
	v_add_u32_e32 v63, 4, v63
	v_addc_co_u32_e64 v64, s[0:1], 0, v64, s[0:1]
	s_waitcnt lgkmcnt(0)
	v_fmac_f32_e32 v123, v65, v125
	s_andn2_b64 exec, exec, s[10:11]
	s_cbranch_execnz .LBB91_77
; %bb.78:
	s_or_b64 exec, exec, s[10:11]
.LBB91_79:
	s_or_b64 exec, exec, s[8:9]
.LBB91_80:
	s_or_b64 exec, exec, s[6:7]
	v_mov_b32_e32 v55, 0
	ds_read_b32 v55, v55 offset:84
	s_waitcnt lgkmcnt(0)
	v_mul_f32_e32 v55, v123, v55
.LBB91_81:
	s_or_b64 exec, exec, s[4:5]
	v_cmp_lt_u32_e64 s[0:1], 20, v0
	ds_write_b32 v122, v54
	s_waitcnt lgkmcnt(0)
	; wave barrier
	s_and_saveexec_b64 s[4:5], s[0:1]
	s_cbranch_execz .LBB91_97
; %bb.82:
	s_andn2_b64 vcc, exec, s[58:59]
	s_cbranch_vccnz .LBB91_84
; %bb.83:
	v_cmp_eq_u32_e32 vcc, 1, v0
	v_cndmask_b32_e32 v123, v34, v35, vcc
	v_cmp_eq_u32_e32 vcc, 2, v0
	v_cndmask_b32_e32 v123, v123, v36, vcc
	;; [unrolled: 2-line block ×23, first 2 shown]
	v_cmp_eq_u32_e32 vcc, 24, v0
	ds_read_b32 v124, v122
	v_cndmask_b32_e32 v123, v123, v58, vcc
	v_cmp_eq_u32_e32 vcc, 25, v0
	v_cndmask_b32_e32 v123, v123, v59, vcc
	v_cmp_eq_u32_e32 vcc, 26, v0
	;; [unrolled: 2-line block ×3, first 2 shown]
	v_cndmask_b32_e32 v123, v123, v61, vcc
	s_waitcnt lgkmcnt(0)
	v_mul_f32_e32 v123, v123, v124
	s_cbranch_execz .LBB91_85
	s_branch .LBB91_86
.LBB91_84:
                                        ; implicit-def: $vgpr123
.LBB91_85:
	ds_read_b32 v123, v122
.LBB91_86:
	s_and_saveexec_b64 s[6:7], s[2:3]
	s_cbranch_execz .LBB91_96
; %bb.87:
	v_subrev_u32_e32 v126, 22, v0
	v_mov_b32_e32 v124, 21
	v_subrev_u32_e32 v125, 21, v0
	v_cmp_lt_u32_e32 vcc, 6, v126
	s_and_saveexec_b64 s[2:3], vcc
	s_cbranch_execz .LBB91_91
; %bb.88:
	v_and_b32_e32 v124, -8, v125
	v_sub_u32_e32 v126, 0, v124
	s_mov_b64 s[8:9], 28
	s_movk_i32 s12, 0xc4
	s_mov_b64 s[10:11], 0
.LBB91_89:                              ; =>This Inner Loop Header: Depth=1
	s_add_i32 s13, s8, -7
	v_mov_b32_e32 v124, s12
	s_add_i32 s14, s8, -6
	s_set_gpr_idx_on s13, gpr_idx(SRC0)
	v_mov_b32_e32 v133, v34
	s_set_gpr_idx_off
	ds_read2_b32 v[127:128], v124 offset1:1
	s_add_i32 s15, s8, -5
	s_set_gpr_idx_on s14, gpr_idx(SRC0)
	v_mov_b32_e32 v134, v34
	s_set_gpr_idx_off
	s_add_i32 s16, s8, -4
	s_set_gpr_idx_on s15, gpr_idx(SRC0)
	v_mov_b32_e32 v135, v34
	s_set_gpr_idx_off
	ds_read2_b32 v[129:130], v124 offset0:2 offset1:3
	s_add_i32 s17, s8, -3
	s_set_gpr_idx_on s16, gpr_idx(SRC0)
	v_mov_b32_e32 v136, v34
	s_set_gpr_idx_off
	s_add_i32 s18, s8, -2
	s_set_gpr_idx_on s17, gpr_idx(SRC0)
	v_mov_b32_e32 v137, v34
	s_set_gpr_idx_off
	ds_read2_b32 v[131:132], v124 offset0:4 offset1:5
	s_add_i32 s19, s8, -1
	s_waitcnt lgkmcnt(2)
	v_fmac_f32_e32 v123, v133, v127
	s_set_gpr_idx_on s18, gpr_idx(SRC0)
	v_mov_b32_e32 v133, v34
	s_set_gpr_idx_off
	v_fmac_f32_e32 v123, v134, v128
	s_set_gpr_idx_on s19, gpr_idx(SRC0)
	v_mov_b32_e32 v134, v34
	s_set_gpr_idx_off
	ds_read2_b32 v[127:128], v124 offset0:6 offset1:7
	s_waitcnt lgkmcnt(2)
	v_fmac_f32_e32 v123, v135, v129
	s_set_gpr_idx_on s8, gpr_idx(SRC0)
	v_mov_b32_e32 v129, v34
	s_set_gpr_idx_off
	v_fmac_f32_e32 v123, v136, v130
	s_add_u32 s8, s8, 8
	s_waitcnt lgkmcnt(1)
	v_fmac_f32_e32 v123, v137, v131
	v_add_u32_e32 v124, s8, v126
	v_fmac_f32_e32 v123, v133, v132
	s_addc_u32 s9, s9, 0
	s_add_i32 s12, s12, 32
	s_add_i32 s13, s8, -7
	v_cmp_eq_u32_e32 vcc, 28, v124
	s_waitcnt lgkmcnt(0)
	v_fmac_f32_e32 v123, v134, v127
	v_mov_b32_e32 v124, s13
	s_or_b64 s[10:11], vcc, s[10:11]
	v_fmac_f32_e32 v123, v129, v128
	s_andn2_b64 exec, exec, s[10:11]
	s_cbranch_execnz .LBB91_89
; %bb.90:
	s_or_b64 exec, exec, s[10:11]
.LBB91_91:
	s_or_b64 exec, exec, s[2:3]
	v_and_b32_e32 v62, 7, v125
	v_cmp_ne_u32_e32 vcc, 0, v62
	s_and_saveexec_b64 s[8:9], vcc
	s_cbranch_execz .LBB91_95
; %bb.92:
	v_mov_b32_e32 v63, 0x70
	v_lshl_add_u32 v63, v124, 2, v63
	v_mov_b32_e32 v64, 0
	s_mov_b64 s[10:11], 0
.LBB91_93:                              ; =>This Inner Loop Header: Depth=1
	v_cmp_eq_u32_e32 vcc, 1, v124
	v_cndmask_b32_e32 v65, v34, v35, vcc
	v_add_u32_e32 v62, -1, v62
	v_cmp_eq_u32_e32 vcc, 2, v124
	v_cndmask_b32_e32 v65, v65, v36, vcc
	v_cmp_eq_u32_e32 vcc, 0, v62
	v_cmp_eq_u32_e64 s[2:3], 3, v124
	v_cndmask_b32_e64 v65, v65, v37, s[2:3]
	s_or_b64 s[10:11], vcc, s[10:11]
	v_cmp_eq_u32_e32 vcc, 4, v124
	v_cndmask_b32_e32 v65, v65, v38, vcc
	v_cmp_eq_u32_e32 vcc, 5, v124
	v_cndmask_b32_e32 v65, v65, v39, vcc
	;; [unrolled: 2-line block ×19, first 2 shown]
	v_cmp_eq_u32_e32 vcc, 23, v124
	ds_read_b32 v125, v63
	v_cndmask_b32_e32 v65, v65, v57, vcc
	v_cmp_eq_u32_e32 vcc, 24, v124
	v_cndmask_b32_e32 v65, v65, v58, vcc
	v_cmp_eq_u32_e32 vcc, 25, v124
	;; [unrolled: 2-line block ×4, first 2 shown]
	v_add_co_u32_e64 v124, s[2:3], 1, v124
	v_cndmask_b32_e32 v65, v65, v61, vcc
	v_add_u32_e32 v63, 4, v63
	v_addc_co_u32_e64 v64, s[2:3], 0, v64, s[2:3]
	s_waitcnt lgkmcnt(0)
	v_fmac_f32_e32 v123, v65, v125
	s_andn2_b64 exec, exec, s[10:11]
	s_cbranch_execnz .LBB91_93
; %bb.94:
	s_or_b64 exec, exec, s[10:11]
.LBB91_95:
	s_or_b64 exec, exec, s[8:9]
.LBB91_96:
	s_or_b64 exec, exec, s[6:7]
	v_mov_b32_e32 v54, 0
	ds_read_b32 v54, v54 offset:80
	s_waitcnt lgkmcnt(0)
	v_mul_f32_e32 v54, v123, v54
.LBB91_97:
	s_or_b64 exec, exec, s[4:5]
	v_cmp_lt_u32_e64 s[2:3], 19, v0
	ds_write_b32 v122, v53
	s_waitcnt lgkmcnt(0)
	; wave barrier
	s_and_saveexec_b64 s[4:5], s[2:3]
	s_cbranch_execz .LBB91_113
; %bb.98:
	s_andn2_b64 vcc, exec, s[58:59]
	s_cbranch_vccnz .LBB91_100
; %bb.99:
	v_cmp_eq_u32_e32 vcc, 1, v0
	v_cndmask_b32_e32 v123, v34, v35, vcc
	v_cmp_eq_u32_e32 vcc, 2, v0
	v_cndmask_b32_e32 v123, v123, v36, vcc
	;; [unrolled: 2-line block ×23, first 2 shown]
	v_cmp_eq_u32_e32 vcc, 24, v0
	ds_read_b32 v124, v122
	v_cndmask_b32_e32 v123, v123, v58, vcc
	v_cmp_eq_u32_e32 vcc, 25, v0
	v_cndmask_b32_e32 v123, v123, v59, vcc
	v_cmp_eq_u32_e32 vcc, 26, v0
	;; [unrolled: 2-line block ×3, first 2 shown]
	v_cndmask_b32_e32 v123, v123, v61, vcc
	s_waitcnt lgkmcnt(0)
	v_mul_f32_e32 v123, v123, v124
	s_cbranch_execz .LBB91_101
	s_branch .LBB91_102
.LBB91_100:
                                        ; implicit-def: $vgpr123
.LBB91_101:
	ds_read_b32 v123, v122
.LBB91_102:
	s_and_saveexec_b64 s[6:7], s[0:1]
	s_cbranch_execz .LBB91_112
; %bb.103:
	v_subrev_u32_e32 v126, 21, v0
	v_mov_b32_e32 v124, 20
	v_subrev_u32_e32 v125, 20, v0
	v_cmp_lt_u32_e32 vcc, 6, v126
	s_and_saveexec_b64 s[0:1], vcc
	s_cbranch_execz .LBB91_107
; %bb.104:
	v_and_b32_e32 v124, -8, v125
	v_sub_u32_e32 v126, 0, v124
	s_mov_b64 s[8:9], 27
	s_movk_i32 s12, 0xc0
	s_mov_b64 s[10:11], 0
.LBB91_105:                             ; =>This Inner Loop Header: Depth=1
	s_add_i32 s13, s8, -7
	v_mov_b32_e32 v124, s12
	s_add_i32 s14, s8, -6
	s_set_gpr_idx_on s13, gpr_idx(SRC0)
	v_mov_b32_e32 v135, v34
	s_set_gpr_idx_off
	s_add_i32 s15, s8, -5
	ds_read_b128 v[127:130], v124
	ds_read_b128 v[131:134], v124 offset:16
	s_set_gpr_idx_on s14, gpr_idx(SRC0)
	v_mov_b32_e32 v124, v34
	s_set_gpr_idx_off
	s_add_i32 s16, s8, -4
	s_set_gpr_idx_on s15, gpr_idx(SRC0)
	v_mov_b32_e32 v136, v34
	s_set_gpr_idx_off
	s_add_i32 s17, s8, -3
	;; [unrolled: 4-line block ×4, first 2 shown]
	s_waitcnt lgkmcnt(1)
	v_fmac_f32_e32 v123, v135, v127
	s_set_gpr_idx_on s18, gpr_idx(SRC0)
	v_mov_b32_e32 v127, v34
	s_set_gpr_idx_off
	v_fmac_f32_e32 v123, v124, v128
	s_set_gpr_idx_on s19, gpr_idx(SRC0)
	v_mov_b32_e32 v128, v34
	s_set_gpr_idx_off
	;; [unrolled: 4-line block ×3, first 2 shown]
	v_fmac_f32_e32 v123, v137, v130
	s_add_u32 s8, s8, 8
	s_waitcnt lgkmcnt(0)
	v_fmac_f32_e32 v123, v138, v131
	v_add_u32_e32 v124, s8, v126
	v_fmac_f32_e32 v123, v127, v132
	s_addc_u32 s9, s9, 0
	s_add_i32 s12, s12, 32
	s_add_i32 s13, s8, -7
	v_cmp_eq_u32_e32 vcc, 27, v124
	v_fmac_f32_e32 v123, v128, v133
	v_mov_b32_e32 v124, s13
	s_or_b64 s[10:11], vcc, s[10:11]
	v_fmac_f32_e32 v123, v129, v134
	s_andn2_b64 exec, exec, s[10:11]
	s_cbranch_execnz .LBB91_105
; %bb.106:
	s_or_b64 exec, exec, s[10:11]
.LBB91_107:
	s_or_b64 exec, exec, s[0:1]
	v_and_b32_e32 v62, 7, v125
	v_cmp_ne_u32_e32 vcc, 0, v62
	s_and_saveexec_b64 s[8:9], vcc
	s_cbranch_execz .LBB91_111
; %bb.108:
	v_mov_b32_e32 v63, 0x70
	v_lshl_add_u32 v63, v124, 2, v63
	v_mov_b32_e32 v64, 0
	s_mov_b64 s[10:11], 0
.LBB91_109:                             ; =>This Inner Loop Header: Depth=1
	v_cmp_eq_u32_e32 vcc, 1, v124
	v_cndmask_b32_e32 v65, v34, v35, vcc
	v_add_u32_e32 v62, -1, v62
	v_cmp_eq_u32_e32 vcc, 2, v124
	v_cndmask_b32_e32 v65, v65, v36, vcc
	v_cmp_eq_u32_e32 vcc, 0, v62
	v_cmp_eq_u32_e64 s[0:1], 3, v124
	v_cndmask_b32_e64 v65, v65, v37, s[0:1]
	s_or_b64 s[10:11], vcc, s[10:11]
	v_cmp_eq_u32_e32 vcc, 4, v124
	v_cndmask_b32_e32 v65, v65, v38, vcc
	v_cmp_eq_u32_e32 vcc, 5, v124
	v_cndmask_b32_e32 v65, v65, v39, vcc
	v_cmp_eq_u32_e32 vcc, 6, v124
	v_cndmask_b32_e32 v65, v65, v40, vcc
	v_cmp_eq_u32_e32 vcc, 7, v124
	v_cndmask_b32_e32 v65, v65, v41, vcc
	v_cmp_eq_u32_e32 vcc, 8, v124
	v_cndmask_b32_e32 v65, v65, v42, vcc
	v_cmp_eq_u32_e32 vcc, 9, v124
	v_cndmask_b32_e32 v65, v65, v43, vcc
	v_cmp_eq_u32_e32 vcc, 10, v124
	v_cndmask_b32_e32 v65, v65, v44, vcc
	v_cmp_eq_u32_e32 vcc, 11, v124
	v_cndmask_b32_e32 v65, v65, v45, vcc
	v_cmp_eq_u32_e32 vcc, 12, v124
	v_cndmask_b32_e32 v65, v65, v46, vcc
	v_cmp_eq_u32_e32 vcc, 13, v124
	v_cndmask_b32_e32 v65, v65, v47, vcc
	v_cmp_eq_u32_e32 vcc, 14, v124
	v_cndmask_b32_e32 v65, v65, v48, vcc
	v_cmp_eq_u32_e32 vcc, 15, v124
	v_cndmask_b32_e32 v65, v65, v49, vcc
	v_cmp_eq_u32_e32 vcc, 16, v124
	v_cndmask_b32_e32 v65, v65, v50, vcc
	v_cmp_eq_u32_e32 vcc, 17, v124
	v_cndmask_b32_e32 v65, v65, v51, vcc
	v_cmp_eq_u32_e32 vcc, 18, v124
	v_cndmask_b32_e32 v65, v65, v52, vcc
	v_cmp_eq_u32_e32 vcc, 19, v124
	v_cndmask_b32_e32 v65, v65, v53, vcc
	v_cmp_eq_u32_e32 vcc, 20, v124
	v_cndmask_b32_e32 v65, v65, v54, vcc
	v_cmp_eq_u32_e32 vcc, 21, v124
	v_cndmask_b32_e32 v65, v65, v55, vcc
	v_cmp_eq_u32_e32 vcc, 22, v124
	v_cndmask_b32_e32 v65, v65, v56, vcc
	v_cmp_eq_u32_e32 vcc, 23, v124
	ds_read_b32 v125, v63
	v_cndmask_b32_e32 v65, v65, v57, vcc
	v_cmp_eq_u32_e32 vcc, 24, v124
	v_cndmask_b32_e32 v65, v65, v58, vcc
	v_cmp_eq_u32_e32 vcc, 25, v124
	;; [unrolled: 2-line block ×4, first 2 shown]
	v_add_co_u32_e64 v124, s[0:1], 1, v124
	v_cndmask_b32_e32 v65, v65, v61, vcc
	v_add_u32_e32 v63, 4, v63
	v_addc_co_u32_e64 v64, s[0:1], 0, v64, s[0:1]
	s_waitcnt lgkmcnt(0)
	v_fmac_f32_e32 v123, v65, v125
	s_andn2_b64 exec, exec, s[10:11]
	s_cbranch_execnz .LBB91_109
; %bb.110:
	s_or_b64 exec, exec, s[10:11]
.LBB91_111:
	s_or_b64 exec, exec, s[8:9]
.LBB91_112:
	s_or_b64 exec, exec, s[6:7]
	v_mov_b32_e32 v53, 0
	ds_read_b32 v53, v53 offset:76
	s_waitcnt lgkmcnt(0)
	v_mul_f32_e32 v53, v123, v53
.LBB91_113:
	s_or_b64 exec, exec, s[4:5]
	v_cmp_lt_u32_e64 s[0:1], 18, v0
	ds_write_b32 v122, v52
	s_waitcnt lgkmcnt(0)
	; wave barrier
	s_and_saveexec_b64 s[4:5], s[0:1]
	s_cbranch_execz .LBB91_129
; %bb.114:
	s_andn2_b64 vcc, exec, s[58:59]
	s_cbranch_vccnz .LBB91_116
; %bb.115:
	v_cmp_eq_u32_e32 vcc, 1, v0
	v_cndmask_b32_e32 v123, v34, v35, vcc
	v_cmp_eq_u32_e32 vcc, 2, v0
	v_cndmask_b32_e32 v123, v123, v36, vcc
	;; [unrolled: 2-line block ×23, first 2 shown]
	v_cmp_eq_u32_e32 vcc, 24, v0
	ds_read_b32 v124, v122
	v_cndmask_b32_e32 v123, v123, v58, vcc
	v_cmp_eq_u32_e32 vcc, 25, v0
	v_cndmask_b32_e32 v123, v123, v59, vcc
	v_cmp_eq_u32_e32 vcc, 26, v0
	;; [unrolled: 2-line block ×3, first 2 shown]
	v_cndmask_b32_e32 v123, v123, v61, vcc
	s_waitcnt lgkmcnt(0)
	v_mul_f32_e32 v123, v123, v124
	s_cbranch_execz .LBB91_117
	s_branch .LBB91_118
.LBB91_116:
                                        ; implicit-def: $vgpr123
.LBB91_117:
	ds_read_b32 v123, v122
.LBB91_118:
	s_and_saveexec_b64 s[6:7], s[2:3]
	s_cbranch_execz .LBB91_128
; %bb.119:
	v_subrev_u32_e32 v126, 20, v0
	v_mov_b32_e32 v124, 19
	v_subrev_u32_e32 v125, 19, v0
	v_cmp_lt_u32_e32 vcc, 6, v126
	s_and_saveexec_b64 s[2:3], vcc
	s_cbranch_execz .LBB91_123
; %bb.120:
	v_and_b32_e32 v124, -8, v125
	v_sub_u32_e32 v126, 0, v124
	s_mov_b64 s[8:9], 26
	s_movk_i32 s12, 0xbc
	s_mov_b64 s[10:11], 0
.LBB91_121:                             ; =>This Inner Loop Header: Depth=1
	s_add_i32 s13, s8, -7
	v_mov_b32_e32 v124, s12
	s_add_i32 s14, s8, -6
	s_set_gpr_idx_on s13, gpr_idx(SRC0)
	v_mov_b32_e32 v133, v34
	s_set_gpr_idx_off
	ds_read2_b32 v[127:128], v124 offset1:1
	s_add_i32 s15, s8, -5
	s_set_gpr_idx_on s14, gpr_idx(SRC0)
	v_mov_b32_e32 v134, v34
	s_set_gpr_idx_off
	s_add_i32 s16, s8, -4
	s_set_gpr_idx_on s15, gpr_idx(SRC0)
	v_mov_b32_e32 v135, v34
	s_set_gpr_idx_off
	ds_read2_b32 v[129:130], v124 offset0:2 offset1:3
	s_add_i32 s17, s8, -3
	s_set_gpr_idx_on s16, gpr_idx(SRC0)
	v_mov_b32_e32 v136, v34
	s_set_gpr_idx_off
	s_add_i32 s18, s8, -2
	s_set_gpr_idx_on s17, gpr_idx(SRC0)
	v_mov_b32_e32 v137, v34
	s_set_gpr_idx_off
	ds_read2_b32 v[131:132], v124 offset0:4 offset1:5
	s_add_i32 s19, s8, -1
	s_waitcnt lgkmcnt(2)
	v_fmac_f32_e32 v123, v133, v127
	s_set_gpr_idx_on s18, gpr_idx(SRC0)
	v_mov_b32_e32 v133, v34
	s_set_gpr_idx_off
	v_fmac_f32_e32 v123, v134, v128
	s_set_gpr_idx_on s19, gpr_idx(SRC0)
	v_mov_b32_e32 v134, v34
	s_set_gpr_idx_off
	ds_read2_b32 v[127:128], v124 offset0:6 offset1:7
	s_waitcnt lgkmcnt(2)
	v_fmac_f32_e32 v123, v135, v129
	s_set_gpr_idx_on s8, gpr_idx(SRC0)
	v_mov_b32_e32 v129, v34
	s_set_gpr_idx_off
	v_fmac_f32_e32 v123, v136, v130
	s_add_u32 s8, s8, 8
	s_waitcnt lgkmcnt(1)
	v_fmac_f32_e32 v123, v137, v131
	v_add_u32_e32 v124, s8, v126
	v_fmac_f32_e32 v123, v133, v132
	s_addc_u32 s9, s9, 0
	s_add_i32 s12, s12, 32
	s_add_i32 s13, s8, -7
	v_cmp_eq_u32_e32 vcc, 26, v124
	s_waitcnt lgkmcnt(0)
	v_fmac_f32_e32 v123, v134, v127
	v_mov_b32_e32 v124, s13
	s_or_b64 s[10:11], vcc, s[10:11]
	v_fmac_f32_e32 v123, v129, v128
	s_andn2_b64 exec, exec, s[10:11]
	s_cbranch_execnz .LBB91_121
; %bb.122:
	s_or_b64 exec, exec, s[10:11]
.LBB91_123:
	s_or_b64 exec, exec, s[2:3]
	v_and_b32_e32 v62, 7, v125
	v_cmp_ne_u32_e32 vcc, 0, v62
	s_and_saveexec_b64 s[8:9], vcc
	s_cbranch_execz .LBB91_127
; %bb.124:
	v_mov_b32_e32 v63, 0x70
	v_lshl_add_u32 v63, v124, 2, v63
	v_mov_b32_e32 v64, 0
	s_mov_b64 s[10:11], 0
.LBB91_125:                             ; =>This Inner Loop Header: Depth=1
	v_cmp_eq_u32_e32 vcc, 1, v124
	v_cndmask_b32_e32 v65, v34, v35, vcc
	v_add_u32_e32 v62, -1, v62
	v_cmp_eq_u32_e32 vcc, 2, v124
	v_cndmask_b32_e32 v65, v65, v36, vcc
	v_cmp_eq_u32_e32 vcc, 0, v62
	v_cmp_eq_u32_e64 s[2:3], 3, v124
	v_cndmask_b32_e64 v65, v65, v37, s[2:3]
	s_or_b64 s[10:11], vcc, s[10:11]
	v_cmp_eq_u32_e32 vcc, 4, v124
	v_cndmask_b32_e32 v65, v65, v38, vcc
	v_cmp_eq_u32_e32 vcc, 5, v124
	v_cndmask_b32_e32 v65, v65, v39, vcc
	;; [unrolled: 2-line block ×19, first 2 shown]
	v_cmp_eq_u32_e32 vcc, 23, v124
	ds_read_b32 v125, v63
	v_cndmask_b32_e32 v65, v65, v57, vcc
	v_cmp_eq_u32_e32 vcc, 24, v124
	v_cndmask_b32_e32 v65, v65, v58, vcc
	v_cmp_eq_u32_e32 vcc, 25, v124
	v_cndmask_b32_e32 v65, v65, v59, vcc
	v_cmp_eq_u32_e32 vcc, 26, v124
	v_cndmask_b32_e32 v65, v65, v60, vcc
	v_cmp_eq_u32_e32 vcc, 27, v124
	v_add_co_u32_e64 v124, s[2:3], 1, v124
	v_cndmask_b32_e32 v65, v65, v61, vcc
	v_add_u32_e32 v63, 4, v63
	v_addc_co_u32_e64 v64, s[2:3], 0, v64, s[2:3]
	s_waitcnt lgkmcnt(0)
	v_fmac_f32_e32 v123, v65, v125
	s_andn2_b64 exec, exec, s[10:11]
	s_cbranch_execnz .LBB91_125
; %bb.126:
	s_or_b64 exec, exec, s[10:11]
.LBB91_127:
	s_or_b64 exec, exec, s[8:9]
.LBB91_128:
	s_or_b64 exec, exec, s[6:7]
	v_mov_b32_e32 v52, 0
	ds_read_b32 v52, v52 offset:72
	s_waitcnt lgkmcnt(0)
	v_mul_f32_e32 v52, v123, v52
.LBB91_129:
	s_or_b64 exec, exec, s[4:5]
	v_cmp_lt_u32_e64 s[2:3], 17, v0
	ds_write_b32 v122, v51
	s_waitcnt lgkmcnt(0)
	; wave barrier
	s_and_saveexec_b64 s[4:5], s[2:3]
	s_cbranch_execz .LBB91_145
; %bb.130:
	s_andn2_b64 vcc, exec, s[58:59]
	s_cbranch_vccnz .LBB91_132
; %bb.131:
	v_cmp_eq_u32_e32 vcc, 1, v0
	v_cndmask_b32_e32 v123, v34, v35, vcc
	v_cmp_eq_u32_e32 vcc, 2, v0
	v_cndmask_b32_e32 v123, v123, v36, vcc
	;; [unrolled: 2-line block ×23, first 2 shown]
	v_cmp_eq_u32_e32 vcc, 24, v0
	ds_read_b32 v124, v122
	v_cndmask_b32_e32 v123, v123, v58, vcc
	v_cmp_eq_u32_e32 vcc, 25, v0
	v_cndmask_b32_e32 v123, v123, v59, vcc
	v_cmp_eq_u32_e32 vcc, 26, v0
	;; [unrolled: 2-line block ×3, first 2 shown]
	v_cndmask_b32_e32 v123, v123, v61, vcc
	s_waitcnt lgkmcnt(0)
	v_mul_f32_e32 v123, v123, v124
	s_cbranch_execz .LBB91_133
	s_branch .LBB91_134
.LBB91_132:
                                        ; implicit-def: $vgpr123
.LBB91_133:
	ds_read_b32 v123, v122
.LBB91_134:
	s_and_saveexec_b64 s[6:7], s[0:1]
	s_cbranch_execz .LBB91_144
; %bb.135:
	v_subrev_u32_e32 v126, 19, v0
	v_mov_b32_e32 v124, 18
	v_subrev_u32_e32 v125, 18, v0
	v_cmp_lt_u32_e32 vcc, 6, v126
	s_and_saveexec_b64 s[0:1], vcc
	s_cbranch_execz .LBB91_139
; %bb.136:
	v_and_b32_e32 v124, -8, v125
	v_sub_u32_e32 v126, 0, v124
	s_mov_b64 s[8:9], 25
	s_movk_i32 s12, 0xb8
	s_mov_b64 s[10:11], 0
.LBB91_137:                             ; =>This Inner Loop Header: Depth=1
	s_add_i32 s13, s8, -7
	v_mov_b32_e32 v124, s12
	s_add_i32 s14, s8, -6
	s_set_gpr_idx_on s13, gpr_idx(SRC0)
	v_mov_b32_e32 v135, v34
	s_set_gpr_idx_off
	ds_read2_b64 v[127:130], v124 offset1:1
	s_add_i32 s15, s8, -5
	s_set_gpr_idx_on s14, gpr_idx(SRC0)
	v_mov_b32_e32 v136, v34
	s_set_gpr_idx_off
	s_add_i32 s16, s8, -4
	s_set_gpr_idx_on s15, gpr_idx(SRC0)
	v_mov_b32_e32 v137, v34
	s_set_gpr_idx_off
	;; [unrolled: 4-line block ×4, first 2 shown]
	ds_read2_b64 v[131:134], v124 offset0:2 offset1:3
	s_add_i32 s19, s8, -1
	s_waitcnt lgkmcnt(1)
	v_fmac_f32_e32 v123, v135, v127
	s_set_gpr_idx_on s18, gpr_idx(SRC0)
	v_mov_b32_e32 v127, v34
	s_set_gpr_idx_off
	v_fmac_f32_e32 v123, v136, v128
	s_set_gpr_idx_on s19, gpr_idx(SRC0)
	v_mov_b32_e32 v128, v34
	s_set_gpr_idx_off
	;; [unrolled: 4-line block ×3, first 2 shown]
	v_fmac_f32_e32 v123, v138, v130
	s_add_u32 s8, s8, 8
	s_waitcnt lgkmcnt(0)
	v_fmac_f32_e32 v123, v139, v131
	v_add_u32_e32 v124, s8, v126
	v_fmac_f32_e32 v123, v127, v132
	s_addc_u32 s9, s9, 0
	s_add_i32 s12, s12, 32
	s_add_i32 s13, s8, -7
	v_cmp_eq_u32_e32 vcc, 25, v124
	v_fmac_f32_e32 v123, v128, v133
	v_mov_b32_e32 v124, s13
	s_or_b64 s[10:11], vcc, s[10:11]
	v_fmac_f32_e32 v123, v129, v134
	s_andn2_b64 exec, exec, s[10:11]
	s_cbranch_execnz .LBB91_137
; %bb.138:
	s_or_b64 exec, exec, s[10:11]
.LBB91_139:
	s_or_b64 exec, exec, s[0:1]
	v_and_b32_e32 v62, 7, v125
	v_cmp_ne_u32_e32 vcc, 0, v62
	s_and_saveexec_b64 s[8:9], vcc
	s_cbranch_execz .LBB91_143
; %bb.140:
	v_mov_b32_e32 v63, 0x70
	v_lshl_add_u32 v63, v124, 2, v63
	v_mov_b32_e32 v64, 0
	s_mov_b64 s[10:11], 0
.LBB91_141:                             ; =>This Inner Loop Header: Depth=1
	v_cmp_eq_u32_e32 vcc, 1, v124
	v_cndmask_b32_e32 v65, v34, v35, vcc
	v_add_u32_e32 v62, -1, v62
	v_cmp_eq_u32_e32 vcc, 2, v124
	v_cndmask_b32_e32 v65, v65, v36, vcc
	v_cmp_eq_u32_e32 vcc, 0, v62
	v_cmp_eq_u32_e64 s[0:1], 3, v124
	v_cndmask_b32_e64 v65, v65, v37, s[0:1]
	s_or_b64 s[10:11], vcc, s[10:11]
	v_cmp_eq_u32_e32 vcc, 4, v124
	v_cndmask_b32_e32 v65, v65, v38, vcc
	v_cmp_eq_u32_e32 vcc, 5, v124
	v_cndmask_b32_e32 v65, v65, v39, vcc
	;; [unrolled: 2-line block ×19, first 2 shown]
	v_cmp_eq_u32_e32 vcc, 23, v124
	ds_read_b32 v125, v63
	v_cndmask_b32_e32 v65, v65, v57, vcc
	v_cmp_eq_u32_e32 vcc, 24, v124
	v_cndmask_b32_e32 v65, v65, v58, vcc
	v_cmp_eq_u32_e32 vcc, 25, v124
	;; [unrolled: 2-line block ×4, first 2 shown]
	v_add_co_u32_e64 v124, s[0:1], 1, v124
	v_cndmask_b32_e32 v65, v65, v61, vcc
	v_add_u32_e32 v63, 4, v63
	v_addc_co_u32_e64 v64, s[0:1], 0, v64, s[0:1]
	s_waitcnt lgkmcnt(0)
	v_fmac_f32_e32 v123, v65, v125
	s_andn2_b64 exec, exec, s[10:11]
	s_cbranch_execnz .LBB91_141
; %bb.142:
	s_or_b64 exec, exec, s[10:11]
.LBB91_143:
	s_or_b64 exec, exec, s[8:9]
.LBB91_144:
	s_or_b64 exec, exec, s[6:7]
	v_mov_b32_e32 v51, 0
	ds_read_b32 v51, v51 offset:68
	s_waitcnt lgkmcnt(0)
	v_mul_f32_e32 v51, v123, v51
.LBB91_145:
	s_or_b64 exec, exec, s[4:5]
	v_cmp_lt_u32_e64 s[0:1], 16, v0
	ds_write_b32 v122, v50
	s_waitcnt lgkmcnt(0)
	; wave barrier
	s_and_saveexec_b64 s[4:5], s[0:1]
	s_cbranch_execz .LBB91_161
; %bb.146:
	s_andn2_b64 vcc, exec, s[58:59]
	s_cbranch_vccnz .LBB91_148
; %bb.147:
	v_cmp_eq_u32_e32 vcc, 1, v0
	v_cndmask_b32_e32 v123, v34, v35, vcc
	v_cmp_eq_u32_e32 vcc, 2, v0
	v_cndmask_b32_e32 v123, v123, v36, vcc
	;; [unrolled: 2-line block ×23, first 2 shown]
	v_cmp_eq_u32_e32 vcc, 24, v0
	ds_read_b32 v124, v122
	v_cndmask_b32_e32 v123, v123, v58, vcc
	v_cmp_eq_u32_e32 vcc, 25, v0
	v_cndmask_b32_e32 v123, v123, v59, vcc
	v_cmp_eq_u32_e32 vcc, 26, v0
	;; [unrolled: 2-line block ×3, first 2 shown]
	v_cndmask_b32_e32 v123, v123, v61, vcc
	s_waitcnt lgkmcnt(0)
	v_mul_f32_e32 v123, v123, v124
	s_cbranch_execz .LBB91_149
	s_branch .LBB91_150
.LBB91_148:
                                        ; implicit-def: $vgpr123
.LBB91_149:
	ds_read_b32 v123, v122
.LBB91_150:
	s_and_saveexec_b64 s[6:7], s[2:3]
	s_cbranch_execz .LBB91_160
; %bb.151:
	v_subrev_u32_e32 v126, 18, v0
	v_mov_b32_e32 v124, 17
	v_subrev_u32_e32 v125, 17, v0
	v_cmp_lt_u32_e32 vcc, 6, v126
	s_and_saveexec_b64 s[2:3], vcc
	s_cbranch_execz .LBB91_155
; %bb.152:
	v_and_b32_e32 v124, -8, v125
	v_sub_u32_e32 v126, 0, v124
	s_mov_b64 s[8:9], 24
	s_movk_i32 s12, 0xb4
	s_mov_b64 s[10:11], 0
.LBB91_153:                             ; =>This Inner Loop Header: Depth=1
	s_add_i32 s13, s8, -7
	v_mov_b32_e32 v124, s12
	s_add_i32 s14, s8, -6
	s_set_gpr_idx_on s13, gpr_idx(SRC0)
	v_mov_b32_e32 v133, v34
	s_set_gpr_idx_off
	ds_read2_b32 v[127:128], v124 offset1:1
	s_add_i32 s15, s8, -5
	s_set_gpr_idx_on s14, gpr_idx(SRC0)
	v_mov_b32_e32 v134, v34
	s_set_gpr_idx_off
	s_add_i32 s16, s8, -4
	s_set_gpr_idx_on s15, gpr_idx(SRC0)
	v_mov_b32_e32 v135, v34
	s_set_gpr_idx_off
	ds_read2_b32 v[129:130], v124 offset0:2 offset1:3
	s_add_i32 s17, s8, -3
	s_set_gpr_idx_on s16, gpr_idx(SRC0)
	v_mov_b32_e32 v136, v34
	s_set_gpr_idx_off
	s_add_i32 s18, s8, -2
	s_set_gpr_idx_on s17, gpr_idx(SRC0)
	v_mov_b32_e32 v137, v34
	s_set_gpr_idx_off
	ds_read2_b32 v[131:132], v124 offset0:4 offset1:5
	s_add_i32 s19, s8, -1
	s_waitcnt lgkmcnt(2)
	v_fmac_f32_e32 v123, v133, v127
	s_set_gpr_idx_on s18, gpr_idx(SRC0)
	v_mov_b32_e32 v133, v34
	s_set_gpr_idx_off
	v_fmac_f32_e32 v123, v134, v128
	s_set_gpr_idx_on s19, gpr_idx(SRC0)
	v_mov_b32_e32 v134, v34
	s_set_gpr_idx_off
	ds_read2_b32 v[127:128], v124 offset0:6 offset1:7
	s_waitcnt lgkmcnt(2)
	v_fmac_f32_e32 v123, v135, v129
	s_set_gpr_idx_on s8, gpr_idx(SRC0)
	v_mov_b32_e32 v129, v34
	s_set_gpr_idx_off
	v_fmac_f32_e32 v123, v136, v130
	s_add_u32 s8, s8, 8
	s_waitcnt lgkmcnt(1)
	v_fmac_f32_e32 v123, v137, v131
	v_add_u32_e32 v124, s8, v126
	v_fmac_f32_e32 v123, v133, v132
	s_addc_u32 s9, s9, 0
	s_add_i32 s12, s12, 32
	s_add_i32 s13, s8, -7
	v_cmp_eq_u32_e32 vcc, 24, v124
	s_waitcnt lgkmcnt(0)
	v_fmac_f32_e32 v123, v134, v127
	v_mov_b32_e32 v124, s13
	s_or_b64 s[10:11], vcc, s[10:11]
	v_fmac_f32_e32 v123, v129, v128
	s_andn2_b64 exec, exec, s[10:11]
	s_cbranch_execnz .LBB91_153
; %bb.154:
	s_or_b64 exec, exec, s[10:11]
.LBB91_155:
	s_or_b64 exec, exec, s[2:3]
	v_and_b32_e32 v62, 7, v125
	v_cmp_ne_u32_e32 vcc, 0, v62
	s_and_saveexec_b64 s[8:9], vcc
	s_cbranch_execz .LBB91_159
; %bb.156:
	v_mov_b32_e32 v63, 0x70
	v_lshl_add_u32 v63, v124, 2, v63
	v_mov_b32_e32 v64, 0
	s_mov_b64 s[10:11], 0
.LBB91_157:                             ; =>This Inner Loop Header: Depth=1
	v_cmp_eq_u32_e32 vcc, 1, v124
	v_cndmask_b32_e32 v65, v34, v35, vcc
	v_add_u32_e32 v62, -1, v62
	v_cmp_eq_u32_e32 vcc, 2, v124
	v_cndmask_b32_e32 v65, v65, v36, vcc
	v_cmp_eq_u32_e32 vcc, 0, v62
	v_cmp_eq_u32_e64 s[2:3], 3, v124
	v_cndmask_b32_e64 v65, v65, v37, s[2:3]
	s_or_b64 s[10:11], vcc, s[10:11]
	v_cmp_eq_u32_e32 vcc, 4, v124
	v_cndmask_b32_e32 v65, v65, v38, vcc
	v_cmp_eq_u32_e32 vcc, 5, v124
	v_cndmask_b32_e32 v65, v65, v39, vcc
	;; [unrolled: 2-line block ×19, first 2 shown]
	v_cmp_eq_u32_e32 vcc, 23, v124
	ds_read_b32 v125, v63
	v_cndmask_b32_e32 v65, v65, v57, vcc
	v_cmp_eq_u32_e32 vcc, 24, v124
	v_cndmask_b32_e32 v65, v65, v58, vcc
	v_cmp_eq_u32_e32 vcc, 25, v124
	;; [unrolled: 2-line block ×4, first 2 shown]
	v_add_co_u32_e64 v124, s[2:3], 1, v124
	v_cndmask_b32_e32 v65, v65, v61, vcc
	v_add_u32_e32 v63, 4, v63
	v_addc_co_u32_e64 v64, s[2:3], 0, v64, s[2:3]
	s_waitcnt lgkmcnt(0)
	v_fmac_f32_e32 v123, v65, v125
	s_andn2_b64 exec, exec, s[10:11]
	s_cbranch_execnz .LBB91_157
; %bb.158:
	s_or_b64 exec, exec, s[10:11]
.LBB91_159:
	s_or_b64 exec, exec, s[8:9]
.LBB91_160:
	s_or_b64 exec, exec, s[6:7]
	v_mov_b32_e32 v50, 0
	ds_read_b32 v50, v50 offset:64
	s_waitcnt lgkmcnt(0)
	v_mul_f32_e32 v50, v123, v50
.LBB91_161:
	s_or_b64 exec, exec, s[4:5]
	v_cmp_lt_u32_e64 s[2:3], 15, v0
	ds_write_b32 v122, v49
	s_waitcnt lgkmcnt(0)
	; wave barrier
	s_and_saveexec_b64 s[4:5], s[2:3]
	s_cbranch_execz .LBB91_177
; %bb.162:
	s_andn2_b64 vcc, exec, s[58:59]
	s_cbranch_vccnz .LBB91_164
; %bb.163:
	v_cmp_eq_u32_e32 vcc, 1, v0
	v_cndmask_b32_e32 v123, v34, v35, vcc
	v_cmp_eq_u32_e32 vcc, 2, v0
	v_cndmask_b32_e32 v123, v123, v36, vcc
	;; [unrolled: 2-line block ×23, first 2 shown]
	v_cmp_eq_u32_e32 vcc, 24, v0
	ds_read_b32 v124, v122
	v_cndmask_b32_e32 v123, v123, v58, vcc
	v_cmp_eq_u32_e32 vcc, 25, v0
	v_cndmask_b32_e32 v123, v123, v59, vcc
	v_cmp_eq_u32_e32 vcc, 26, v0
	;; [unrolled: 2-line block ×3, first 2 shown]
	v_cndmask_b32_e32 v123, v123, v61, vcc
	s_waitcnt lgkmcnt(0)
	v_mul_f32_e32 v123, v123, v124
	s_cbranch_execz .LBB91_165
	s_branch .LBB91_166
.LBB91_164:
                                        ; implicit-def: $vgpr123
.LBB91_165:
	ds_read_b32 v123, v122
.LBB91_166:
	s_and_saveexec_b64 s[6:7], s[0:1]
	s_cbranch_execz .LBB91_176
; %bb.167:
	v_subrev_u32_e32 v124, 17, v0
	v_cmp_lt_u32_e32 vcc, 6, v124
	v_mov_b32_e32 v124, 16
	s_and_saveexec_b64 s[0:1], vcc
	s_cbranch_execz .LBB91_171
; %bb.168:
	v_and_b32_e32 v124, 24, v0
	v_sub_u32_e32 v125, 0, v124
	s_mov_b64 s[8:9], 23
	s_movk_i32 s12, 0xb0
	s_mov_b64 s[10:11], 0
.LBB91_169:                             ; =>This Inner Loop Header: Depth=1
	s_add_i32 s13, s8, -7
	v_mov_b32_e32 v124, s12
	s_add_i32 s14, s8, -6
	s_set_gpr_idx_on s13, gpr_idx(SRC0)
	v_mov_b32_e32 v134, v34
	s_set_gpr_idx_off
	s_add_i32 s15, s8, -5
	ds_read_b128 v[126:129], v124
	ds_read_b128 v[130:133], v124 offset:16
	s_set_gpr_idx_on s14, gpr_idx(SRC0)
	v_mov_b32_e32 v124, v34
	s_set_gpr_idx_off
	s_add_i32 s16, s8, -4
	s_set_gpr_idx_on s15, gpr_idx(SRC0)
	v_mov_b32_e32 v135, v34
	s_set_gpr_idx_off
	s_add_i32 s17, s8, -3
	s_set_gpr_idx_on s16, gpr_idx(SRC0)
	v_mov_b32_e32 v136, v34
	s_set_gpr_idx_off
	s_add_i32 s18, s8, -2
	s_set_gpr_idx_on s17, gpr_idx(SRC0)
	v_mov_b32_e32 v137, v34
	s_set_gpr_idx_off
	s_add_i32 s19, s8, -1
	s_waitcnt lgkmcnt(1)
	v_fmac_f32_e32 v123, v134, v126
	s_set_gpr_idx_on s18, gpr_idx(SRC0)
	v_mov_b32_e32 v126, v34
	s_set_gpr_idx_off
	v_fmac_f32_e32 v123, v124, v127
	s_set_gpr_idx_on s19, gpr_idx(SRC0)
	v_mov_b32_e32 v127, v34
	s_set_gpr_idx_off
	;; [unrolled: 4-line block ×3, first 2 shown]
	v_fmac_f32_e32 v123, v136, v129
	s_add_u32 s8, s8, 8
	s_waitcnt lgkmcnt(0)
	v_fmac_f32_e32 v123, v137, v130
	v_add_u32_e32 v124, s8, v125
	v_fmac_f32_e32 v123, v126, v131
	s_addc_u32 s9, s9, 0
	s_add_i32 s12, s12, 32
	s_add_i32 s13, s8, -7
	v_cmp_eq_u32_e32 vcc, 7, v124
	v_fmac_f32_e32 v123, v127, v132
	v_mov_b32_e32 v124, s13
	s_or_b64 s[10:11], vcc, s[10:11]
	v_fmac_f32_e32 v123, v128, v133
	s_andn2_b64 exec, exec, s[10:11]
	s_cbranch_execnz .LBB91_169
; %bb.170:
	s_or_b64 exec, exec, s[10:11]
.LBB91_171:
	s_or_b64 exec, exec, s[0:1]
	v_and_b32_e32 v62, 7, v0
	v_cmp_ne_u32_e32 vcc, 0, v62
	s_and_saveexec_b64 s[8:9], vcc
	s_cbranch_execz .LBB91_175
; %bb.172:
	v_mov_b32_e32 v63, 0x70
	v_lshl_add_u32 v63, v124, 2, v63
	v_mov_b32_e32 v64, 0
	s_mov_b64 s[10:11], 0
.LBB91_173:                             ; =>This Inner Loop Header: Depth=1
	v_cmp_eq_u32_e32 vcc, 1, v124
	v_cndmask_b32_e32 v65, v34, v35, vcc
	v_add_u32_e32 v62, -1, v62
	v_cmp_eq_u32_e32 vcc, 2, v124
	v_cndmask_b32_e32 v65, v65, v36, vcc
	v_cmp_eq_u32_e32 vcc, 0, v62
	v_cmp_eq_u32_e64 s[0:1], 3, v124
	v_cndmask_b32_e64 v65, v65, v37, s[0:1]
	s_or_b64 s[10:11], vcc, s[10:11]
	v_cmp_eq_u32_e32 vcc, 4, v124
	v_cndmask_b32_e32 v65, v65, v38, vcc
	v_cmp_eq_u32_e32 vcc, 5, v124
	v_cndmask_b32_e32 v65, v65, v39, vcc
	v_cmp_eq_u32_e32 vcc, 6, v124
	v_cndmask_b32_e32 v65, v65, v40, vcc
	v_cmp_eq_u32_e32 vcc, 7, v124
	v_cndmask_b32_e32 v65, v65, v41, vcc
	v_cmp_eq_u32_e32 vcc, 8, v124
	v_cndmask_b32_e32 v65, v65, v42, vcc
	v_cmp_eq_u32_e32 vcc, 9, v124
	v_cndmask_b32_e32 v65, v65, v43, vcc
	v_cmp_eq_u32_e32 vcc, 10, v124
	v_cndmask_b32_e32 v65, v65, v44, vcc
	v_cmp_eq_u32_e32 vcc, 11, v124
	v_cndmask_b32_e32 v65, v65, v45, vcc
	v_cmp_eq_u32_e32 vcc, 12, v124
	v_cndmask_b32_e32 v65, v65, v46, vcc
	v_cmp_eq_u32_e32 vcc, 13, v124
	v_cndmask_b32_e32 v65, v65, v47, vcc
	v_cmp_eq_u32_e32 vcc, 14, v124
	v_cndmask_b32_e32 v65, v65, v48, vcc
	v_cmp_eq_u32_e32 vcc, 15, v124
	v_cndmask_b32_e32 v65, v65, v49, vcc
	v_cmp_eq_u32_e32 vcc, 16, v124
	v_cndmask_b32_e32 v65, v65, v50, vcc
	v_cmp_eq_u32_e32 vcc, 17, v124
	v_cndmask_b32_e32 v65, v65, v51, vcc
	v_cmp_eq_u32_e32 vcc, 18, v124
	v_cndmask_b32_e32 v65, v65, v52, vcc
	v_cmp_eq_u32_e32 vcc, 19, v124
	v_cndmask_b32_e32 v65, v65, v53, vcc
	v_cmp_eq_u32_e32 vcc, 20, v124
	v_cndmask_b32_e32 v65, v65, v54, vcc
	v_cmp_eq_u32_e32 vcc, 21, v124
	v_cndmask_b32_e32 v65, v65, v55, vcc
	v_cmp_eq_u32_e32 vcc, 22, v124
	v_cndmask_b32_e32 v65, v65, v56, vcc
	v_cmp_eq_u32_e32 vcc, 23, v124
	ds_read_b32 v125, v63
	v_cndmask_b32_e32 v65, v65, v57, vcc
	v_cmp_eq_u32_e32 vcc, 24, v124
	v_cndmask_b32_e32 v65, v65, v58, vcc
	v_cmp_eq_u32_e32 vcc, 25, v124
	;; [unrolled: 2-line block ×4, first 2 shown]
	v_add_co_u32_e64 v124, s[0:1], 1, v124
	v_cndmask_b32_e32 v65, v65, v61, vcc
	v_add_u32_e32 v63, 4, v63
	v_addc_co_u32_e64 v64, s[0:1], 0, v64, s[0:1]
	s_waitcnt lgkmcnt(0)
	v_fmac_f32_e32 v123, v65, v125
	s_andn2_b64 exec, exec, s[10:11]
	s_cbranch_execnz .LBB91_173
; %bb.174:
	s_or_b64 exec, exec, s[10:11]
.LBB91_175:
	s_or_b64 exec, exec, s[8:9]
.LBB91_176:
	s_or_b64 exec, exec, s[6:7]
	v_mov_b32_e32 v49, 0
	ds_read_b32 v49, v49 offset:60
	s_waitcnt lgkmcnt(0)
	v_mul_f32_e32 v49, v123, v49
.LBB91_177:
	s_or_b64 exec, exec, s[4:5]
	v_cmp_lt_u32_e64 s[0:1], 14, v0
	ds_write_b32 v122, v48
	s_waitcnt lgkmcnt(0)
	; wave barrier
	s_and_saveexec_b64 s[4:5], s[0:1]
	s_cbranch_execz .LBB91_193
; %bb.178:
	s_andn2_b64 vcc, exec, s[58:59]
	s_cbranch_vccnz .LBB91_180
; %bb.179:
	v_cmp_eq_u32_e32 vcc, 1, v0
	v_cndmask_b32_e32 v123, v34, v35, vcc
	v_cmp_eq_u32_e32 vcc, 2, v0
	v_cndmask_b32_e32 v123, v123, v36, vcc
	;; [unrolled: 2-line block ×23, first 2 shown]
	v_cmp_eq_u32_e32 vcc, 24, v0
	ds_read_b32 v124, v122
	v_cndmask_b32_e32 v123, v123, v58, vcc
	v_cmp_eq_u32_e32 vcc, 25, v0
	v_cndmask_b32_e32 v123, v123, v59, vcc
	v_cmp_eq_u32_e32 vcc, 26, v0
	;; [unrolled: 2-line block ×3, first 2 shown]
	v_cndmask_b32_e32 v123, v123, v61, vcc
	s_waitcnt lgkmcnt(0)
	v_mul_f32_e32 v123, v123, v124
	s_cbranch_execz .LBB91_181
	s_branch .LBB91_182
.LBB91_180:
                                        ; implicit-def: $vgpr123
.LBB91_181:
	ds_read_b32 v123, v122
.LBB91_182:
	s_and_saveexec_b64 s[6:7], s[2:3]
	s_cbranch_execz .LBB91_192
; %bb.183:
	v_add_u32_e32 v124, -16, v0
	v_add_u32_e32 v125, -15, v0
	v_cmp_lt_u32_e32 vcc, 6, v124
	v_mov_b32_e32 v124, 15
	s_and_saveexec_b64 s[2:3], vcc
	s_cbranch_execz .LBB91_187
; %bb.184:
	v_and_b32_e32 v124, -8, v125
	v_sub_u32_e32 v126, 0, v124
	s_mov_b64 s[8:9], 22
	s_movk_i32 s12, 0xac
	s_mov_b64 s[10:11], 0
.LBB91_185:                             ; =>This Inner Loop Header: Depth=1
	s_add_i32 s13, s8, -7
	v_mov_b32_e32 v124, s12
	s_add_i32 s14, s8, -6
	s_set_gpr_idx_on s13, gpr_idx(SRC0)
	v_mov_b32_e32 v133, v34
	s_set_gpr_idx_off
	ds_read2_b32 v[127:128], v124 offset1:1
	s_add_i32 s15, s8, -5
	s_set_gpr_idx_on s14, gpr_idx(SRC0)
	v_mov_b32_e32 v134, v34
	s_set_gpr_idx_off
	s_add_i32 s16, s8, -4
	s_set_gpr_idx_on s15, gpr_idx(SRC0)
	v_mov_b32_e32 v135, v34
	s_set_gpr_idx_off
	ds_read2_b32 v[129:130], v124 offset0:2 offset1:3
	s_add_i32 s17, s8, -3
	s_set_gpr_idx_on s16, gpr_idx(SRC0)
	v_mov_b32_e32 v136, v34
	s_set_gpr_idx_off
	s_add_i32 s18, s8, -2
	s_set_gpr_idx_on s17, gpr_idx(SRC0)
	v_mov_b32_e32 v137, v34
	s_set_gpr_idx_off
	ds_read2_b32 v[131:132], v124 offset0:4 offset1:5
	s_add_i32 s19, s8, -1
	s_waitcnt lgkmcnt(2)
	v_fmac_f32_e32 v123, v133, v127
	s_set_gpr_idx_on s18, gpr_idx(SRC0)
	v_mov_b32_e32 v133, v34
	s_set_gpr_idx_off
	v_fmac_f32_e32 v123, v134, v128
	s_set_gpr_idx_on s19, gpr_idx(SRC0)
	v_mov_b32_e32 v134, v34
	s_set_gpr_idx_off
	ds_read2_b32 v[127:128], v124 offset0:6 offset1:7
	s_waitcnt lgkmcnt(2)
	v_fmac_f32_e32 v123, v135, v129
	s_set_gpr_idx_on s8, gpr_idx(SRC0)
	v_mov_b32_e32 v129, v34
	s_set_gpr_idx_off
	v_fmac_f32_e32 v123, v136, v130
	s_add_u32 s8, s8, 8
	s_waitcnt lgkmcnt(1)
	v_fmac_f32_e32 v123, v137, v131
	v_add_u32_e32 v124, s8, v126
	v_fmac_f32_e32 v123, v133, v132
	s_addc_u32 s9, s9, 0
	s_add_i32 s12, s12, 32
	s_add_i32 s13, s8, -7
	v_cmp_eq_u32_e32 vcc, 22, v124
	s_waitcnt lgkmcnt(0)
	v_fmac_f32_e32 v123, v134, v127
	v_mov_b32_e32 v124, s13
	s_or_b64 s[10:11], vcc, s[10:11]
	v_fmac_f32_e32 v123, v129, v128
	s_andn2_b64 exec, exec, s[10:11]
	s_cbranch_execnz .LBB91_185
; %bb.186:
	s_or_b64 exec, exec, s[10:11]
.LBB91_187:
	s_or_b64 exec, exec, s[2:3]
	v_and_b32_e32 v62, 7, v125
	v_cmp_ne_u32_e32 vcc, 0, v62
	s_and_saveexec_b64 s[8:9], vcc
	s_cbranch_execz .LBB91_191
; %bb.188:
	v_mov_b32_e32 v63, 0x70
	v_lshl_add_u32 v63, v124, 2, v63
	v_mov_b32_e32 v64, 0
	s_mov_b64 s[10:11], 0
.LBB91_189:                             ; =>This Inner Loop Header: Depth=1
	v_cmp_eq_u32_e32 vcc, 1, v124
	v_cndmask_b32_e32 v65, v34, v35, vcc
	v_add_u32_e32 v62, -1, v62
	v_cmp_eq_u32_e32 vcc, 2, v124
	v_cndmask_b32_e32 v65, v65, v36, vcc
	v_cmp_eq_u32_e32 vcc, 0, v62
	v_cmp_eq_u32_e64 s[2:3], 3, v124
	v_cndmask_b32_e64 v65, v65, v37, s[2:3]
	s_or_b64 s[10:11], vcc, s[10:11]
	v_cmp_eq_u32_e32 vcc, 4, v124
	v_cndmask_b32_e32 v65, v65, v38, vcc
	v_cmp_eq_u32_e32 vcc, 5, v124
	v_cndmask_b32_e32 v65, v65, v39, vcc
	;; [unrolled: 2-line block ×19, first 2 shown]
	v_cmp_eq_u32_e32 vcc, 23, v124
	ds_read_b32 v125, v63
	v_cndmask_b32_e32 v65, v65, v57, vcc
	v_cmp_eq_u32_e32 vcc, 24, v124
	v_cndmask_b32_e32 v65, v65, v58, vcc
	v_cmp_eq_u32_e32 vcc, 25, v124
	;; [unrolled: 2-line block ×4, first 2 shown]
	v_add_co_u32_e64 v124, s[2:3], 1, v124
	v_cndmask_b32_e32 v65, v65, v61, vcc
	v_add_u32_e32 v63, 4, v63
	v_addc_co_u32_e64 v64, s[2:3], 0, v64, s[2:3]
	s_waitcnt lgkmcnt(0)
	v_fmac_f32_e32 v123, v65, v125
	s_andn2_b64 exec, exec, s[10:11]
	s_cbranch_execnz .LBB91_189
; %bb.190:
	s_or_b64 exec, exec, s[10:11]
.LBB91_191:
	s_or_b64 exec, exec, s[8:9]
.LBB91_192:
	s_or_b64 exec, exec, s[6:7]
	v_mov_b32_e32 v48, 0
	ds_read_b32 v48, v48 offset:56
	s_waitcnt lgkmcnt(0)
	v_mul_f32_e32 v48, v123, v48
.LBB91_193:
	s_or_b64 exec, exec, s[4:5]
	v_cmp_lt_u32_e64 s[2:3], 13, v0
	ds_write_b32 v122, v47
	s_waitcnt lgkmcnt(0)
	; wave barrier
	s_and_saveexec_b64 s[4:5], s[2:3]
	s_cbranch_execz .LBB91_209
; %bb.194:
	s_andn2_b64 vcc, exec, s[58:59]
	s_cbranch_vccnz .LBB91_196
; %bb.195:
	v_cmp_eq_u32_e32 vcc, 1, v0
	v_cndmask_b32_e32 v123, v34, v35, vcc
	v_cmp_eq_u32_e32 vcc, 2, v0
	v_cndmask_b32_e32 v123, v123, v36, vcc
	;; [unrolled: 2-line block ×23, first 2 shown]
	v_cmp_eq_u32_e32 vcc, 24, v0
	ds_read_b32 v124, v122
	v_cndmask_b32_e32 v123, v123, v58, vcc
	v_cmp_eq_u32_e32 vcc, 25, v0
	v_cndmask_b32_e32 v123, v123, v59, vcc
	v_cmp_eq_u32_e32 vcc, 26, v0
	;; [unrolled: 2-line block ×3, first 2 shown]
	v_cndmask_b32_e32 v123, v123, v61, vcc
	s_waitcnt lgkmcnt(0)
	v_mul_f32_e32 v123, v123, v124
	s_cbranch_execz .LBB91_197
	s_branch .LBB91_198
.LBB91_196:
                                        ; implicit-def: $vgpr123
.LBB91_197:
	ds_read_b32 v123, v122
.LBB91_198:
	s_and_saveexec_b64 s[6:7], s[0:1]
	s_cbranch_execz .LBB91_208
; %bb.199:
	v_add_u32_e32 v124, -15, v0
	v_add_u32_e32 v125, -14, v0
	v_cmp_lt_u32_e32 vcc, 6, v124
	v_mov_b32_e32 v124, 14
	s_and_saveexec_b64 s[0:1], vcc
	s_cbranch_execz .LBB91_203
; %bb.200:
	v_and_b32_e32 v124, -8, v125
	v_sub_u32_e32 v126, 0, v124
	s_mov_b64 s[8:9], 21
	s_movk_i32 s12, 0xa8
	s_mov_b64 s[10:11], 0
.LBB91_201:                             ; =>This Inner Loop Header: Depth=1
	s_add_i32 s13, s8, -7
	v_mov_b32_e32 v124, s12
	s_add_i32 s14, s8, -6
	s_set_gpr_idx_on s13, gpr_idx(SRC0)
	v_mov_b32_e32 v135, v34
	s_set_gpr_idx_off
	ds_read2_b64 v[127:130], v124 offset1:1
	s_add_i32 s15, s8, -5
	s_set_gpr_idx_on s14, gpr_idx(SRC0)
	v_mov_b32_e32 v136, v34
	s_set_gpr_idx_off
	s_add_i32 s16, s8, -4
	s_set_gpr_idx_on s15, gpr_idx(SRC0)
	v_mov_b32_e32 v137, v34
	s_set_gpr_idx_off
	s_add_i32 s17, s8, -3
	s_set_gpr_idx_on s16, gpr_idx(SRC0)
	v_mov_b32_e32 v138, v34
	s_set_gpr_idx_off
	s_add_i32 s18, s8, -2
	s_set_gpr_idx_on s17, gpr_idx(SRC0)
	v_mov_b32_e32 v139, v34
	s_set_gpr_idx_off
	ds_read2_b64 v[131:134], v124 offset0:2 offset1:3
	s_add_i32 s19, s8, -1
	s_waitcnt lgkmcnt(1)
	v_fmac_f32_e32 v123, v135, v127
	s_set_gpr_idx_on s18, gpr_idx(SRC0)
	v_mov_b32_e32 v127, v34
	s_set_gpr_idx_off
	v_fmac_f32_e32 v123, v136, v128
	s_set_gpr_idx_on s19, gpr_idx(SRC0)
	v_mov_b32_e32 v128, v34
	s_set_gpr_idx_off
	;; [unrolled: 4-line block ×3, first 2 shown]
	v_fmac_f32_e32 v123, v138, v130
	s_add_u32 s8, s8, 8
	s_waitcnt lgkmcnt(0)
	v_fmac_f32_e32 v123, v139, v131
	v_add_u32_e32 v124, s8, v126
	v_fmac_f32_e32 v123, v127, v132
	s_addc_u32 s9, s9, 0
	s_add_i32 s12, s12, 32
	s_add_i32 s13, s8, -7
	v_cmp_eq_u32_e32 vcc, 21, v124
	v_fmac_f32_e32 v123, v128, v133
	v_mov_b32_e32 v124, s13
	s_or_b64 s[10:11], vcc, s[10:11]
	v_fmac_f32_e32 v123, v129, v134
	s_andn2_b64 exec, exec, s[10:11]
	s_cbranch_execnz .LBB91_201
; %bb.202:
	s_or_b64 exec, exec, s[10:11]
.LBB91_203:
	s_or_b64 exec, exec, s[0:1]
	v_and_b32_e32 v62, 7, v125
	v_cmp_ne_u32_e32 vcc, 0, v62
	s_and_saveexec_b64 s[8:9], vcc
	s_cbranch_execz .LBB91_207
; %bb.204:
	v_mov_b32_e32 v63, 0x70
	v_lshl_add_u32 v63, v124, 2, v63
	v_mov_b32_e32 v64, 0
	s_mov_b64 s[10:11], 0
.LBB91_205:                             ; =>This Inner Loop Header: Depth=1
	v_cmp_eq_u32_e32 vcc, 1, v124
	v_cndmask_b32_e32 v65, v34, v35, vcc
	v_add_u32_e32 v62, -1, v62
	v_cmp_eq_u32_e32 vcc, 2, v124
	v_cndmask_b32_e32 v65, v65, v36, vcc
	v_cmp_eq_u32_e32 vcc, 0, v62
	v_cmp_eq_u32_e64 s[0:1], 3, v124
	v_cndmask_b32_e64 v65, v65, v37, s[0:1]
	s_or_b64 s[10:11], vcc, s[10:11]
	v_cmp_eq_u32_e32 vcc, 4, v124
	v_cndmask_b32_e32 v65, v65, v38, vcc
	v_cmp_eq_u32_e32 vcc, 5, v124
	v_cndmask_b32_e32 v65, v65, v39, vcc
	;; [unrolled: 2-line block ×19, first 2 shown]
	v_cmp_eq_u32_e32 vcc, 23, v124
	ds_read_b32 v125, v63
	v_cndmask_b32_e32 v65, v65, v57, vcc
	v_cmp_eq_u32_e32 vcc, 24, v124
	v_cndmask_b32_e32 v65, v65, v58, vcc
	v_cmp_eq_u32_e32 vcc, 25, v124
	;; [unrolled: 2-line block ×4, first 2 shown]
	v_add_co_u32_e64 v124, s[0:1], 1, v124
	v_cndmask_b32_e32 v65, v65, v61, vcc
	v_add_u32_e32 v63, 4, v63
	v_addc_co_u32_e64 v64, s[0:1], 0, v64, s[0:1]
	s_waitcnt lgkmcnt(0)
	v_fmac_f32_e32 v123, v65, v125
	s_andn2_b64 exec, exec, s[10:11]
	s_cbranch_execnz .LBB91_205
; %bb.206:
	s_or_b64 exec, exec, s[10:11]
.LBB91_207:
	s_or_b64 exec, exec, s[8:9]
.LBB91_208:
	s_or_b64 exec, exec, s[6:7]
	v_mov_b32_e32 v47, 0
	ds_read_b32 v47, v47 offset:52
	s_waitcnt lgkmcnt(0)
	v_mul_f32_e32 v47, v123, v47
.LBB91_209:
	s_or_b64 exec, exec, s[4:5]
	v_cmp_lt_u32_e64 s[0:1], 12, v0
	ds_write_b32 v122, v46
	s_waitcnt lgkmcnt(0)
	; wave barrier
	s_and_saveexec_b64 s[4:5], s[0:1]
	s_cbranch_execz .LBB91_225
; %bb.210:
	s_andn2_b64 vcc, exec, s[58:59]
	s_cbranch_vccnz .LBB91_212
; %bb.211:
	v_cmp_eq_u32_e32 vcc, 1, v0
	v_cndmask_b32_e32 v123, v34, v35, vcc
	v_cmp_eq_u32_e32 vcc, 2, v0
	v_cndmask_b32_e32 v123, v123, v36, vcc
	;; [unrolled: 2-line block ×23, first 2 shown]
	v_cmp_eq_u32_e32 vcc, 24, v0
	ds_read_b32 v124, v122
	v_cndmask_b32_e32 v123, v123, v58, vcc
	v_cmp_eq_u32_e32 vcc, 25, v0
	v_cndmask_b32_e32 v123, v123, v59, vcc
	v_cmp_eq_u32_e32 vcc, 26, v0
	;; [unrolled: 2-line block ×3, first 2 shown]
	v_cndmask_b32_e32 v123, v123, v61, vcc
	s_waitcnt lgkmcnt(0)
	v_mul_f32_e32 v123, v123, v124
	s_cbranch_execz .LBB91_213
	s_branch .LBB91_214
.LBB91_212:
                                        ; implicit-def: $vgpr123
.LBB91_213:
	ds_read_b32 v123, v122
.LBB91_214:
	s_and_saveexec_b64 s[6:7], s[2:3]
	s_cbranch_execz .LBB91_224
; %bb.215:
	v_add_u32_e32 v124, -14, v0
	v_add_u32_e32 v125, -13, v0
	v_cmp_lt_u32_e32 vcc, 6, v124
	v_mov_b32_e32 v124, 13
	s_and_saveexec_b64 s[2:3], vcc
	s_cbranch_execz .LBB91_219
; %bb.216:
	v_and_b32_e32 v124, -8, v125
	v_sub_u32_e32 v126, 0, v124
	s_mov_b64 s[8:9], 20
	s_movk_i32 s12, 0xa4
	s_mov_b64 s[10:11], 0
.LBB91_217:                             ; =>This Inner Loop Header: Depth=1
	s_add_i32 s13, s8, -7
	v_mov_b32_e32 v124, s12
	s_add_i32 s14, s8, -6
	s_set_gpr_idx_on s13, gpr_idx(SRC0)
	v_mov_b32_e32 v133, v34
	s_set_gpr_idx_off
	ds_read2_b32 v[127:128], v124 offset1:1
	s_add_i32 s15, s8, -5
	s_set_gpr_idx_on s14, gpr_idx(SRC0)
	v_mov_b32_e32 v134, v34
	s_set_gpr_idx_off
	s_add_i32 s16, s8, -4
	s_set_gpr_idx_on s15, gpr_idx(SRC0)
	v_mov_b32_e32 v135, v34
	s_set_gpr_idx_off
	ds_read2_b32 v[129:130], v124 offset0:2 offset1:3
	s_add_i32 s17, s8, -3
	s_set_gpr_idx_on s16, gpr_idx(SRC0)
	v_mov_b32_e32 v136, v34
	s_set_gpr_idx_off
	s_add_i32 s18, s8, -2
	s_set_gpr_idx_on s17, gpr_idx(SRC0)
	v_mov_b32_e32 v137, v34
	s_set_gpr_idx_off
	ds_read2_b32 v[131:132], v124 offset0:4 offset1:5
	s_add_i32 s19, s8, -1
	s_waitcnt lgkmcnt(2)
	v_fmac_f32_e32 v123, v133, v127
	s_set_gpr_idx_on s18, gpr_idx(SRC0)
	v_mov_b32_e32 v133, v34
	s_set_gpr_idx_off
	v_fmac_f32_e32 v123, v134, v128
	s_set_gpr_idx_on s19, gpr_idx(SRC0)
	v_mov_b32_e32 v134, v34
	s_set_gpr_idx_off
	ds_read2_b32 v[127:128], v124 offset0:6 offset1:7
	s_waitcnt lgkmcnt(2)
	v_fmac_f32_e32 v123, v135, v129
	s_set_gpr_idx_on s8, gpr_idx(SRC0)
	v_mov_b32_e32 v129, v34
	s_set_gpr_idx_off
	v_fmac_f32_e32 v123, v136, v130
	s_add_u32 s8, s8, 8
	s_waitcnt lgkmcnt(1)
	v_fmac_f32_e32 v123, v137, v131
	v_add_u32_e32 v124, s8, v126
	v_fmac_f32_e32 v123, v133, v132
	s_addc_u32 s9, s9, 0
	s_add_i32 s12, s12, 32
	s_add_i32 s13, s8, -7
	v_cmp_eq_u32_e32 vcc, 20, v124
	s_waitcnt lgkmcnt(0)
	v_fmac_f32_e32 v123, v134, v127
	v_mov_b32_e32 v124, s13
	s_or_b64 s[10:11], vcc, s[10:11]
	v_fmac_f32_e32 v123, v129, v128
	s_andn2_b64 exec, exec, s[10:11]
	s_cbranch_execnz .LBB91_217
; %bb.218:
	s_or_b64 exec, exec, s[10:11]
.LBB91_219:
	s_or_b64 exec, exec, s[2:3]
	v_and_b32_e32 v62, 7, v125
	v_cmp_ne_u32_e32 vcc, 0, v62
	s_and_saveexec_b64 s[8:9], vcc
	s_cbranch_execz .LBB91_223
; %bb.220:
	v_mov_b32_e32 v63, 0x70
	v_lshl_add_u32 v63, v124, 2, v63
	v_mov_b32_e32 v64, 0
	s_mov_b64 s[10:11], 0
.LBB91_221:                             ; =>This Inner Loop Header: Depth=1
	v_cmp_eq_u32_e32 vcc, 1, v124
	v_cndmask_b32_e32 v65, v34, v35, vcc
	v_add_u32_e32 v62, -1, v62
	v_cmp_eq_u32_e32 vcc, 2, v124
	v_cndmask_b32_e32 v65, v65, v36, vcc
	v_cmp_eq_u32_e32 vcc, 0, v62
	v_cmp_eq_u32_e64 s[2:3], 3, v124
	v_cndmask_b32_e64 v65, v65, v37, s[2:3]
	s_or_b64 s[10:11], vcc, s[10:11]
	v_cmp_eq_u32_e32 vcc, 4, v124
	v_cndmask_b32_e32 v65, v65, v38, vcc
	v_cmp_eq_u32_e32 vcc, 5, v124
	v_cndmask_b32_e32 v65, v65, v39, vcc
	;; [unrolled: 2-line block ×19, first 2 shown]
	v_cmp_eq_u32_e32 vcc, 23, v124
	ds_read_b32 v125, v63
	v_cndmask_b32_e32 v65, v65, v57, vcc
	v_cmp_eq_u32_e32 vcc, 24, v124
	v_cndmask_b32_e32 v65, v65, v58, vcc
	v_cmp_eq_u32_e32 vcc, 25, v124
	;; [unrolled: 2-line block ×4, first 2 shown]
	v_add_co_u32_e64 v124, s[2:3], 1, v124
	v_cndmask_b32_e32 v65, v65, v61, vcc
	v_add_u32_e32 v63, 4, v63
	v_addc_co_u32_e64 v64, s[2:3], 0, v64, s[2:3]
	s_waitcnt lgkmcnt(0)
	v_fmac_f32_e32 v123, v65, v125
	s_andn2_b64 exec, exec, s[10:11]
	s_cbranch_execnz .LBB91_221
; %bb.222:
	s_or_b64 exec, exec, s[10:11]
.LBB91_223:
	s_or_b64 exec, exec, s[8:9]
.LBB91_224:
	s_or_b64 exec, exec, s[6:7]
	v_mov_b32_e32 v46, 0
	ds_read_b32 v46, v46 offset:48
	s_waitcnt lgkmcnt(0)
	v_mul_f32_e32 v46, v123, v46
.LBB91_225:
	s_or_b64 exec, exec, s[4:5]
	v_cmp_lt_u32_e64 s[2:3], 11, v0
	ds_write_b32 v122, v45
	s_waitcnt lgkmcnt(0)
	; wave barrier
	s_and_saveexec_b64 s[4:5], s[2:3]
	s_cbranch_execz .LBB91_241
; %bb.226:
	s_andn2_b64 vcc, exec, s[58:59]
	s_cbranch_vccnz .LBB91_228
; %bb.227:
	v_cmp_eq_u32_e32 vcc, 1, v0
	v_cndmask_b32_e32 v123, v34, v35, vcc
	v_cmp_eq_u32_e32 vcc, 2, v0
	v_cndmask_b32_e32 v123, v123, v36, vcc
	;; [unrolled: 2-line block ×23, first 2 shown]
	v_cmp_eq_u32_e32 vcc, 24, v0
	ds_read_b32 v124, v122
	v_cndmask_b32_e32 v123, v123, v58, vcc
	v_cmp_eq_u32_e32 vcc, 25, v0
	v_cndmask_b32_e32 v123, v123, v59, vcc
	v_cmp_eq_u32_e32 vcc, 26, v0
	;; [unrolled: 2-line block ×3, first 2 shown]
	v_cndmask_b32_e32 v123, v123, v61, vcc
	s_waitcnt lgkmcnt(0)
	v_mul_f32_e32 v123, v123, v124
	s_cbranch_execz .LBB91_229
	s_branch .LBB91_230
.LBB91_228:
                                        ; implicit-def: $vgpr123
.LBB91_229:
	ds_read_b32 v123, v122
.LBB91_230:
	s_and_saveexec_b64 s[6:7], s[0:1]
	s_cbranch_execz .LBB91_240
; %bb.231:
	v_add_u32_e32 v124, -13, v0
	v_add_u32_e32 v125, -12, v0
	v_cmp_lt_u32_e32 vcc, 6, v124
	v_mov_b32_e32 v124, 12
	s_and_saveexec_b64 s[0:1], vcc
	s_cbranch_execz .LBB91_235
; %bb.232:
	v_and_b32_e32 v124, -8, v125
	v_sub_u32_e32 v126, 0, v124
	s_mov_b64 s[8:9], 19
	s_movk_i32 s12, 0xa0
	s_mov_b64 s[10:11], 0
.LBB91_233:                             ; =>This Inner Loop Header: Depth=1
	s_add_i32 s13, s8, -7
	v_mov_b32_e32 v124, s12
	s_add_i32 s14, s8, -6
	s_set_gpr_idx_on s13, gpr_idx(SRC0)
	v_mov_b32_e32 v135, v34
	s_set_gpr_idx_off
	s_add_i32 s15, s8, -5
	ds_read_b128 v[127:130], v124
	ds_read_b128 v[131:134], v124 offset:16
	s_set_gpr_idx_on s14, gpr_idx(SRC0)
	v_mov_b32_e32 v124, v34
	s_set_gpr_idx_off
	s_add_i32 s16, s8, -4
	s_set_gpr_idx_on s15, gpr_idx(SRC0)
	v_mov_b32_e32 v136, v34
	s_set_gpr_idx_off
	s_add_i32 s17, s8, -3
	;; [unrolled: 4-line block ×4, first 2 shown]
	s_waitcnt lgkmcnt(1)
	v_fmac_f32_e32 v123, v135, v127
	s_set_gpr_idx_on s18, gpr_idx(SRC0)
	v_mov_b32_e32 v127, v34
	s_set_gpr_idx_off
	v_fmac_f32_e32 v123, v124, v128
	s_set_gpr_idx_on s19, gpr_idx(SRC0)
	v_mov_b32_e32 v128, v34
	s_set_gpr_idx_off
	v_fmac_f32_e32 v123, v136, v129
	s_set_gpr_idx_on s8, gpr_idx(SRC0)
	v_mov_b32_e32 v129, v34
	s_set_gpr_idx_off
	v_fmac_f32_e32 v123, v137, v130
	s_add_u32 s8, s8, 8
	s_waitcnt lgkmcnt(0)
	v_fmac_f32_e32 v123, v138, v131
	v_add_u32_e32 v124, s8, v126
	v_fmac_f32_e32 v123, v127, v132
	s_addc_u32 s9, s9, 0
	s_add_i32 s12, s12, 32
	s_add_i32 s13, s8, -7
	v_cmp_eq_u32_e32 vcc, 19, v124
	v_fmac_f32_e32 v123, v128, v133
	v_mov_b32_e32 v124, s13
	s_or_b64 s[10:11], vcc, s[10:11]
	v_fmac_f32_e32 v123, v129, v134
	s_andn2_b64 exec, exec, s[10:11]
	s_cbranch_execnz .LBB91_233
; %bb.234:
	s_or_b64 exec, exec, s[10:11]
.LBB91_235:
	s_or_b64 exec, exec, s[0:1]
	v_and_b32_e32 v62, 7, v125
	v_cmp_ne_u32_e32 vcc, 0, v62
	s_and_saveexec_b64 s[8:9], vcc
	s_cbranch_execz .LBB91_239
; %bb.236:
	v_mov_b32_e32 v63, 0x70
	v_lshl_add_u32 v63, v124, 2, v63
	v_mov_b32_e32 v64, 0
	s_mov_b64 s[10:11], 0
.LBB91_237:                             ; =>This Inner Loop Header: Depth=1
	v_cmp_eq_u32_e32 vcc, 1, v124
	v_cndmask_b32_e32 v65, v34, v35, vcc
	v_add_u32_e32 v62, -1, v62
	v_cmp_eq_u32_e32 vcc, 2, v124
	v_cndmask_b32_e32 v65, v65, v36, vcc
	v_cmp_eq_u32_e32 vcc, 0, v62
	v_cmp_eq_u32_e64 s[0:1], 3, v124
	v_cndmask_b32_e64 v65, v65, v37, s[0:1]
	s_or_b64 s[10:11], vcc, s[10:11]
	v_cmp_eq_u32_e32 vcc, 4, v124
	v_cndmask_b32_e32 v65, v65, v38, vcc
	v_cmp_eq_u32_e32 vcc, 5, v124
	v_cndmask_b32_e32 v65, v65, v39, vcc
	;; [unrolled: 2-line block ×19, first 2 shown]
	v_cmp_eq_u32_e32 vcc, 23, v124
	ds_read_b32 v125, v63
	v_cndmask_b32_e32 v65, v65, v57, vcc
	v_cmp_eq_u32_e32 vcc, 24, v124
	v_cndmask_b32_e32 v65, v65, v58, vcc
	v_cmp_eq_u32_e32 vcc, 25, v124
	v_cndmask_b32_e32 v65, v65, v59, vcc
	v_cmp_eq_u32_e32 vcc, 26, v124
	v_cndmask_b32_e32 v65, v65, v60, vcc
	v_cmp_eq_u32_e32 vcc, 27, v124
	v_add_co_u32_e64 v124, s[0:1], 1, v124
	v_cndmask_b32_e32 v65, v65, v61, vcc
	v_add_u32_e32 v63, 4, v63
	v_addc_co_u32_e64 v64, s[0:1], 0, v64, s[0:1]
	s_waitcnt lgkmcnt(0)
	v_fmac_f32_e32 v123, v65, v125
	s_andn2_b64 exec, exec, s[10:11]
	s_cbranch_execnz .LBB91_237
; %bb.238:
	s_or_b64 exec, exec, s[10:11]
.LBB91_239:
	s_or_b64 exec, exec, s[8:9]
.LBB91_240:
	s_or_b64 exec, exec, s[6:7]
	v_mov_b32_e32 v45, 0
	ds_read_b32 v45, v45 offset:44
	s_waitcnt lgkmcnt(0)
	v_mul_f32_e32 v45, v123, v45
.LBB91_241:
	s_or_b64 exec, exec, s[4:5]
	v_cmp_lt_u32_e64 s[0:1], 10, v0
	ds_write_b32 v122, v44
	s_waitcnt lgkmcnt(0)
	; wave barrier
	s_and_saveexec_b64 s[4:5], s[0:1]
	s_cbranch_execz .LBB91_257
; %bb.242:
	s_andn2_b64 vcc, exec, s[58:59]
	s_cbranch_vccnz .LBB91_244
; %bb.243:
	v_cmp_eq_u32_e32 vcc, 1, v0
	v_cndmask_b32_e32 v123, v34, v35, vcc
	v_cmp_eq_u32_e32 vcc, 2, v0
	v_cndmask_b32_e32 v123, v123, v36, vcc
	;; [unrolled: 2-line block ×23, first 2 shown]
	v_cmp_eq_u32_e32 vcc, 24, v0
	ds_read_b32 v124, v122
	v_cndmask_b32_e32 v123, v123, v58, vcc
	v_cmp_eq_u32_e32 vcc, 25, v0
	v_cndmask_b32_e32 v123, v123, v59, vcc
	v_cmp_eq_u32_e32 vcc, 26, v0
	;; [unrolled: 2-line block ×3, first 2 shown]
	v_cndmask_b32_e32 v123, v123, v61, vcc
	s_waitcnt lgkmcnt(0)
	v_mul_f32_e32 v123, v123, v124
	s_cbranch_execz .LBB91_245
	s_branch .LBB91_246
.LBB91_244:
                                        ; implicit-def: $vgpr123
.LBB91_245:
	ds_read_b32 v123, v122
.LBB91_246:
	s_and_saveexec_b64 s[6:7], s[2:3]
	s_cbranch_execz .LBB91_256
; %bb.247:
	v_add_u32_e32 v124, -12, v0
	v_add_u32_e32 v125, -11, v0
	v_cmp_lt_u32_e32 vcc, 6, v124
	v_mov_b32_e32 v124, 11
	s_and_saveexec_b64 s[2:3], vcc
	s_cbranch_execz .LBB91_251
; %bb.248:
	v_and_b32_e32 v124, -8, v125
	v_sub_u32_e32 v126, 0, v124
	s_mov_b64 s[8:9], 18
	s_movk_i32 s12, 0x9c
	s_mov_b64 s[10:11], 0
.LBB91_249:                             ; =>This Inner Loop Header: Depth=1
	s_add_i32 s13, s8, -7
	v_mov_b32_e32 v124, s12
	s_add_i32 s14, s8, -6
	s_set_gpr_idx_on s13, gpr_idx(SRC0)
	v_mov_b32_e32 v133, v34
	s_set_gpr_idx_off
	ds_read2_b32 v[127:128], v124 offset1:1
	s_add_i32 s15, s8, -5
	s_set_gpr_idx_on s14, gpr_idx(SRC0)
	v_mov_b32_e32 v134, v34
	s_set_gpr_idx_off
	s_add_i32 s16, s8, -4
	s_set_gpr_idx_on s15, gpr_idx(SRC0)
	v_mov_b32_e32 v135, v34
	s_set_gpr_idx_off
	ds_read2_b32 v[129:130], v124 offset0:2 offset1:3
	s_add_i32 s17, s8, -3
	s_set_gpr_idx_on s16, gpr_idx(SRC0)
	v_mov_b32_e32 v136, v34
	s_set_gpr_idx_off
	s_add_i32 s18, s8, -2
	s_set_gpr_idx_on s17, gpr_idx(SRC0)
	v_mov_b32_e32 v137, v34
	s_set_gpr_idx_off
	ds_read2_b32 v[131:132], v124 offset0:4 offset1:5
	s_add_i32 s19, s8, -1
	s_waitcnt lgkmcnt(2)
	v_fmac_f32_e32 v123, v133, v127
	s_set_gpr_idx_on s18, gpr_idx(SRC0)
	v_mov_b32_e32 v133, v34
	s_set_gpr_idx_off
	v_fmac_f32_e32 v123, v134, v128
	s_set_gpr_idx_on s19, gpr_idx(SRC0)
	v_mov_b32_e32 v134, v34
	s_set_gpr_idx_off
	ds_read2_b32 v[127:128], v124 offset0:6 offset1:7
	s_waitcnt lgkmcnt(2)
	v_fmac_f32_e32 v123, v135, v129
	s_set_gpr_idx_on s8, gpr_idx(SRC0)
	v_mov_b32_e32 v129, v34
	s_set_gpr_idx_off
	v_fmac_f32_e32 v123, v136, v130
	s_add_u32 s8, s8, 8
	s_waitcnt lgkmcnt(1)
	v_fmac_f32_e32 v123, v137, v131
	v_add_u32_e32 v124, s8, v126
	v_fmac_f32_e32 v123, v133, v132
	s_addc_u32 s9, s9, 0
	s_add_i32 s12, s12, 32
	s_add_i32 s13, s8, -7
	v_cmp_eq_u32_e32 vcc, 18, v124
	s_waitcnt lgkmcnt(0)
	v_fmac_f32_e32 v123, v134, v127
	v_mov_b32_e32 v124, s13
	s_or_b64 s[10:11], vcc, s[10:11]
	v_fmac_f32_e32 v123, v129, v128
	s_andn2_b64 exec, exec, s[10:11]
	s_cbranch_execnz .LBB91_249
; %bb.250:
	s_or_b64 exec, exec, s[10:11]
.LBB91_251:
	s_or_b64 exec, exec, s[2:3]
	v_and_b32_e32 v62, 7, v125
	v_cmp_ne_u32_e32 vcc, 0, v62
	s_and_saveexec_b64 s[8:9], vcc
	s_cbranch_execz .LBB91_255
; %bb.252:
	v_mov_b32_e32 v63, 0x70
	v_lshl_add_u32 v63, v124, 2, v63
	v_mov_b32_e32 v64, 0
	s_mov_b64 s[10:11], 0
.LBB91_253:                             ; =>This Inner Loop Header: Depth=1
	v_cmp_eq_u32_e32 vcc, 1, v124
	v_cndmask_b32_e32 v65, v34, v35, vcc
	v_add_u32_e32 v62, -1, v62
	v_cmp_eq_u32_e32 vcc, 2, v124
	v_cndmask_b32_e32 v65, v65, v36, vcc
	v_cmp_eq_u32_e32 vcc, 0, v62
	v_cmp_eq_u32_e64 s[2:3], 3, v124
	v_cndmask_b32_e64 v65, v65, v37, s[2:3]
	s_or_b64 s[10:11], vcc, s[10:11]
	v_cmp_eq_u32_e32 vcc, 4, v124
	v_cndmask_b32_e32 v65, v65, v38, vcc
	v_cmp_eq_u32_e32 vcc, 5, v124
	v_cndmask_b32_e32 v65, v65, v39, vcc
	;; [unrolled: 2-line block ×19, first 2 shown]
	v_cmp_eq_u32_e32 vcc, 23, v124
	ds_read_b32 v125, v63
	v_cndmask_b32_e32 v65, v65, v57, vcc
	v_cmp_eq_u32_e32 vcc, 24, v124
	v_cndmask_b32_e32 v65, v65, v58, vcc
	v_cmp_eq_u32_e32 vcc, 25, v124
	;; [unrolled: 2-line block ×4, first 2 shown]
	v_add_co_u32_e64 v124, s[2:3], 1, v124
	v_cndmask_b32_e32 v65, v65, v61, vcc
	v_add_u32_e32 v63, 4, v63
	v_addc_co_u32_e64 v64, s[2:3], 0, v64, s[2:3]
	s_waitcnt lgkmcnt(0)
	v_fmac_f32_e32 v123, v65, v125
	s_andn2_b64 exec, exec, s[10:11]
	s_cbranch_execnz .LBB91_253
; %bb.254:
	s_or_b64 exec, exec, s[10:11]
.LBB91_255:
	s_or_b64 exec, exec, s[8:9]
.LBB91_256:
	s_or_b64 exec, exec, s[6:7]
	v_mov_b32_e32 v44, 0
	ds_read_b32 v44, v44 offset:40
	s_waitcnt lgkmcnt(0)
	v_mul_f32_e32 v44, v123, v44
.LBB91_257:
	s_or_b64 exec, exec, s[4:5]
	v_cmp_lt_u32_e64 s[2:3], 9, v0
	ds_write_b32 v122, v43
	s_waitcnt lgkmcnt(0)
	; wave barrier
	s_and_saveexec_b64 s[4:5], s[2:3]
	s_cbranch_execz .LBB91_273
; %bb.258:
	s_andn2_b64 vcc, exec, s[58:59]
	s_cbranch_vccnz .LBB91_260
; %bb.259:
	v_cmp_eq_u32_e32 vcc, 1, v0
	v_cndmask_b32_e32 v123, v34, v35, vcc
	v_cmp_eq_u32_e32 vcc, 2, v0
	v_cndmask_b32_e32 v123, v123, v36, vcc
	;; [unrolled: 2-line block ×23, first 2 shown]
	v_cmp_eq_u32_e32 vcc, 24, v0
	ds_read_b32 v124, v122
	v_cndmask_b32_e32 v123, v123, v58, vcc
	v_cmp_eq_u32_e32 vcc, 25, v0
	v_cndmask_b32_e32 v123, v123, v59, vcc
	v_cmp_eq_u32_e32 vcc, 26, v0
	;; [unrolled: 2-line block ×3, first 2 shown]
	v_cndmask_b32_e32 v123, v123, v61, vcc
	s_waitcnt lgkmcnt(0)
	v_mul_f32_e32 v123, v123, v124
	s_cbranch_execz .LBB91_261
	s_branch .LBB91_262
.LBB91_260:
                                        ; implicit-def: $vgpr123
.LBB91_261:
	ds_read_b32 v123, v122
.LBB91_262:
	s_and_saveexec_b64 s[6:7], s[0:1]
	s_cbranch_execz .LBB91_272
; %bb.263:
	v_add_u32_e32 v124, -11, v0
	v_add_u32_e32 v125, -10, v0
	v_cmp_lt_u32_e32 vcc, 6, v124
	v_mov_b32_e32 v124, 10
	s_and_saveexec_b64 s[0:1], vcc
	s_cbranch_execz .LBB91_267
; %bb.264:
	v_and_b32_e32 v124, -8, v125
	v_sub_u32_e32 v126, 0, v124
	s_mov_b64 s[8:9], 17
	s_movk_i32 s12, 0x98
	s_mov_b64 s[10:11], 0
.LBB91_265:                             ; =>This Inner Loop Header: Depth=1
	s_add_i32 s13, s8, -7
	v_mov_b32_e32 v124, s12
	s_add_i32 s14, s8, -6
	s_set_gpr_idx_on s13, gpr_idx(SRC0)
	v_mov_b32_e32 v135, v34
	s_set_gpr_idx_off
	ds_read2_b64 v[127:130], v124 offset1:1
	s_add_i32 s15, s8, -5
	s_set_gpr_idx_on s14, gpr_idx(SRC0)
	v_mov_b32_e32 v136, v34
	s_set_gpr_idx_off
	s_add_i32 s16, s8, -4
	s_set_gpr_idx_on s15, gpr_idx(SRC0)
	v_mov_b32_e32 v137, v34
	s_set_gpr_idx_off
	;; [unrolled: 4-line block ×4, first 2 shown]
	ds_read2_b64 v[131:134], v124 offset0:2 offset1:3
	s_add_i32 s19, s8, -1
	s_waitcnt lgkmcnt(1)
	v_fmac_f32_e32 v123, v135, v127
	s_set_gpr_idx_on s18, gpr_idx(SRC0)
	v_mov_b32_e32 v127, v34
	s_set_gpr_idx_off
	v_fmac_f32_e32 v123, v136, v128
	s_set_gpr_idx_on s19, gpr_idx(SRC0)
	v_mov_b32_e32 v128, v34
	s_set_gpr_idx_off
	;; [unrolled: 4-line block ×3, first 2 shown]
	v_fmac_f32_e32 v123, v138, v130
	s_add_u32 s8, s8, 8
	s_waitcnt lgkmcnt(0)
	v_fmac_f32_e32 v123, v139, v131
	v_add_u32_e32 v124, s8, v126
	v_fmac_f32_e32 v123, v127, v132
	s_addc_u32 s9, s9, 0
	s_add_i32 s12, s12, 32
	s_add_i32 s13, s8, -7
	v_cmp_eq_u32_e32 vcc, 17, v124
	v_fmac_f32_e32 v123, v128, v133
	v_mov_b32_e32 v124, s13
	s_or_b64 s[10:11], vcc, s[10:11]
	v_fmac_f32_e32 v123, v129, v134
	s_andn2_b64 exec, exec, s[10:11]
	s_cbranch_execnz .LBB91_265
; %bb.266:
	s_or_b64 exec, exec, s[10:11]
.LBB91_267:
	s_or_b64 exec, exec, s[0:1]
	v_and_b32_e32 v62, 7, v125
	v_cmp_ne_u32_e32 vcc, 0, v62
	s_and_saveexec_b64 s[8:9], vcc
	s_cbranch_execz .LBB91_271
; %bb.268:
	v_mov_b32_e32 v63, 0x70
	v_lshl_add_u32 v63, v124, 2, v63
	v_mov_b32_e32 v64, 0
	s_mov_b64 s[10:11], 0
.LBB91_269:                             ; =>This Inner Loop Header: Depth=1
	v_cmp_eq_u32_e32 vcc, 1, v124
	v_cndmask_b32_e32 v65, v34, v35, vcc
	v_add_u32_e32 v62, -1, v62
	v_cmp_eq_u32_e32 vcc, 2, v124
	v_cndmask_b32_e32 v65, v65, v36, vcc
	v_cmp_eq_u32_e32 vcc, 0, v62
	v_cmp_eq_u32_e64 s[0:1], 3, v124
	v_cndmask_b32_e64 v65, v65, v37, s[0:1]
	s_or_b64 s[10:11], vcc, s[10:11]
	v_cmp_eq_u32_e32 vcc, 4, v124
	v_cndmask_b32_e32 v65, v65, v38, vcc
	v_cmp_eq_u32_e32 vcc, 5, v124
	v_cndmask_b32_e32 v65, v65, v39, vcc
	;; [unrolled: 2-line block ×19, first 2 shown]
	v_cmp_eq_u32_e32 vcc, 23, v124
	ds_read_b32 v125, v63
	v_cndmask_b32_e32 v65, v65, v57, vcc
	v_cmp_eq_u32_e32 vcc, 24, v124
	v_cndmask_b32_e32 v65, v65, v58, vcc
	v_cmp_eq_u32_e32 vcc, 25, v124
	;; [unrolled: 2-line block ×4, first 2 shown]
	v_add_co_u32_e64 v124, s[0:1], 1, v124
	v_cndmask_b32_e32 v65, v65, v61, vcc
	v_add_u32_e32 v63, 4, v63
	v_addc_co_u32_e64 v64, s[0:1], 0, v64, s[0:1]
	s_waitcnt lgkmcnt(0)
	v_fmac_f32_e32 v123, v65, v125
	s_andn2_b64 exec, exec, s[10:11]
	s_cbranch_execnz .LBB91_269
; %bb.270:
	s_or_b64 exec, exec, s[10:11]
.LBB91_271:
	s_or_b64 exec, exec, s[8:9]
.LBB91_272:
	s_or_b64 exec, exec, s[6:7]
	v_mov_b32_e32 v43, 0
	ds_read_b32 v43, v43 offset:36
	s_waitcnt lgkmcnt(0)
	v_mul_f32_e32 v43, v123, v43
.LBB91_273:
	s_or_b64 exec, exec, s[4:5]
	v_cmp_lt_u32_e64 s[0:1], 8, v0
	ds_write_b32 v122, v42
	s_waitcnt lgkmcnt(0)
	; wave barrier
	s_and_saveexec_b64 s[4:5], s[0:1]
	s_cbranch_execz .LBB91_289
; %bb.274:
	s_andn2_b64 vcc, exec, s[58:59]
	s_cbranch_vccnz .LBB91_276
; %bb.275:
	v_cmp_eq_u32_e32 vcc, 1, v0
	v_cndmask_b32_e32 v123, v34, v35, vcc
	v_cmp_eq_u32_e32 vcc, 2, v0
	v_cndmask_b32_e32 v123, v123, v36, vcc
	;; [unrolled: 2-line block ×23, first 2 shown]
	v_cmp_eq_u32_e32 vcc, 24, v0
	ds_read_b32 v124, v122
	v_cndmask_b32_e32 v123, v123, v58, vcc
	v_cmp_eq_u32_e32 vcc, 25, v0
	v_cndmask_b32_e32 v123, v123, v59, vcc
	v_cmp_eq_u32_e32 vcc, 26, v0
	;; [unrolled: 2-line block ×3, first 2 shown]
	v_cndmask_b32_e32 v123, v123, v61, vcc
	s_waitcnt lgkmcnt(0)
	v_mul_f32_e32 v123, v123, v124
	s_cbranch_execz .LBB91_277
	s_branch .LBB91_278
.LBB91_276:
                                        ; implicit-def: $vgpr123
.LBB91_277:
	ds_read_b32 v123, v122
.LBB91_278:
	s_and_saveexec_b64 s[6:7], s[2:3]
	s_cbranch_execz .LBB91_288
; %bb.279:
	v_add_u32_e32 v124, -10, v0
	v_add_u32_e32 v125, -9, v0
	v_cmp_lt_u32_e32 vcc, 6, v124
	v_mov_b32_e32 v124, 9
	s_and_saveexec_b64 s[2:3], vcc
	s_cbranch_execz .LBB91_283
; %bb.280:
	v_and_b32_e32 v124, -8, v125
	v_sub_u32_e32 v126, 0, v124
	s_mov_b64 s[8:9], 16
	s_movk_i32 s12, 0x94
	s_mov_b64 s[10:11], 0
.LBB91_281:                             ; =>This Inner Loop Header: Depth=1
	s_add_i32 s13, s8, -7
	v_mov_b32_e32 v124, s12
	s_add_i32 s14, s8, -6
	s_set_gpr_idx_on s13, gpr_idx(SRC0)
	v_mov_b32_e32 v133, v34
	s_set_gpr_idx_off
	ds_read2_b32 v[127:128], v124 offset1:1
	s_add_i32 s15, s8, -5
	s_set_gpr_idx_on s14, gpr_idx(SRC0)
	v_mov_b32_e32 v134, v34
	s_set_gpr_idx_off
	s_add_i32 s16, s8, -4
	s_set_gpr_idx_on s15, gpr_idx(SRC0)
	v_mov_b32_e32 v135, v34
	s_set_gpr_idx_off
	ds_read2_b32 v[129:130], v124 offset0:2 offset1:3
	s_add_i32 s17, s8, -3
	s_set_gpr_idx_on s16, gpr_idx(SRC0)
	v_mov_b32_e32 v136, v34
	s_set_gpr_idx_off
	s_add_i32 s18, s8, -2
	s_set_gpr_idx_on s17, gpr_idx(SRC0)
	v_mov_b32_e32 v137, v34
	s_set_gpr_idx_off
	ds_read2_b32 v[131:132], v124 offset0:4 offset1:5
	s_add_i32 s19, s8, -1
	s_waitcnt lgkmcnt(2)
	v_fmac_f32_e32 v123, v133, v127
	s_set_gpr_idx_on s18, gpr_idx(SRC0)
	v_mov_b32_e32 v133, v34
	s_set_gpr_idx_off
	v_fmac_f32_e32 v123, v134, v128
	s_set_gpr_idx_on s19, gpr_idx(SRC0)
	v_mov_b32_e32 v134, v34
	s_set_gpr_idx_off
	ds_read2_b32 v[127:128], v124 offset0:6 offset1:7
	s_waitcnt lgkmcnt(2)
	v_fmac_f32_e32 v123, v135, v129
	s_set_gpr_idx_on s8, gpr_idx(SRC0)
	v_mov_b32_e32 v129, v34
	s_set_gpr_idx_off
	v_fmac_f32_e32 v123, v136, v130
	s_add_u32 s8, s8, 8
	s_waitcnt lgkmcnt(1)
	v_fmac_f32_e32 v123, v137, v131
	v_add_u32_e32 v124, s8, v126
	v_fmac_f32_e32 v123, v133, v132
	s_addc_u32 s9, s9, 0
	s_add_i32 s12, s12, 32
	s_add_i32 s13, s8, -7
	v_cmp_eq_u32_e32 vcc, 16, v124
	s_waitcnt lgkmcnt(0)
	v_fmac_f32_e32 v123, v134, v127
	v_mov_b32_e32 v124, s13
	s_or_b64 s[10:11], vcc, s[10:11]
	v_fmac_f32_e32 v123, v129, v128
	s_andn2_b64 exec, exec, s[10:11]
	s_cbranch_execnz .LBB91_281
; %bb.282:
	s_or_b64 exec, exec, s[10:11]
.LBB91_283:
	s_or_b64 exec, exec, s[2:3]
	v_and_b32_e32 v62, 7, v125
	v_cmp_ne_u32_e32 vcc, 0, v62
	s_and_saveexec_b64 s[8:9], vcc
	s_cbranch_execz .LBB91_287
; %bb.284:
	v_mov_b32_e32 v63, 0x70
	v_lshl_add_u32 v63, v124, 2, v63
	v_mov_b32_e32 v64, 0
	s_mov_b64 s[10:11], 0
.LBB91_285:                             ; =>This Inner Loop Header: Depth=1
	v_cmp_eq_u32_e32 vcc, 1, v124
	v_cndmask_b32_e32 v65, v34, v35, vcc
	v_add_u32_e32 v62, -1, v62
	v_cmp_eq_u32_e32 vcc, 2, v124
	v_cndmask_b32_e32 v65, v65, v36, vcc
	v_cmp_eq_u32_e32 vcc, 0, v62
	v_cmp_eq_u32_e64 s[2:3], 3, v124
	v_cndmask_b32_e64 v65, v65, v37, s[2:3]
	s_or_b64 s[10:11], vcc, s[10:11]
	v_cmp_eq_u32_e32 vcc, 4, v124
	v_cndmask_b32_e32 v65, v65, v38, vcc
	v_cmp_eq_u32_e32 vcc, 5, v124
	v_cndmask_b32_e32 v65, v65, v39, vcc
	;; [unrolled: 2-line block ×19, first 2 shown]
	v_cmp_eq_u32_e32 vcc, 23, v124
	ds_read_b32 v125, v63
	v_cndmask_b32_e32 v65, v65, v57, vcc
	v_cmp_eq_u32_e32 vcc, 24, v124
	v_cndmask_b32_e32 v65, v65, v58, vcc
	v_cmp_eq_u32_e32 vcc, 25, v124
	;; [unrolled: 2-line block ×4, first 2 shown]
	v_add_co_u32_e64 v124, s[2:3], 1, v124
	v_cndmask_b32_e32 v65, v65, v61, vcc
	v_add_u32_e32 v63, 4, v63
	v_addc_co_u32_e64 v64, s[2:3], 0, v64, s[2:3]
	s_waitcnt lgkmcnt(0)
	v_fmac_f32_e32 v123, v65, v125
	s_andn2_b64 exec, exec, s[10:11]
	s_cbranch_execnz .LBB91_285
; %bb.286:
	s_or_b64 exec, exec, s[10:11]
.LBB91_287:
	s_or_b64 exec, exec, s[8:9]
.LBB91_288:
	s_or_b64 exec, exec, s[6:7]
	v_mov_b32_e32 v42, 0
	ds_read_b32 v42, v42 offset:32
	s_waitcnt lgkmcnt(0)
	v_mul_f32_e32 v42, v123, v42
.LBB91_289:
	s_or_b64 exec, exec, s[4:5]
	v_cmp_lt_u32_e64 s[2:3], 7, v0
	ds_write_b32 v122, v41
	s_waitcnt lgkmcnt(0)
	; wave barrier
	s_and_saveexec_b64 s[4:5], s[2:3]
	s_cbranch_execz .LBB91_305
; %bb.290:
	s_andn2_b64 vcc, exec, s[58:59]
	s_cbranch_vccnz .LBB91_292
; %bb.291:
	v_cmp_eq_u32_e32 vcc, 1, v0
	v_cndmask_b32_e32 v123, v34, v35, vcc
	v_cmp_eq_u32_e32 vcc, 2, v0
	v_cndmask_b32_e32 v123, v123, v36, vcc
	;; [unrolled: 2-line block ×23, first 2 shown]
	v_cmp_eq_u32_e32 vcc, 24, v0
	ds_read_b32 v124, v122
	v_cndmask_b32_e32 v123, v123, v58, vcc
	v_cmp_eq_u32_e32 vcc, 25, v0
	v_cndmask_b32_e32 v123, v123, v59, vcc
	v_cmp_eq_u32_e32 vcc, 26, v0
	;; [unrolled: 2-line block ×3, first 2 shown]
	v_cndmask_b32_e32 v123, v123, v61, vcc
	s_waitcnt lgkmcnt(0)
	v_mul_f32_e32 v123, v123, v124
	s_cbranch_execz .LBB91_293
	s_branch .LBB91_294
.LBB91_292:
                                        ; implicit-def: $vgpr123
.LBB91_293:
	ds_read_b32 v123, v122
.LBB91_294:
	s_and_saveexec_b64 s[6:7], s[0:1]
	s_cbranch_execz .LBB91_304
; %bb.295:
	v_add_u32_e32 v124, -9, v0
	v_cmp_lt_u32_e32 vcc, 6, v124
	v_mov_b32_e32 v124, 8
	s_and_saveexec_b64 s[0:1], vcc
	s_cbranch_execz .LBB91_299
; %bb.296:
	v_and_b32_e32 v124, 24, v0
	v_sub_u32_e32 v125, 0, v124
	s_mov_b64 s[8:9], 15
	s_movk_i32 s12, 0x90
	s_mov_b64 s[10:11], 0
.LBB91_297:                             ; =>This Inner Loop Header: Depth=1
	s_add_i32 s13, s8, -7
	v_mov_b32_e32 v124, s12
	s_add_i32 s14, s8, -6
	s_set_gpr_idx_on s13, gpr_idx(SRC0)
	v_mov_b32_e32 v134, v34
	s_set_gpr_idx_off
	s_add_i32 s15, s8, -5
	ds_read_b128 v[126:129], v124
	ds_read_b128 v[130:133], v124 offset:16
	s_set_gpr_idx_on s14, gpr_idx(SRC0)
	v_mov_b32_e32 v124, v34
	s_set_gpr_idx_off
	s_add_i32 s16, s8, -4
	s_set_gpr_idx_on s15, gpr_idx(SRC0)
	v_mov_b32_e32 v135, v34
	s_set_gpr_idx_off
	s_add_i32 s17, s8, -3
	;; [unrolled: 4-line block ×4, first 2 shown]
	s_waitcnt lgkmcnt(1)
	v_fmac_f32_e32 v123, v134, v126
	s_set_gpr_idx_on s18, gpr_idx(SRC0)
	v_mov_b32_e32 v126, v34
	s_set_gpr_idx_off
	v_fmac_f32_e32 v123, v124, v127
	s_set_gpr_idx_on s19, gpr_idx(SRC0)
	v_mov_b32_e32 v127, v34
	s_set_gpr_idx_off
	;; [unrolled: 4-line block ×3, first 2 shown]
	v_fmac_f32_e32 v123, v136, v129
	s_add_u32 s8, s8, 8
	s_waitcnt lgkmcnt(0)
	v_fmac_f32_e32 v123, v137, v130
	v_add_u32_e32 v124, s8, v125
	v_fmac_f32_e32 v123, v126, v131
	s_addc_u32 s9, s9, 0
	s_add_i32 s12, s12, 32
	s_add_i32 s13, s8, -7
	v_cmp_eq_u32_e32 vcc, 7, v124
	v_fmac_f32_e32 v123, v127, v132
	v_mov_b32_e32 v124, s13
	s_or_b64 s[10:11], vcc, s[10:11]
	v_fmac_f32_e32 v123, v128, v133
	s_andn2_b64 exec, exec, s[10:11]
	s_cbranch_execnz .LBB91_297
; %bb.298:
	s_or_b64 exec, exec, s[10:11]
.LBB91_299:
	s_or_b64 exec, exec, s[0:1]
	v_and_b32_e32 v62, 7, v0
	v_cmp_ne_u32_e32 vcc, 0, v62
	s_and_saveexec_b64 s[8:9], vcc
	s_cbranch_execz .LBB91_303
; %bb.300:
	v_mov_b32_e32 v63, 0x70
	v_lshl_add_u32 v63, v124, 2, v63
	v_mov_b32_e32 v64, 0
	s_mov_b64 s[10:11], 0
.LBB91_301:                             ; =>This Inner Loop Header: Depth=1
	v_cmp_eq_u32_e32 vcc, 1, v124
	v_cndmask_b32_e32 v65, v34, v35, vcc
	v_add_u32_e32 v62, -1, v62
	v_cmp_eq_u32_e32 vcc, 2, v124
	v_cndmask_b32_e32 v65, v65, v36, vcc
	v_cmp_eq_u32_e32 vcc, 0, v62
	v_cmp_eq_u32_e64 s[0:1], 3, v124
	v_cndmask_b32_e64 v65, v65, v37, s[0:1]
	s_or_b64 s[10:11], vcc, s[10:11]
	v_cmp_eq_u32_e32 vcc, 4, v124
	v_cndmask_b32_e32 v65, v65, v38, vcc
	v_cmp_eq_u32_e32 vcc, 5, v124
	v_cndmask_b32_e32 v65, v65, v39, vcc
	;; [unrolled: 2-line block ×19, first 2 shown]
	v_cmp_eq_u32_e32 vcc, 23, v124
	ds_read_b32 v125, v63
	v_cndmask_b32_e32 v65, v65, v57, vcc
	v_cmp_eq_u32_e32 vcc, 24, v124
	v_cndmask_b32_e32 v65, v65, v58, vcc
	v_cmp_eq_u32_e32 vcc, 25, v124
	;; [unrolled: 2-line block ×4, first 2 shown]
	v_add_co_u32_e64 v124, s[0:1], 1, v124
	v_cndmask_b32_e32 v65, v65, v61, vcc
	v_add_u32_e32 v63, 4, v63
	v_addc_co_u32_e64 v64, s[0:1], 0, v64, s[0:1]
	s_waitcnt lgkmcnt(0)
	v_fmac_f32_e32 v123, v65, v125
	s_andn2_b64 exec, exec, s[10:11]
	s_cbranch_execnz .LBB91_301
; %bb.302:
	s_or_b64 exec, exec, s[10:11]
.LBB91_303:
	s_or_b64 exec, exec, s[8:9]
.LBB91_304:
	s_or_b64 exec, exec, s[6:7]
	v_mov_b32_e32 v41, 0
	ds_read_b32 v41, v41 offset:28
	s_waitcnt lgkmcnt(0)
	v_mul_f32_e32 v41, v123, v41
.LBB91_305:
	s_or_b64 exec, exec, s[4:5]
	v_cmp_lt_u32_e64 s[0:1], 6, v0
	ds_write_b32 v122, v40
	s_waitcnt lgkmcnt(0)
	; wave barrier
	s_and_saveexec_b64 s[4:5], s[0:1]
	s_cbranch_execz .LBB91_321
; %bb.306:
	s_andn2_b64 vcc, exec, s[58:59]
	s_cbranch_vccnz .LBB91_308
; %bb.307:
	v_cmp_eq_u32_e32 vcc, 1, v0
	v_cndmask_b32_e32 v123, v34, v35, vcc
	v_cmp_eq_u32_e32 vcc, 2, v0
	v_cndmask_b32_e32 v123, v123, v36, vcc
	;; [unrolled: 2-line block ×23, first 2 shown]
	v_cmp_eq_u32_e32 vcc, 24, v0
	ds_read_b32 v124, v122
	v_cndmask_b32_e32 v123, v123, v58, vcc
	v_cmp_eq_u32_e32 vcc, 25, v0
	v_cndmask_b32_e32 v123, v123, v59, vcc
	v_cmp_eq_u32_e32 vcc, 26, v0
	;; [unrolled: 2-line block ×3, first 2 shown]
	v_cndmask_b32_e32 v123, v123, v61, vcc
	s_waitcnt lgkmcnt(0)
	v_mul_f32_e32 v123, v123, v124
	s_cbranch_execz .LBB91_309
	s_branch .LBB91_310
.LBB91_308:
                                        ; implicit-def: $vgpr123
.LBB91_309:
	ds_read_b32 v123, v122
.LBB91_310:
	s_and_saveexec_b64 s[6:7], s[2:3]
	s_cbranch_execz .LBB91_320
; %bb.311:
	v_add_u32_e32 v124, -8, v0
	v_add_u32_e32 v125, -7, v0
	v_cmp_lt_u32_e32 vcc, 6, v124
	v_mov_b32_e32 v124, 7
	s_and_saveexec_b64 s[2:3], vcc
	s_cbranch_execz .LBB91_315
; %bb.312:
	v_and_b32_e32 v124, -8, v125
	v_sub_u32_e32 v126, 0, v124
	s_mov_b64 s[8:9], 14
	s_movk_i32 s12, 0x8c
	s_mov_b64 s[10:11], 0
.LBB91_313:                             ; =>This Inner Loop Header: Depth=1
	s_add_i32 s13, s8, -7
	v_mov_b32_e32 v124, s12
	s_add_i32 s14, s8, -6
	s_set_gpr_idx_on s13, gpr_idx(SRC0)
	v_mov_b32_e32 v133, v34
	s_set_gpr_idx_off
	ds_read2_b32 v[127:128], v124 offset1:1
	s_add_i32 s15, s8, -5
	s_set_gpr_idx_on s14, gpr_idx(SRC0)
	v_mov_b32_e32 v134, v34
	s_set_gpr_idx_off
	s_add_i32 s16, s8, -4
	s_set_gpr_idx_on s15, gpr_idx(SRC0)
	v_mov_b32_e32 v135, v34
	s_set_gpr_idx_off
	ds_read2_b32 v[129:130], v124 offset0:2 offset1:3
	s_add_i32 s17, s8, -3
	s_set_gpr_idx_on s16, gpr_idx(SRC0)
	v_mov_b32_e32 v136, v34
	s_set_gpr_idx_off
	s_add_i32 s18, s8, -2
	s_set_gpr_idx_on s17, gpr_idx(SRC0)
	v_mov_b32_e32 v137, v34
	s_set_gpr_idx_off
	ds_read2_b32 v[131:132], v124 offset0:4 offset1:5
	s_add_i32 s19, s8, -1
	s_waitcnt lgkmcnt(2)
	v_fmac_f32_e32 v123, v133, v127
	s_set_gpr_idx_on s18, gpr_idx(SRC0)
	v_mov_b32_e32 v133, v34
	s_set_gpr_idx_off
	v_fmac_f32_e32 v123, v134, v128
	s_set_gpr_idx_on s19, gpr_idx(SRC0)
	v_mov_b32_e32 v134, v34
	s_set_gpr_idx_off
	ds_read2_b32 v[127:128], v124 offset0:6 offset1:7
	s_waitcnt lgkmcnt(2)
	v_fmac_f32_e32 v123, v135, v129
	s_set_gpr_idx_on s8, gpr_idx(SRC0)
	v_mov_b32_e32 v129, v34
	s_set_gpr_idx_off
	v_fmac_f32_e32 v123, v136, v130
	s_add_u32 s8, s8, 8
	s_waitcnt lgkmcnt(1)
	v_fmac_f32_e32 v123, v137, v131
	v_add_u32_e32 v124, s8, v126
	v_fmac_f32_e32 v123, v133, v132
	s_addc_u32 s9, s9, 0
	s_add_i32 s12, s12, 32
	s_add_i32 s13, s8, -7
	v_cmp_eq_u32_e32 vcc, 14, v124
	s_waitcnt lgkmcnt(0)
	v_fmac_f32_e32 v123, v134, v127
	v_mov_b32_e32 v124, s13
	s_or_b64 s[10:11], vcc, s[10:11]
	v_fmac_f32_e32 v123, v129, v128
	s_andn2_b64 exec, exec, s[10:11]
	s_cbranch_execnz .LBB91_313
; %bb.314:
	s_or_b64 exec, exec, s[10:11]
.LBB91_315:
	s_or_b64 exec, exec, s[2:3]
	v_and_b32_e32 v62, 7, v125
	v_cmp_ne_u32_e32 vcc, 0, v62
	s_and_saveexec_b64 s[8:9], vcc
	s_cbranch_execz .LBB91_319
; %bb.316:
	v_mov_b32_e32 v63, 0x70
	v_lshl_add_u32 v63, v124, 2, v63
	v_mov_b32_e32 v64, 0
	s_mov_b64 s[10:11], 0
.LBB91_317:                             ; =>This Inner Loop Header: Depth=1
	v_cmp_eq_u32_e32 vcc, 1, v124
	v_cndmask_b32_e32 v65, v34, v35, vcc
	v_add_u32_e32 v62, -1, v62
	v_cmp_eq_u32_e32 vcc, 2, v124
	v_cndmask_b32_e32 v65, v65, v36, vcc
	v_cmp_eq_u32_e32 vcc, 0, v62
	v_cmp_eq_u32_e64 s[2:3], 3, v124
	v_cndmask_b32_e64 v65, v65, v37, s[2:3]
	s_or_b64 s[10:11], vcc, s[10:11]
	v_cmp_eq_u32_e32 vcc, 4, v124
	v_cndmask_b32_e32 v65, v65, v38, vcc
	v_cmp_eq_u32_e32 vcc, 5, v124
	v_cndmask_b32_e32 v65, v65, v39, vcc
	v_cmp_eq_u32_e32 vcc, 6, v124
	v_cndmask_b32_e32 v65, v65, v40, vcc
	v_cmp_eq_u32_e32 vcc, 7, v124
	v_cndmask_b32_e32 v65, v65, v41, vcc
	v_cmp_eq_u32_e32 vcc, 8, v124
	v_cndmask_b32_e32 v65, v65, v42, vcc
	v_cmp_eq_u32_e32 vcc, 9, v124
	v_cndmask_b32_e32 v65, v65, v43, vcc
	v_cmp_eq_u32_e32 vcc, 10, v124
	v_cndmask_b32_e32 v65, v65, v44, vcc
	v_cmp_eq_u32_e32 vcc, 11, v124
	v_cndmask_b32_e32 v65, v65, v45, vcc
	v_cmp_eq_u32_e32 vcc, 12, v124
	v_cndmask_b32_e32 v65, v65, v46, vcc
	v_cmp_eq_u32_e32 vcc, 13, v124
	v_cndmask_b32_e32 v65, v65, v47, vcc
	v_cmp_eq_u32_e32 vcc, 14, v124
	v_cndmask_b32_e32 v65, v65, v48, vcc
	v_cmp_eq_u32_e32 vcc, 15, v124
	v_cndmask_b32_e32 v65, v65, v49, vcc
	v_cmp_eq_u32_e32 vcc, 16, v124
	v_cndmask_b32_e32 v65, v65, v50, vcc
	v_cmp_eq_u32_e32 vcc, 17, v124
	v_cndmask_b32_e32 v65, v65, v51, vcc
	v_cmp_eq_u32_e32 vcc, 18, v124
	v_cndmask_b32_e32 v65, v65, v52, vcc
	v_cmp_eq_u32_e32 vcc, 19, v124
	v_cndmask_b32_e32 v65, v65, v53, vcc
	v_cmp_eq_u32_e32 vcc, 20, v124
	v_cndmask_b32_e32 v65, v65, v54, vcc
	v_cmp_eq_u32_e32 vcc, 21, v124
	v_cndmask_b32_e32 v65, v65, v55, vcc
	v_cmp_eq_u32_e32 vcc, 22, v124
	v_cndmask_b32_e32 v65, v65, v56, vcc
	v_cmp_eq_u32_e32 vcc, 23, v124
	ds_read_b32 v125, v63
	v_cndmask_b32_e32 v65, v65, v57, vcc
	v_cmp_eq_u32_e32 vcc, 24, v124
	v_cndmask_b32_e32 v65, v65, v58, vcc
	v_cmp_eq_u32_e32 vcc, 25, v124
	v_cndmask_b32_e32 v65, v65, v59, vcc
	v_cmp_eq_u32_e32 vcc, 26, v124
	v_cndmask_b32_e32 v65, v65, v60, vcc
	v_cmp_eq_u32_e32 vcc, 27, v124
	v_add_co_u32_e64 v124, s[2:3], 1, v124
	v_cndmask_b32_e32 v65, v65, v61, vcc
	v_add_u32_e32 v63, 4, v63
	v_addc_co_u32_e64 v64, s[2:3], 0, v64, s[2:3]
	s_waitcnt lgkmcnt(0)
	v_fmac_f32_e32 v123, v65, v125
	s_andn2_b64 exec, exec, s[10:11]
	s_cbranch_execnz .LBB91_317
; %bb.318:
	s_or_b64 exec, exec, s[10:11]
.LBB91_319:
	s_or_b64 exec, exec, s[8:9]
.LBB91_320:
	s_or_b64 exec, exec, s[6:7]
	v_mov_b32_e32 v40, 0
	ds_read_b32 v40, v40 offset:24
	s_waitcnt lgkmcnt(0)
	v_mul_f32_e32 v40, v123, v40
.LBB91_321:
	s_or_b64 exec, exec, s[4:5]
	v_cmp_lt_u32_e64 s[2:3], 5, v0
	ds_write_b32 v122, v39
	s_waitcnt lgkmcnt(0)
	; wave barrier
	s_and_saveexec_b64 s[4:5], s[2:3]
	s_cbranch_execz .LBB91_337
; %bb.322:
	s_andn2_b64 vcc, exec, s[58:59]
	s_cbranch_vccnz .LBB91_324
; %bb.323:
	v_cmp_eq_u32_e32 vcc, 1, v0
	v_cndmask_b32_e32 v123, v34, v35, vcc
	v_cmp_eq_u32_e32 vcc, 2, v0
	v_cndmask_b32_e32 v123, v123, v36, vcc
	;; [unrolled: 2-line block ×23, first 2 shown]
	v_cmp_eq_u32_e32 vcc, 24, v0
	ds_read_b32 v124, v122
	v_cndmask_b32_e32 v123, v123, v58, vcc
	v_cmp_eq_u32_e32 vcc, 25, v0
	v_cndmask_b32_e32 v123, v123, v59, vcc
	v_cmp_eq_u32_e32 vcc, 26, v0
	;; [unrolled: 2-line block ×3, first 2 shown]
	v_cndmask_b32_e32 v123, v123, v61, vcc
	s_waitcnt lgkmcnt(0)
	v_mul_f32_e32 v123, v123, v124
	s_cbranch_execz .LBB91_325
	s_branch .LBB91_326
.LBB91_324:
                                        ; implicit-def: $vgpr123
.LBB91_325:
	ds_read_b32 v123, v122
.LBB91_326:
	s_and_saveexec_b64 s[6:7], s[0:1]
	s_cbranch_execz .LBB91_336
; %bb.327:
	v_add_u32_e32 v126, -7, v0
	v_add_u32_e32 v125, -6, v0
	v_mov_b32_e32 v124, 6
	v_cmp_lt_u32_e32 vcc, 6, v126
	s_and_saveexec_b64 s[0:1], vcc
	s_cbranch_execz .LBB91_331
; %bb.328:
	v_and_b32_e32 v124, -8, v125
	v_sub_u32_e32 v126, 0, v124
	s_mov_b64 s[8:9], 13
	s_movk_i32 s12, 0x88
	s_mov_b64 s[10:11], 0
.LBB91_329:                             ; =>This Inner Loop Header: Depth=1
	s_add_i32 s13, s8, -7
	v_mov_b32_e32 v124, s12
	s_add_i32 s14, s8, -6
	s_set_gpr_idx_on s13, gpr_idx(SRC0)
	v_mov_b32_e32 v135, v34
	s_set_gpr_idx_off
	ds_read2_b64 v[127:130], v124 offset1:1
	s_add_i32 s15, s8, -5
	s_set_gpr_idx_on s14, gpr_idx(SRC0)
	v_mov_b32_e32 v136, v34
	s_set_gpr_idx_off
	s_add_i32 s16, s8, -4
	s_set_gpr_idx_on s15, gpr_idx(SRC0)
	v_mov_b32_e32 v137, v34
	s_set_gpr_idx_off
	;; [unrolled: 4-line block ×4, first 2 shown]
	ds_read2_b64 v[131:134], v124 offset0:2 offset1:3
	s_add_i32 s19, s8, -1
	s_waitcnt lgkmcnt(1)
	v_fmac_f32_e32 v123, v135, v127
	s_set_gpr_idx_on s18, gpr_idx(SRC0)
	v_mov_b32_e32 v127, v34
	s_set_gpr_idx_off
	v_fmac_f32_e32 v123, v136, v128
	s_set_gpr_idx_on s19, gpr_idx(SRC0)
	v_mov_b32_e32 v128, v34
	s_set_gpr_idx_off
	;; [unrolled: 4-line block ×3, first 2 shown]
	v_fmac_f32_e32 v123, v138, v130
	s_add_u32 s8, s8, 8
	s_waitcnt lgkmcnt(0)
	v_fmac_f32_e32 v123, v139, v131
	v_add_u32_e32 v124, s8, v126
	v_fmac_f32_e32 v123, v127, v132
	s_addc_u32 s9, s9, 0
	s_add_i32 s12, s12, 32
	s_add_i32 s13, s8, -7
	v_cmp_eq_u32_e32 vcc, 13, v124
	v_fmac_f32_e32 v123, v128, v133
	v_mov_b32_e32 v124, s13
	s_or_b64 s[10:11], vcc, s[10:11]
	v_fmac_f32_e32 v123, v129, v134
	s_andn2_b64 exec, exec, s[10:11]
	s_cbranch_execnz .LBB91_329
; %bb.330:
	s_or_b64 exec, exec, s[10:11]
.LBB91_331:
	s_or_b64 exec, exec, s[0:1]
	v_and_b32_e32 v62, 7, v125
	v_cmp_ne_u32_e32 vcc, 0, v62
	s_and_saveexec_b64 s[8:9], vcc
	s_cbranch_execz .LBB91_335
; %bb.332:
	v_mov_b32_e32 v63, 0x70
	v_lshl_add_u32 v63, v124, 2, v63
	v_mov_b32_e32 v64, 0
	s_mov_b64 s[10:11], 0
.LBB91_333:                             ; =>This Inner Loop Header: Depth=1
	v_cmp_eq_u32_e32 vcc, 1, v124
	v_cndmask_b32_e32 v65, v34, v35, vcc
	v_add_u32_e32 v62, -1, v62
	v_cmp_eq_u32_e32 vcc, 2, v124
	v_cndmask_b32_e32 v65, v65, v36, vcc
	v_cmp_eq_u32_e32 vcc, 0, v62
	v_cmp_eq_u32_e64 s[0:1], 3, v124
	v_cndmask_b32_e64 v65, v65, v37, s[0:1]
	s_or_b64 s[10:11], vcc, s[10:11]
	v_cmp_eq_u32_e32 vcc, 4, v124
	v_cndmask_b32_e32 v65, v65, v38, vcc
	v_cmp_eq_u32_e32 vcc, 5, v124
	v_cndmask_b32_e32 v65, v65, v39, vcc
	;; [unrolled: 2-line block ×19, first 2 shown]
	v_cmp_eq_u32_e32 vcc, 23, v124
	ds_read_b32 v125, v63
	v_cndmask_b32_e32 v65, v65, v57, vcc
	v_cmp_eq_u32_e32 vcc, 24, v124
	v_cndmask_b32_e32 v65, v65, v58, vcc
	v_cmp_eq_u32_e32 vcc, 25, v124
	;; [unrolled: 2-line block ×4, first 2 shown]
	v_add_co_u32_e64 v124, s[0:1], 1, v124
	v_cndmask_b32_e32 v65, v65, v61, vcc
	v_add_u32_e32 v63, 4, v63
	v_addc_co_u32_e64 v64, s[0:1], 0, v64, s[0:1]
	s_waitcnt lgkmcnt(0)
	v_fmac_f32_e32 v123, v65, v125
	s_andn2_b64 exec, exec, s[10:11]
	s_cbranch_execnz .LBB91_333
; %bb.334:
	s_or_b64 exec, exec, s[10:11]
.LBB91_335:
	s_or_b64 exec, exec, s[8:9]
.LBB91_336:
	s_or_b64 exec, exec, s[6:7]
	v_mov_b32_e32 v39, 0
	ds_read_b32 v39, v39 offset:20
	s_waitcnt lgkmcnt(0)
	v_mul_f32_e32 v39, v123, v39
.LBB91_337:
	s_or_b64 exec, exec, s[4:5]
	v_cmp_lt_u32_e64 s[0:1], 4, v0
	ds_write_b32 v122, v38
	s_waitcnt lgkmcnt(0)
	; wave barrier
	s_and_saveexec_b64 s[4:5], s[0:1]
	s_cbranch_execz .LBB91_353
; %bb.338:
	s_andn2_b64 vcc, exec, s[58:59]
	s_cbranch_vccnz .LBB91_340
; %bb.339:
	v_cmp_eq_u32_e32 vcc, 1, v0
	v_cndmask_b32_e32 v123, v34, v35, vcc
	v_cmp_eq_u32_e32 vcc, 2, v0
	v_cndmask_b32_e32 v123, v123, v36, vcc
	;; [unrolled: 2-line block ×23, first 2 shown]
	v_cmp_eq_u32_e32 vcc, 24, v0
	ds_read_b32 v124, v122
	v_cndmask_b32_e32 v123, v123, v58, vcc
	v_cmp_eq_u32_e32 vcc, 25, v0
	v_cndmask_b32_e32 v123, v123, v59, vcc
	v_cmp_eq_u32_e32 vcc, 26, v0
	;; [unrolled: 2-line block ×3, first 2 shown]
	v_cndmask_b32_e32 v123, v123, v61, vcc
	s_waitcnt lgkmcnt(0)
	v_mul_f32_e32 v123, v123, v124
	s_cbranch_execz .LBB91_341
	s_branch .LBB91_342
.LBB91_340:
                                        ; implicit-def: $vgpr123
.LBB91_341:
	ds_read_b32 v123, v122
.LBB91_342:
	s_and_saveexec_b64 s[6:7], s[2:3]
	s_cbranch_execz .LBB91_352
; %bb.343:
	v_add_u32_e32 v124, -6, v0
	v_add_u32_e32 v125, -5, v0
	v_cmp_lt_u32_e32 vcc, 6, v124
	v_mov_b32_e32 v124, 5
	s_and_saveexec_b64 s[2:3], vcc
	s_cbranch_execz .LBB91_347
; %bb.344:
	v_and_b32_e32 v124, -8, v125
	v_sub_u32_e32 v126, 0, v124
	s_mov_b64 s[8:9], 12
	s_movk_i32 s12, 0x84
	s_mov_b64 s[10:11], 0
.LBB91_345:                             ; =>This Inner Loop Header: Depth=1
	s_add_i32 s13, s8, -7
	v_mov_b32_e32 v124, s12
	s_add_i32 s14, s8, -6
	s_set_gpr_idx_on s13, gpr_idx(SRC0)
	v_mov_b32_e32 v133, v34
	s_set_gpr_idx_off
	ds_read2_b32 v[127:128], v124 offset1:1
	s_add_i32 s15, s8, -5
	s_set_gpr_idx_on s14, gpr_idx(SRC0)
	v_mov_b32_e32 v134, v34
	s_set_gpr_idx_off
	s_add_i32 s16, s8, -4
	s_set_gpr_idx_on s15, gpr_idx(SRC0)
	v_mov_b32_e32 v135, v34
	s_set_gpr_idx_off
	ds_read2_b32 v[129:130], v124 offset0:2 offset1:3
	s_add_i32 s17, s8, -3
	s_set_gpr_idx_on s16, gpr_idx(SRC0)
	v_mov_b32_e32 v136, v34
	s_set_gpr_idx_off
	s_add_i32 s18, s8, -2
	s_set_gpr_idx_on s17, gpr_idx(SRC0)
	v_mov_b32_e32 v137, v34
	s_set_gpr_idx_off
	ds_read2_b32 v[131:132], v124 offset0:4 offset1:5
	s_add_i32 s19, s8, -1
	s_waitcnt lgkmcnt(2)
	v_fmac_f32_e32 v123, v133, v127
	s_set_gpr_idx_on s18, gpr_idx(SRC0)
	v_mov_b32_e32 v133, v34
	s_set_gpr_idx_off
	v_fmac_f32_e32 v123, v134, v128
	s_set_gpr_idx_on s19, gpr_idx(SRC0)
	v_mov_b32_e32 v134, v34
	s_set_gpr_idx_off
	ds_read2_b32 v[127:128], v124 offset0:6 offset1:7
	s_waitcnt lgkmcnt(2)
	v_fmac_f32_e32 v123, v135, v129
	s_set_gpr_idx_on s8, gpr_idx(SRC0)
	v_mov_b32_e32 v129, v34
	s_set_gpr_idx_off
	v_fmac_f32_e32 v123, v136, v130
	s_add_u32 s8, s8, 8
	s_waitcnt lgkmcnt(1)
	v_fmac_f32_e32 v123, v137, v131
	v_add_u32_e32 v124, s8, v126
	v_fmac_f32_e32 v123, v133, v132
	s_addc_u32 s9, s9, 0
	s_add_i32 s12, s12, 32
	s_add_i32 s13, s8, -7
	v_cmp_eq_u32_e32 vcc, 12, v124
	s_waitcnt lgkmcnt(0)
	v_fmac_f32_e32 v123, v134, v127
	v_mov_b32_e32 v124, s13
	s_or_b64 s[10:11], vcc, s[10:11]
	v_fmac_f32_e32 v123, v129, v128
	s_andn2_b64 exec, exec, s[10:11]
	s_cbranch_execnz .LBB91_345
; %bb.346:
	s_or_b64 exec, exec, s[10:11]
.LBB91_347:
	s_or_b64 exec, exec, s[2:3]
	v_and_b32_e32 v62, 7, v125
	v_cmp_ne_u32_e32 vcc, 0, v62
	s_and_saveexec_b64 s[8:9], vcc
	s_cbranch_execz .LBB91_351
; %bb.348:
	v_mov_b32_e32 v63, 0x70
	v_lshl_add_u32 v63, v124, 2, v63
	v_mov_b32_e32 v64, 0
	s_mov_b64 s[10:11], 0
.LBB91_349:                             ; =>This Inner Loop Header: Depth=1
	v_cmp_eq_u32_e32 vcc, 1, v124
	v_cndmask_b32_e32 v65, v34, v35, vcc
	v_add_u32_e32 v62, -1, v62
	v_cmp_eq_u32_e32 vcc, 2, v124
	v_cndmask_b32_e32 v65, v65, v36, vcc
	v_cmp_eq_u32_e32 vcc, 0, v62
	v_cmp_eq_u32_e64 s[2:3], 3, v124
	v_cndmask_b32_e64 v65, v65, v37, s[2:3]
	s_or_b64 s[10:11], vcc, s[10:11]
	v_cmp_eq_u32_e32 vcc, 4, v124
	v_cndmask_b32_e32 v65, v65, v38, vcc
	v_cmp_eq_u32_e32 vcc, 5, v124
	v_cndmask_b32_e32 v65, v65, v39, vcc
	;; [unrolled: 2-line block ×19, first 2 shown]
	v_cmp_eq_u32_e32 vcc, 23, v124
	ds_read_b32 v125, v63
	v_cndmask_b32_e32 v65, v65, v57, vcc
	v_cmp_eq_u32_e32 vcc, 24, v124
	v_cndmask_b32_e32 v65, v65, v58, vcc
	v_cmp_eq_u32_e32 vcc, 25, v124
	;; [unrolled: 2-line block ×4, first 2 shown]
	v_add_co_u32_e64 v124, s[2:3], 1, v124
	v_cndmask_b32_e32 v65, v65, v61, vcc
	v_add_u32_e32 v63, 4, v63
	v_addc_co_u32_e64 v64, s[2:3], 0, v64, s[2:3]
	s_waitcnt lgkmcnt(0)
	v_fmac_f32_e32 v123, v65, v125
	s_andn2_b64 exec, exec, s[10:11]
	s_cbranch_execnz .LBB91_349
; %bb.350:
	s_or_b64 exec, exec, s[10:11]
.LBB91_351:
	s_or_b64 exec, exec, s[8:9]
.LBB91_352:
	s_or_b64 exec, exec, s[6:7]
	v_mov_b32_e32 v38, 0
	ds_read_b32 v38, v38 offset:16
	s_waitcnt lgkmcnt(0)
	v_mul_f32_e32 v38, v123, v38
.LBB91_353:
	s_or_b64 exec, exec, s[4:5]
	v_cmp_lt_u32_e64 s[2:3], 3, v0
	ds_write_b32 v122, v37
	s_waitcnt lgkmcnt(0)
	; wave barrier
	s_and_saveexec_b64 s[4:5], s[2:3]
	s_cbranch_execz .LBB91_369
; %bb.354:
	s_andn2_b64 vcc, exec, s[58:59]
	s_cbranch_vccnz .LBB91_356
; %bb.355:
	v_cmp_eq_u32_e32 vcc, 1, v0
	v_cndmask_b32_e32 v123, v34, v35, vcc
	v_cmp_eq_u32_e32 vcc, 2, v0
	v_cndmask_b32_e32 v123, v123, v36, vcc
	;; [unrolled: 2-line block ×23, first 2 shown]
	v_cmp_eq_u32_e32 vcc, 24, v0
	ds_read_b32 v124, v122
	v_cndmask_b32_e32 v123, v123, v58, vcc
	v_cmp_eq_u32_e32 vcc, 25, v0
	v_cndmask_b32_e32 v123, v123, v59, vcc
	v_cmp_eq_u32_e32 vcc, 26, v0
	;; [unrolled: 2-line block ×3, first 2 shown]
	v_cndmask_b32_e32 v123, v123, v61, vcc
	s_waitcnt lgkmcnt(0)
	v_mul_f32_e32 v123, v123, v124
	s_cbranch_execz .LBB91_357
	s_branch .LBB91_358
.LBB91_356:
                                        ; implicit-def: $vgpr123
.LBB91_357:
	ds_read_b32 v123, v122
.LBB91_358:
	s_and_saveexec_b64 s[6:7], s[0:1]
	s_cbranch_execz .LBB91_368
; %bb.359:
	v_add_u32_e32 v124, -5, v0
	v_add_u32_e32 v125, -4, v0
	v_cmp_lt_u32_e32 vcc, 6, v124
	v_mov_b32_e32 v124, 4
	s_and_saveexec_b64 s[0:1], vcc
	s_cbranch_execz .LBB91_363
; %bb.360:
	v_and_b32_e32 v124, -8, v125
	v_sub_u32_e32 v126, 0, v124
	s_mov_b64 s[8:9], 5
	s_movk_i32 s12, 0x80
	s_mov_b64 s[10:11], 0
.LBB91_361:                             ; =>This Inner Loop Header: Depth=1
	s_add_i32 s13, s8, -1
	v_mov_b32_e32 v124, s12
	s_set_gpr_idx_on s13, gpr_idx(SRC0)
	v_mov_b32_e32 v135, v34
	s_set_gpr_idx_off
	s_add_i32 s14, s8, 1
	ds_read_b128 v[127:130], v124
	ds_read_b128 v[131:134], v124 offset:16
	s_set_gpr_idx_on s8, gpr_idx(SRC0)
	v_mov_b32_e32 v136, v34
	s_set_gpr_idx_off
	s_add_i32 s15, s8, 2
	s_set_gpr_idx_on s14, gpr_idx(SRC0)
	v_mov_b32_e32 v137, v34
	s_set_gpr_idx_off
	s_add_i32 s16, s8, 3
	;; [unrolled: 4-line block ×4, first 2 shown]
	s_waitcnt lgkmcnt(1)
	v_fmac_f32_e32 v123, v135, v127
	s_set_gpr_idx_on s17, gpr_idx(SRC0)
	v_mov_b32_e32 v127, v34
	s_set_gpr_idx_off
	s_add_i32 s19, s8, 6
	v_fmac_f32_e32 v123, v136, v128
	s_set_gpr_idx_on s18, gpr_idx(SRC0)
	v_mov_b32_e32 v128, v34
	s_set_gpr_idx_off
	v_fmac_f32_e32 v123, v137, v129
	s_set_gpr_idx_on s19, gpr_idx(SRC0)
	v_mov_b32_e32 v129, v34
	s_set_gpr_idx_off
	v_fmac_f32_e32 v123, v138, v130
	s_add_u32 s8, s8, 8
	s_waitcnt lgkmcnt(0)
	v_fmac_f32_e32 v123, v139, v131
	v_add_u32_e32 v124, s8, v126
	v_fmac_f32_e32 v123, v127, v132
	s_addc_u32 s9, s9, 0
	s_add_i32 s12, s12, 32
	s_add_i32 s13, s8, -1
	v_cmp_eq_u32_e32 vcc, 5, v124
	v_fmac_f32_e32 v123, v128, v133
	v_mov_b32_e32 v124, s13
	s_or_b64 s[10:11], vcc, s[10:11]
	v_fmac_f32_e32 v123, v129, v134
	s_andn2_b64 exec, exec, s[10:11]
	s_cbranch_execnz .LBB91_361
; %bb.362:
	s_or_b64 exec, exec, s[10:11]
.LBB91_363:
	s_or_b64 exec, exec, s[0:1]
	v_and_b32_e32 v62, 7, v125
	v_cmp_ne_u32_e32 vcc, 0, v62
	s_and_saveexec_b64 s[8:9], vcc
	s_cbranch_execz .LBB91_367
; %bb.364:
	v_mov_b32_e32 v63, 0x70
	v_lshl_add_u32 v63, v124, 2, v63
	v_mov_b32_e32 v64, 0
	s_mov_b64 s[10:11], 0
.LBB91_365:                             ; =>This Inner Loop Header: Depth=1
	v_cmp_eq_u32_e32 vcc, 1, v124
	v_cndmask_b32_e32 v65, v34, v35, vcc
	v_add_u32_e32 v62, -1, v62
	v_cmp_eq_u32_e32 vcc, 2, v124
	v_cndmask_b32_e32 v65, v65, v36, vcc
	v_cmp_eq_u32_e32 vcc, 0, v62
	v_cmp_eq_u32_e64 s[0:1], 3, v124
	v_cndmask_b32_e64 v65, v65, v37, s[0:1]
	s_or_b64 s[10:11], vcc, s[10:11]
	v_cmp_eq_u32_e32 vcc, 4, v124
	v_cndmask_b32_e32 v65, v65, v38, vcc
	v_cmp_eq_u32_e32 vcc, 5, v124
	v_cndmask_b32_e32 v65, v65, v39, vcc
	;; [unrolled: 2-line block ×19, first 2 shown]
	v_cmp_eq_u32_e32 vcc, 23, v124
	ds_read_b32 v125, v63
	v_cndmask_b32_e32 v65, v65, v57, vcc
	v_cmp_eq_u32_e32 vcc, 24, v124
	v_cndmask_b32_e32 v65, v65, v58, vcc
	v_cmp_eq_u32_e32 vcc, 25, v124
	;; [unrolled: 2-line block ×4, first 2 shown]
	v_add_co_u32_e64 v124, s[0:1], 1, v124
	v_cndmask_b32_e32 v65, v65, v61, vcc
	v_add_u32_e32 v63, 4, v63
	v_addc_co_u32_e64 v64, s[0:1], 0, v64, s[0:1]
	s_waitcnt lgkmcnt(0)
	v_fmac_f32_e32 v123, v65, v125
	s_andn2_b64 exec, exec, s[10:11]
	s_cbranch_execnz .LBB91_365
; %bb.366:
	s_or_b64 exec, exec, s[10:11]
.LBB91_367:
	s_or_b64 exec, exec, s[8:9]
.LBB91_368:
	s_or_b64 exec, exec, s[6:7]
	v_mov_b32_e32 v37, 0
	ds_read_b32 v37, v37 offset:12
	s_waitcnt lgkmcnt(0)
	v_mul_f32_e32 v37, v123, v37
.LBB91_369:
	s_or_b64 exec, exec, s[4:5]
	v_cmp_lt_u32_e64 s[0:1], 2, v0
	ds_write_b32 v122, v36
	s_waitcnt lgkmcnt(0)
	; wave barrier
	s_and_saveexec_b64 s[4:5], s[0:1]
	s_cbranch_execz .LBB91_385
; %bb.370:
	s_andn2_b64 vcc, exec, s[58:59]
	s_cbranch_vccnz .LBB91_372
; %bb.371:
	v_cmp_eq_u32_e32 vcc, 1, v0
	v_cndmask_b32_e32 v123, v34, v35, vcc
	v_cmp_eq_u32_e32 vcc, 2, v0
	v_cndmask_b32_e32 v123, v123, v36, vcc
	;; [unrolled: 2-line block ×23, first 2 shown]
	v_cmp_eq_u32_e32 vcc, 24, v0
	ds_read_b32 v124, v122
	v_cndmask_b32_e32 v123, v123, v58, vcc
	v_cmp_eq_u32_e32 vcc, 25, v0
	v_cndmask_b32_e32 v123, v123, v59, vcc
	v_cmp_eq_u32_e32 vcc, 26, v0
	;; [unrolled: 2-line block ×3, first 2 shown]
	v_cndmask_b32_e32 v123, v123, v61, vcc
	s_waitcnt lgkmcnt(0)
	v_mul_f32_e32 v123, v123, v124
	s_cbranch_execz .LBB91_373
	s_branch .LBB91_374
.LBB91_372:
                                        ; implicit-def: $vgpr123
.LBB91_373:
	ds_read_b32 v123, v122
.LBB91_374:
	s_and_saveexec_b64 s[6:7], s[2:3]
	s_cbranch_execz .LBB91_384
; %bb.375:
	v_add_u32_e32 v124, -4, v0
	v_add_u32_e32 v125, -3, v0
	v_cmp_lt_u32_e32 vcc, 6, v124
	v_mov_b32_e32 v124, 3
	s_and_saveexec_b64 s[2:3], vcc
	s_cbranch_execz .LBB91_379
; %bb.376:
	v_and_b32_e32 v124, -8, v125
	v_sub_u32_e32 v126, 0, v124
	s_mov_b64 s[8:9], 10
	s_movk_i32 s12, 0x7c
	s_mov_b64 s[10:11], 0
.LBB91_377:                             ; =>This Inner Loop Header: Depth=1
	s_add_i32 s13, s8, -7
	v_mov_b32_e32 v124, s12
	s_add_i32 s14, s8, -6
	s_set_gpr_idx_on s13, gpr_idx(SRC0)
	v_mov_b32_e32 v133, v34
	s_set_gpr_idx_off
	ds_read2_b32 v[127:128], v124 offset1:1
	s_add_i32 s15, s8, -5
	s_set_gpr_idx_on s14, gpr_idx(SRC0)
	v_mov_b32_e32 v134, v34
	s_set_gpr_idx_off
	s_add_i32 s16, s8, -4
	s_set_gpr_idx_on s15, gpr_idx(SRC0)
	v_mov_b32_e32 v135, v34
	s_set_gpr_idx_off
	ds_read2_b32 v[129:130], v124 offset0:2 offset1:3
	s_add_i32 s17, s8, -3
	s_set_gpr_idx_on s16, gpr_idx(SRC0)
	v_mov_b32_e32 v136, v34
	s_set_gpr_idx_off
	s_add_i32 s18, s8, -2
	s_set_gpr_idx_on s17, gpr_idx(SRC0)
	v_mov_b32_e32 v137, v34
	s_set_gpr_idx_off
	ds_read2_b32 v[131:132], v124 offset0:4 offset1:5
	s_add_i32 s19, s8, -1
	s_waitcnt lgkmcnt(2)
	v_fmac_f32_e32 v123, v133, v127
	s_set_gpr_idx_on s18, gpr_idx(SRC0)
	v_mov_b32_e32 v133, v34
	s_set_gpr_idx_off
	v_fmac_f32_e32 v123, v134, v128
	s_set_gpr_idx_on s19, gpr_idx(SRC0)
	v_mov_b32_e32 v134, v34
	s_set_gpr_idx_off
	ds_read2_b32 v[127:128], v124 offset0:6 offset1:7
	s_waitcnt lgkmcnt(2)
	v_fmac_f32_e32 v123, v135, v129
	s_set_gpr_idx_on s8, gpr_idx(SRC0)
	v_mov_b32_e32 v129, v34
	s_set_gpr_idx_off
	v_fmac_f32_e32 v123, v136, v130
	s_add_u32 s8, s8, 8
	s_waitcnt lgkmcnt(1)
	v_fmac_f32_e32 v123, v137, v131
	v_add_u32_e32 v124, s8, v126
	v_fmac_f32_e32 v123, v133, v132
	s_addc_u32 s9, s9, 0
	s_add_i32 s12, s12, 32
	s_add_i32 s13, s8, -7
	v_cmp_eq_u32_e32 vcc, 10, v124
	s_waitcnt lgkmcnt(0)
	v_fmac_f32_e32 v123, v134, v127
	v_mov_b32_e32 v124, s13
	s_or_b64 s[10:11], vcc, s[10:11]
	v_fmac_f32_e32 v123, v129, v128
	s_andn2_b64 exec, exec, s[10:11]
	s_cbranch_execnz .LBB91_377
; %bb.378:
	s_or_b64 exec, exec, s[10:11]
.LBB91_379:
	s_or_b64 exec, exec, s[2:3]
	v_and_b32_e32 v62, 7, v125
	v_cmp_ne_u32_e32 vcc, 0, v62
	s_and_saveexec_b64 s[8:9], vcc
	s_cbranch_execz .LBB91_383
; %bb.380:
	v_mov_b32_e32 v63, 0x70
	v_lshl_add_u32 v63, v124, 2, v63
	v_mov_b32_e32 v64, 0
	s_mov_b64 s[10:11], 0
.LBB91_381:                             ; =>This Inner Loop Header: Depth=1
	v_cmp_eq_u32_e32 vcc, 1, v124
	v_cndmask_b32_e32 v65, v34, v35, vcc
	v_add_u32_e32 v62, -1, v62
	v_cmp_eq_u32_e32 vcc, 2, v124
	v_cndmask_b32_e32 v65, v65, v36, vcc
	v_cmp_eq_u32_e32 vcc, 0, v62
	v_cmp_eq_u32_e64 s[2:3], 3, v124
	v_cndmask_b32_e64 v65, v65, v37, s[2:3]
	s_or_b64 s[10:11], vcc, s[10:11]
	v_cmp_eq_u32_e32 vcc, 4, v124
	v_cndmask_b32_e32 v65, v65, v38, vcc
	v_cmp_eq_u32_e32 vcc, 5, v124
	v_cndmask_b32_e32 v65, v65, v39, vcc
	;; [unrolled: 2-line block ×19, first 2 shown]
	v_cmp_eq_u32_e32 vcc, 23, v124
	ds_read_b32 v125, v63
	v_cndmask_b32_e32 v65, v65, v57, vcc
	v_cmp_eq_u32_e32 vcc, 24, v124
	v_cndmask_b32_e32 v65, v65, v58, vcc
	v_cmp_eq_u32_e32 vcc, 25, v124
	;; [unrolled: 2-line block ×4, first 2 shown]
	v_add_co_u32_e64 v124, s[2:3], 1, v124
	v_cndmask_b32_e32 v65, v65, v61, vcc
	v_add_u32_e32 v63, 4, v63
	v_addc_co_u32_e64 v64, s[2:3], 0, v64, s[2:3]
	s_waitcnt lgkmcnt(0)
	v_fmac_f32_e32 v123, v65, v125
	s_andn2_b64 exec, exec, s[10:11]
	s_cbranch_execnz .LBB91_381
; %bb.382:
	s_or_b64 exec, exec, s[10:11]
.LBB91_383:
	s_or_b64 exec, exec, s[8:9]
.LBB91_384:
	s_or_b64 exec, exec, s[6:7]
	v_mov_b32_e32 v36, 0
	ds_read_b32 v36, v36 offset:8
	s_waitcnt lgkmcnt(0)
	v_mul_f32_e32 v36, v123, v36
.LBB91_385:
	s_or_b64 exec, exec, s[4:5]
	v_cmp_lt_u32_e64 s[2:3], 1, v0
	ds_write_b32 v122, v35
	s_waitcnt lgkmcnt(0)
	; wave barrier
	s_and_saveexec_b64 s[4:5], s[2:3]
	s_cbranch_execz .LBB91_401
; %bb.386:
	s_andn2_b64 vcc, exec, s[58:59]
	s_cbranch_vccnz .LBB91_388
; %bb.387:
	v_cmp_eq_u32_e32 vcc, 1, v0
	v_cndmask_b32_e32 v123, v34, v35, vcc
	v_cmp_eq_u32_e32 vcc, 2, v0
	v_cndmask_b32_e32 v123, v123, v36, vcc
	;; [unrolled: 2-line block ×23, first 2 shown]
	v_cmp_eq_u32_e32 vcc, 24, v0
	ds_read_b32 v124, v122
	v_cndmask_b32_e32 v123, v123, v58, vcc
	v_cmp_eq_u32_e32 vcc, 25, v0
	v_cndmask_b32_e32 v123, v123, v59, vcc
	v_cmp_eq_u32_e32 vcc, 26, v0
	;; [unrolled: 2-line block ×3, first 2 shown]
	v_cndmask_b32_e32 v123, v123, v61, vcc
	s_waitcnt lgkmcnt(0)
	v_mul_f32_e32 v123, v123, v124
	s_cbranch_execz .LBB91_389
	s_branch .LBB91_390
.LBB91_388:
                                        ; implicit-def: $vgpr123
.LBB91_389:
	ds_read_b32 v123, v122
.LBB91_390:
	s_and_saveexec_b64 s[6:7], s[0:1]
	s_cbranch_execz .LBB91_400
; %bb.391:
	v_add_u32_e32 v124, -3, v0
	v_add_u32_e32 v125, -2, v0
	v_cmp_lt_u32_e32 vcc, 6, v124
	v_mov_b32_e32 v124, 2
	s_and_saveexec_b64 s[0:1], vcc
	s_cbranch_execz .LBB91_395
; %bb.392:
	v_and_b32_e32 v124, -8, v125
	v_sub_u32_e32 v126, 0, v124
	s_mov_b64 s[8:9], 9
	s_movk_i32 s12, 0x78
	s_mov_b64 s[10:11], 0
.LBB91_393:                             ; =>This Inner Loop Header: Depth=1
	s_add_i32 s13, s8, -7
	v_mov_b32_e32 v124, s12
	s_add_i32 s14, s8, -6
	s_set_gpr_idx_on s13, gpr_idx(SRC0)
	v_mov_b32_e32 v135, v34
	s_set_gpr_idx_off
	ds_read2_b64 v[127:130], v124 offset1:1
	s_add_i32 s15, s8, -5
	s_set_gpr_idx_on s14, gpr_idx(SRC0)
	v_mov_b32_e32 v136, v34
	s_set_gpr_idx_off
	s_add_i32 s16, s8, -4
	s_set_gpr_idx_on s15, gpr_idx(SRC0)
	v_mov_b32_e32 v137, v34
	s_set_gpr_idx_off
	;; [unrolled: 4-line block ×4, first 2 shown]
	ds_read2_b64 v[131:134], v124 offset0:2 offset1:3
	s_add_i32 s19, s8, -1
	s_waitcnt lgkmcnt(1)
	v_fmac_f32_e32 v123, v135, v127
	s_set_gpr_idx_on s18, gpr_idx(SRC0)
	v_mov_b32_e32 v127, v34
	s_set_gpr_idx_off
	v_fmac_f32_e32 v123, v136, v128
	s_set_gpr_idx_on s19, gpr_idx(SRC0)
	v_mov_b32_e32 v128, v34
	s_set_gpr_idx_off
	;; [unrolled: 4-line block ×3, first 2 shown]
	v_fmac_f32_e32 v123, v138, v130
	s_add_u32 s8, s8, 8
	s_waitcnt lgkmcnt(0)
	v_fmac_f32_e32 v123, v139, v131
	v_add_u32_e32 v124, s8, v126
	v_fmac_f32_e32 v123, v127, v132
	s_addc_u32 s9, s9, 0
	s_add_i32 s12, s12, 32
	s_add_i32 s13, s8, -7
	v_cmp_eq_u32_e32 vcc, 9, v124
	v_fmac_f32_e32 v123, v128, v133
	v_mov_b32_e32 v124, s13
	s_or_b64 s[10:11], vcc, s[10:11]
	v_fmac_f32_e32 v123, v129, v134
	s_andn2_b64 exec, exec, s[10:11]
	s_cbranch_execnz .LBB91_393
; %bb.394:
	s_or_b64 exec, exec, s[10:11]
.LBB91_395:
	s_or_b64 exec, exec, s[0:1]
	v_and_b32_e32 v62, 7, v125
	v_cmp_ne_u32_e32 vcc, 0, v62
	s_and_saveexec_b64 s[8:9], vcc
	s_cbranch_execz .LBB91_399
; %bb.396:
	v_mov_b32_e32 v63, 0x70
	v_lshl_add_u32 v63, v124, 2, v63
	v_mov_b32_e32 v64, 0
	s_mov_b64 s[10:11], 0
.LBB91_397:                             ; =>This Inner Loop Header: Depth=1
	v_cmp_eq_u32_e32 vcc, 1, v124
	v_cndmask_b32_e32 v65, v34, v35, vcc
	v_add_u32_e32 v62, -1, v62
	v_cmp_eq_u32_e32 vcc, 2, v124
	v_cndmask_b32_e32 v65, v65, v36, vcc
	v_cmp_eq_u32_e32 vcc, 0, v62
	v_cmp_eq_u32_e64 s[0:1], 3, v124
	v_cndmask_b32_e64 v65, v65, v37, s[0:1]
	s_or_b64 s[10:11], vcc, s[10:11]
	v_cmp_eq_u32_e32 vcc, 4, v124
	v_cndmask_b32_e32 v65, v65, v38, vcc
	v_cmp_eq_u32_e32 vcc, 5, v124
	v_cndmask_b32_e32 v65, v65, v39, vcc
	;; [unrolled: 2-line block ×19, first 2 shown]
	v_cmp_eq_u32_e32 vcc, 23, v124
	ds_read_b32 v125, v63
	v_cndmask_b32_e32 v65, v65, v57, vcc
	v_cmp_eq_u32_e32 vcc, 24, v124
	v_cndmask_b32_e32 v65, v65, v58, vcc
	v_cmp_eq_u32_e32 vcc, 25, v124
	;; [unrolled: 2-line block ×4, first 2 shown]
	v_add_co_u32_e64 v124, s[0:1], 1, v124
	v_cndmask_b32_e32 v65, v65, v61, vcc
	v_add_u32_e32 v63, 4, v63
	v_addc_co_u32_e64 v64, s[0:1], 0, v64, s[0:1]
	s_waitcnt lgkmcnt(0)
	v_fmac_f32_e32 v123, v65, v125
	s_andn2_b64 exec, exec, s[10:11]
	s_cbranch_execnz .LBB91_397
; %bb.398:
	s_or_b64 exec, exec, s[10:11]
.LBB91_399:
	s_or_b64 exec, exec, s[8:9]
.LBB91_400:
	s_or_b64 exec, exec, s[6:7]
	v_mov_b32_e32 v35, 0
	ds_read_b32 v35, v35 offset:4
	s_waitcnt lgkmcnt(0)
	v_mul_f32_e32 v35, v123, v35
.LBB91_401:
	s_or_b64 exec, exec, s[4:5]
	v_cmp_ne_u32_e32 vcc, 0, v0
	ds_write_b32 v122, v34
	s_waitcnt lgkmcnt(0)
	; wave barrier
	s_and_saveexec_b64 s[4:5], vcc
	s_cbranch_execz .LBB91_417
; %bb.402:
	s_andn2_b64 vcc, exec, s[58:59]
	s_cbranch_vccnz .LBB91_404
; %bb.403:
	v_cmp_eq_u32_e32 vcc, 1, v0
	v_cndmask_b32_e32 v123, v34, v35, vcc
	v_cmp_eq_u32_e32 vcc, 2, v0
	v_cndmask_b32_e32 v123, v123, v36, vcc
	;; [unrolled: 2-line block ×23, first 2 shown]
	v_cmp_eq_u32_e32 vcc, 24, v0
	ds_read_b32 v124, v122
	v_cndmask_b32_e32 v123, v123, v58, vcc
	v_cmp_eq_u32_e32 vcc, 25, v0
	v_cndmask_b32_e32 v123, v123, v59, vcc
	v_cmp_eq_u32_e32 vcc, 26, v0
	;; [unrolled: 2-line block ×3, first 2 shown]
	v_cndmask_b32_e32 v123, v123, v61, vcc
	s_waitcnt lgkmcnt(0)
	v_mul_f32_e32 v123, v123, v124
	s_cbranch_execz .LBB91_405
	s_branch .LBB91_406
.LBB91_404:
                                        ; implicit-def: $vgpr123
.LBB91_405:
	ds_read_b32 v123, v122
.LBB91_406:
	s_and_saveexec_b64 s[6:7], s[2:3]
	s_cbranch_execz .LBB91_416
; %bb.407:
	v_add_u32_e32 v124, -2, v0
	v_add_u32_e32 v125, -1, v0
	v_cmp_lt_u32_e32 vcc, 6, v124
	v_mov_b32_e32 v124, 1
	s_and_saveexec_b64 s[0:1], vcc
	s_cbranch_execz .LBB91_411
; %bb.408:
	v_and_b32_e32 v124, -8, v125
	v_sub_u32_e32 v126, 0, v124
	s_mov_b64 s[2:3], 8
	s_movk_i32 s10, 0x74
	s_mov_b64 s[8:9], 0
.LBB91_409:                             ; =>This Inner Loop Header: Depth=1
	s_add_i32 s11, s2, -7
	v_mov_b32_e32 v124, s10
	s_add_i32 s12, s2, -6
	s_set_gpr_idx_on s11, gpr_idx(SRC0)
	v_mov_b32_e32 v133, v34
	s_set_gpr_idx_off
	ds_read2_b32 v[127:128], v124 offset1:1
	s_add_i32 s13, s2, -5
	s_set_gpr_idx_on s12, gpr_idx(SRC0)
	v_mov_b32_e32 v134, v34
	s_set_gpr_idx_off
	s_add_i32 s14, s2, -4
	s_set_gpr_idx_on s13, gpr_idx(SRC0)
	v_mov_b32_e32 v135, v34
	s_set_gpr_idx_off
	ds_read2_b32 v[129:130], v124 offset0:2 offset1:3
	s_add_i32 s15, s2, -3
	s_set_gpr_idx_on s14, gpr_idx(SRC0)
	v_mov_b32_e32 v136, v34
	s_set_gpr_idx_off
	s_add_i32 s16, s2, -2
	s_set_gpr_idx_on s15, gpr_idx(SRC0)
	v_mov_b32_e32 v137, v34
	s_set_gpr_idx_off
	ds_read2_b32 v[131:132], v124 offset0:4 offset1:5
	s_add_i32 s17, s2, -1
	s_waitcnt lgkmcnt(2)
	v_fmac_f32_e32 v123, v133, v127
	s_set_gpr_idx_on s16, gpr_idx(SRC0)
	v_mov_b32_e32 v133, v34
	s_set_gpr_idx_off
	v_fmac_f32_e32 v123, v134, v128
	s_set_gpr_idx_on s17, gpr_idx(SRC0)
	v_mov_b32_e32 v134, v34
	s_set_gpr_idx_off
	ds_read2_b32 v[127:128], v124 offset0:6 offset1:7
	s_waitcnt lgkmcnt(2)
	v_fmac_f32_e32 v123, v135, v129
	s_set_gpr_idx_on s2, gpr_idx(SRC0)
	v_mov_b32_e32 v129, v34
	s_set_gpr_idx_off
	v_fmac_f32_e32 v123, v136, v130
	s_add_u32 s2, s2, 8
	s_waitcnt lgkmcnt(1)
	v_fmac_f32_e32 v123, v137, v131
	v_add_u32_e32 v124, s2, v126
	v_fmac_f32_e32 v123, v133, v132
	s_addc_u32 s3, s3, 0
	s_add_i32 s10, s10, 32
	s_add_i32 s11, s2, -7
	v_cmp_eq_u32_e32 vcc, 8, v124
	s_waitcnt lgkmcnt(0)
	v_fmac_f32_e32 v123, v134, v127
	v_mov_b32_e32 v124, s11
	s_or_b64 s[8:9], vcc, s[8:9]
	v_fmac_f32_e32 v123, v129, v128
	s_andn2_b64 exec, exec, s[8:9]
	s_cbranch_execnz .LBB91_409
; %bb.410:
	s_or_b64 exec, exec, s[8:9]
.LBB91_411:
	s_or_b64 exec, exec, s[0:1]
	v_and_b32_e32 v62, 7, v125
	v_cmp_ne_u32_e32 vcc, 0, v62
	s_and_saveexec_b64 s[2:3], vcc
	s_cbranch_execz .LBB91_415
; %bb.412:
	v_mov_b32_e32 v63, 0x70
	v_lshl_add_u32 v63, v124, 2, v63
	v_mov_b32_e32 v64, 0
	s_mov_b64 s[8:9], 0
.LBB91_413:                             ; =>This Inner Loop Header: Depth=1
	v_cmp_eq_u32_e32 vcc, 1, v124
	v_cndmask_b32_e32 v65, v34, v35, vcc
	v_add_u32_e32 v62, -1, v62
	v_cmp_eq_u32_e32 vcc, 2, v124
	v_cndmask_b32_e32 v65, v65, v36, vcc
	v_cmp_eq_u32_e32 vcc, 0, v62
	v_cmp_eq_u32_e64 s[0:1], 3, v124
	v_cndmask_b32_e64 v65, v65, v37, s[0:1]
	s_or_b64 s[8:9], vcc, s[8:9]
	v_cmp_eq_u32_e32 vcc, 4, v124
	v_cndmask_b32_e32 v65, v65, v38, vcc
	v_cmp_eq_u32_e32 vcc, 5, v124
	v_cndmask_b32_e32 v65, v65, v39, vcc
	;; [unrolled: 2-line block ×19, first 2 shown]
	v_cmp_eq_u32_e32 vcc, 23, v124
	ds_read_b32 v125, v63
	v_cndmask_b32_e32 v65, v65, v57, vcc
	v_cmp_eq_u32_e32 vcc, 24, v124
	v_cndmask_b32_e32 v65, v65, v58, vcc
	v_cmp_eq_u32_e32 vcc, 25, v124
	;; [unrolled: 2-line block ×4, first 2 shown]
	v_add_co_u32_e64 v124, s[0:1], 1, v124
	v_cndmask_b32_e32 v65, v65, v61, vcc
	v_add_u32_e32 v63, 4, v63
	v_addc_co_u32_e64 v64, s[0:1], 0, v64, s[0:1]
	s_waitcnt lgkmcnt(0)
	v_fmac_f32_e32 v123, v65, v125
	s_andn2_b64 exec, exec, s[8:9]
	s_cbranch_execnz .LBB91_413
; %bb.414:
	s_or_b64 exec, exec, s[8:9]
.LBB91_415:
	s_or_b64 exec, exec, s[2:3]
.LBB91_416:
	s_or_b64 exec, exec, s[6:7]
	v_mov_b32_e32 v34, 0
	ds_read_b32 v34, v34
	s_waitcnt lgkmcnt(0)
	v_mul_f32_e32 v34, v123, v34
.LBB91_417:
	s_or_b64 exec, exec, s[4:5]
	s_branch .LBB91_691
.LBB91_418:
	v_cmp_eq_u32_e64 s[2:3], 0, v0
	s_waitcnt vmcnt(0) lgkmcnt(0)
	ds_write_b32 v122, v3
	s_waitcnt lgkmcnt(0)
	; wave barrier
	s_and_saveexec_b64 s[0:1], s[2:3]
	s_cbranch_execz .LBB91_424
; %bb.419:
	s_and_b64 vcc, exec, s[58:59]
	s_cbranch_vccz .LBB91_421
; %bb.420:
	v_cmp_eq_u32_e32 vcc, 1, v0
	v_cndmask_b32_e32 v3, v2, v3, vcc
	v_cmp_eq_u32_e32 vcc, 2, v0
	v_cndmask_b32_e32 v3, v3, v4, vcc
	;; [unrolled: 2-line block ×23, first 2 shown]
	v_cmp_eq_u32_e32 vcc, 24, v0
	ds_read_b32 v30, v122
	v_cndmask_b32_e32 v3, v3, v26, vcc
	v_cmp_eq_u32_e32 vcc, 25, v0
	v_cndmask_b32_e32 v3, v3, v27, vcc
	v_cmp_eq_u32_e32 vcc, 26, v0
	;; [unrolled: 2-line block ×3, first 2 shown]
	v_cndmask_b32_e32 v3, v3, v29, vcc
	s_waitcnt lgkmcnt(0)
	v_mul_f32_e32 v3, v3, v30
	s_cbranch_execz .LBB91_422
	s_branch .LBB91_423
.LBB91_421:
                                        ; implicit-def: $vgpr3
.LBB91_422:
	ds_read_b32 v3, v122
.LBB91_423:
	v_mov_b32_e32 v30, 0
	ds_read_b32 v30, v30 offset:4
	s_waitcnt lgkmcnt(0)
	v_mul_f32_e32 v3, v3, v30
.LBB91_424:
	s_or_b64 exec, exec, s[0:1]
	v_cndmask_b32_e64 v34, 0, 1, s[58:59]
	v_cmp_gt_u32_e32 vcc, 2, v0
	v_cmp_ne_u32_e64 s[0:1], 1, v34
	ds_write_b32 v122, v4
	s_waitcnt lgkmcnt(0)
	; wave barrier
	s_and_saveexec_b64 s[4:5], vcc
	s_cbranch_execz .LBB91_430
; %bb.425:
	s_and_b64 vcc, exec, s[0:1]
	s_cbranch_vccnz .LBB91_427
; %bb.426:
	v_cmp_eq_u32_e32 vcc, 1, v0
	v_cndmask_b32_e32 v30, v2, v3, vcc
	v_cmp_eq_u32_e32 vcc, 2, v0
	v_cndmask_b32_e32 v4, v30, v4, vcc
	;; [unrolled: 2-line block ×23, first 2 shown]
	v_cmp_eq_u32_e32 vcc, 24, v0
	ds_read_b32 v30, v122
	v_cndmask_b32_e32 v4, v4, v26, vcc
	v_cmp_eq_u32_e32 vcc, 25, v0
	v_cndmask_b32_e32 v4, v4, v27, vcc
	v_cmp_eq_u32_e32 vcc, 26, v0
	;; [unrolled: 2-line block ×3, first 2 shown]
	v_cndmask_b32_e32 v4, v4, v29, vcc
	s_waitcnt lgkmcnt(0)
	v_mul_f32_e32 v4, v4, v30
	s_cbranch_execz .LBB91_428
	s_branch .LBB91_429
.LBB91_427:
                                        ; implicit-def: $vgpr4
.LBB91_428:
	ds_read_b32 v4, v122
.LBB91_429:
	v_mov_b32_e32 v30, 0
	ds_read2_b32 v[30:31], v30 offset0:2 offset1:29
	s_waitcnt lgkmcnt(0)
	v_fma_f32 v31, v3, v31, v4
	v_cndmask_b32_e64 v4, v4, v31, s[2:3]
	v_mul_f32_e32 v4, v4, v30
.LBB91_430:
	s_or_b64 exec, exec, s[4:5]
	v_add_u32_e32 v34, 1, v0
	v_cmp_gt_u32_e64 s[4:5], 3, v0
	ds_write_b32 v122, v5
	s_waitcnt lgkmcnt(0)
	; wave barrier
	s_and_saveexec_b64 s[6:7], s[4:5]
	s_cbranch_execz .LBB91_438
; %bb.431:
	s_and_b64 vcc, exec, s[0:1]
	s_cbranch_vccnz .LBB91_433
; %bb.432:
	v_cmp_eq_u32_e32 vcc, 1, v0
	v_cndmask_b32_e32 v30, v2, v3, vcc
	v_cmp_eq_u32_e32 vcc, 2, v0
	v_cndmask_b32_e32 v30, v30, v4, vcc
	;; [unrolled: 2-line block ×23, first 2 shown]
	v_cmp_eq_u32_e32 vcc, 24, v0
	ds_read_b32 v31, v122
	v_cndmask_b32_e32 v30, v30, v26, vcc
	v_cmp_eq_u32_e32 vcc, 25, v0
	v_cndmask_b32_e32 v30, v30, v27, vcc
	v_cmp_eq_u32_e32 vcc, 26, v0
	v_cndmask_b32_e32 v30, v30, v28, vcc
	v_cmp_eq_u32_e32 vcc, 27, v0
	v_cndmask_b32_e32 v30, v30, v29, vcc
	s_waitcnt lgkmcnt(0)
	v_mul_f32_e32 v30, v30, v31
	s_cbranch_execz .LBB91_434
	s_branch .LBB91_435
.LBB91_433:
                                        ; implicit-def: $vgpr30
.LBB91_434:
	ds_read_b32 v30, v122
.LBB91_435:
	v_cmp_ne_u32_e32 vcc, 2, v0
	s_and_saveexec_b64 s[8:9], vcc
	s_cbranch_execz .LBB91_437
; %bb.436:
	v_cmp_eq_u32_e32 vcc, 1, v34
	v_cndmask_b32_e32 v31, v2, v3, vcc
	v_cmp_eq_u32_e32 vcc, 2, v34
	v_cndmask_b32_e32 v31, v31, v4, vcc
	v_cmp_eq_u32_e32 vcc, 3, v34
	v_cndmask_b32_e32 v5, v31, v5, vcc
	v_cmp_eq_u32_e32 vcc, 4, v34
	v_cndmask_b32_e32 v5, v5, v6, vcc
	v_cmp_eq_u32_e32 vcc, 5, v34
	v_cndmask_b32_e32 v5, v5, v7, vcc
	v_cmp_eq_u32_e32 vcc, 6, v34
	v_cndmask_b32_e32 v5, v5, v8, vcc
	v_cmp_eq_u32_e32 vcc, 7, v34
	v_cndmask_b32_e32 v5, v5, v9, vcc
	v_cmp_eq_u32_e32 vcc, 8, v34
	v_cndmask_b32_e32 v5, v5, v10, vcc
	v_cmp_eq_u32_e32 vcc, 9, v34
	v_cndmask_b32_e32 v5, v5, v11, vcc
	v_cmp_eq_u32_e32 vcc, 10, v34
	v_cndmask_b32_e32 v5, v5, v12, vcc
	v_cmp_eq_u32_e32 vcc, 11, v34
	v_cndmask_b32_e32 v5, v5, v13, vcc
	v_cmp_eq_u32_e32 vcc, 12, v34
	v_cndmask_b32_e32 v5, v5, v14, vcc
	v_cmp_eq_u32_e32 vcc, 13, v34
	v_cndmask_b32_e32 v5, v5, v15, vcc
	v_cmp_eq_u32_e32 vcc, 14, v34
	v_cndmask_b32_e32 v5, v5, v16, vcc
	v_cmp_eq_u32_e32 vcc, 15, v34
	v_cndmask_b32_e32 v5, v5, v17, vcc
	v_cmp_eq_u32_e32 vcc, 16, v34
	v_cndmask_b32_e32 v5, v5, v18, vcc
	v_cmp_eq_u32_e32 vcc, 17, v34
	v_cndmask_b32_e32 v5, v5, v19, vcc
	v_cmp_eq_u32_e32 vcc, 18, v34
	v_cndmask_b32_e32 v5, v5, v20, vcc
	v_cmp_eq_u32_e32 vcc, 19, v34
	v_cndmask_b32_e32 v5, v5, v21, vcc
	v_cmp_eq_u32_e32 vcc, 20, v34
	v_cndmask_b32_e32 v5, v5, v22, vcc
	v_cmp_eq_u32_e32 vcc, 21, v34
	v_cndmask_b32_e32 v5, v5, v23, vcc
	v_cmp_eq_u32_e32 vcc, 22, v34
	v_cndmask_b32_e32 v5, v5, v24, vcc
	v_cmp_eq_u32_e32 vcc, 23, v34
	v_cndmask_b32_e32 v5, v5, v25, vcc
	v_cmp_eq_u32_e32 vcc, 24, v34
	v_mov_b32_e32 v31, 0
	v_cndmask_b32_e32 v5, v5, v26, vcc
	v_cmp_eq_u32_e32 vcc, 25, v34
	ds_read_b32 v32, v122 offset:4
	ds_read_b32 v31, v31 offset:120
	v_cndmask_b32_e32 v5, v5, v27, vcc
	v_cmp_eq_u32_e32 vcc, 26, v34
	v_cndmask_b32_e32 v5, v5, v28, vcc
	v_cmp_eq_u32_e32 vcc, 27, v34
	v_cndmask_b32_e32 v5, v5, v29, vcc
	s_waitcnt lgkmcnt(1)
	v_fmac_f32_e32 v30, v5, v32
	s_waitcnt lgkmcnt(0)
	v_fma_f32 v5, v4, v31, v30
	v_cndmask_b32_e64 v30, v30, v5, s[2:3]
.LBB91_437:
	s_or_b64 exec, exec, s[8:9]
	v_mov_b32_e32 v5, 0
	ds_read_b32 v5, v5 offset:12
	s_waitcnt lgkmcnt(0)
	v_mul_f32_e32 v5, v30, v5
.LBB91_438:
	s_or_b64 exec, exec, s[6:7]
	v_cmp_gt_u32_e32 vcc, 4, v0
	ds_write_b32 v122, v6
	s_waitcnt lgkmcnt(0)
	; wave barrier
	s_and_saveexec_b64 s[8:9], vcc
	s_cbranch_execz .LBB91_448
; %bb.439:
	s_and_b64 vcc, exec, s[0:1]
	s_cbranch_vccnz .LBB91_441
; %bb.440:
	v_cmp_eq_u32_e32 vcc, 1, v0
	v_cndmask_b32_e32 v30, v2, v3, vcc
	v_cmp_eq_u32_e32 vcc, 2, v0
	v_cndmask_b32_e32 v30, v30, v4, vcc
	;; [unrolled: 2-line block ×23, first 2 shown]
	v_cmp_eq_u32_e32 vcc, 24, v0
	ds_read_b32 v31, v122
	v_cndmask_b32_e32 v30, v30, v26, vcc
	v_cmp_eq_u32_e32 vcc, 25, v0
	v_cndmask_b32_e32 v30, v30, v27, vcc
	v_cmp_eq_u32_e32 vcc, 26, v0
	;; [unrolled: 2-line block ×3, first 2 shown]
	v_cndmask_b32_e32 v30, v30, v29, vcc
	s_waitcnt lgkmcnt(0)
	v_mul_f32_e32 v32, v30, v31
	s_cbranch_execz .LBB91_442
	s_branch .LBB91_443
.LBB91_441:
                                        ; implicit-def: $vgpr32
.LBB91_442:
	ds_read_b32 v32, v122
.LBB91_443:
	v_cmp_ne_u32_e32 vcc, 3, v0
	s_and_saveexec_b64 s[10:11], vcc
	s_cbranch_execz .LBB91_447
; %bb.444:
	v_mov_b32_e32 v30, 0x74
	v_lshl_add_u32 v33, v0, 2, v30
	v_mov_b32_e32 v31, v1
	s_mov_b64 s[12:13], 0
	v_mov_b32_e32 v30, v0
.LBB91_445:                             ; =>This Inner Loop Header: Depth=1
	v_add_co_u32_e32 v30, vcc, 1, v30
	v_addc_co_u32_e32 v31, vcc, 0, v31, vcc
	v_cmp_eq_u32_e32 vcc, 1, v30
	v_cndmask_b32_e32 v36, v2, v3, vcc
	v_cmp_lt_u32_e32 vcc, 2, v30
	v_cmp_eq_u32_e64 s[6:7], 2, v30
	v_cndmask_b32_e64 v36, v36, v4, s[6:7]
	s_or_b64 s[12:13], vcc, s[12:13]
	v_cmp_eq_u32_e32 vcc, 3, v30
	v_cndmask_b32_e32 v36, v36, v5, vcc
	v_cmp_eq_u32_e32 vcc, 4, v30
	v_cndmask_b32_e32 v36, v36, v6, vcc
	v_cmp_eq_u32_e32 vcc, 5, v30
	v_cndmask_b32_e32 v36, v36, v7, vcc
	v_cmp_eq_u32_e32 vcc, 6, v30
	v_cndmask_b32_e32 v36, v36, v8, vcc
	v_cmp_eq_u32_e32 vcc, 7, v30
	v_cndmask_b32_e32 v36, v36, v9, vcc
	v_cmp_eq_u32_e32 vcc, 8, v30
	v_cndmask_b32_e32 v36, v36, v10, vcc
	v_cmp_eq_u32_e32 vcc, 9, v30
	v_cndmask_b32_e32 v36, v36, v11, vcc
	v_cmp_eq_u32_e32 vcc, 10, v30
	v_cndmask_b32_e32 v36, v36, v12, vcc
	v_cmp_eq_u32_e32 vcc, 11, v30
	v_cndmask_b32_e32 v36, v36, v13, vcc
	v_cmp_eq_u32_e32 vcc, 12, v30
	v_cndmask_b32_e32 v36, v36, v14, vcc
	v_cmp_eq_u32_e32 vcc, 13, v30
	v_cndmask_b32_e32 v36, v36, v15, vcc
	v_cmp_eq_u32_e32 vcc, 14, v30
	v_cndmask_b32_e32 v36, v36, v16, vcc
	v_cmp_eq_u32_e32 vcc, 15, v30
	v_cndmask_b32_e32 v36, v36, v17, vcc
	v_cmp_eq_u32_e32 vcc, 16, v30
	v_cndmask_b32_e32 v36, v36, v18, vcc
	v_cmp_eq_u32_e32 vcc, 17, v30
	v_cndmask_b32_e32 v36, v36, v19, vcc
	v_cmp_eq_u32_e32 vcc, 18, v30
	v_cndmask_b32_e32 v36, v36, v20, vcc
	v_cmp_eq_u32_e32 vcc, 19, v30
	v_cndmask_b32_e32 v36, v36, v21, vcc
	v_cmp_eq_u32_e32 vcc, 20, v30
	v_cndmask_b32_e32 v36, v36, v22, vcc
	v_cmp_eq_u32_e32 vcc, 21, v30
	v_cndmask_b32_e32 v36, v36, v23, vcc
	v_cmp_eq_u32_e32 vcc, 22, v30
	v_cndmask_b32_e32 v36, v36, v24, vcc
	v_cmp_eq_u32_e32 vcc, 23, v30
	ds_read_b32 v35, v33
	v_cndmask_b32_e32 v36, v36, v25, vcc
	v_cmp_eq_u32_e32 vcc, 24, v30
	v_cndmask_b32_e32 v36, v36, v26, vcc
	v_cmp_eq_u32_e32 vcc, 25, v30
	;; [unrolled: 2-line block ×4, first 2 shown]
	v_cndmask_b32_e32 v36, v36, v29, vcc
	v_add_u32_e32 v33, 4, v33
	s_waitcnt lgkmcnt(0)
	v_fmac_f32_e32 v32, v36, v35
	s_andn2_b64 exec, exec, s[12:13]
	s_cbranch_execnz .LBB91_445
; %bb.446:
	s_or_b64 exec, exec, s[12:13]
.LBB91_447:
	s_or_b64 exec, exec, s[10:11]
	v_mov_b32_e32 v6, 0
	ds_read_b32 v6, v6 offset:16
	s_waitcnt lgkmcnt(0)
	v_mul_f32_e32 v6, v32, v6
.LBB91_448:
	s_or_b64 exec, exec, s[8:9]
	v_cmp_gt_u32_e64 s[6:7], 5, v0
	ds_write_b32 v122, v7
	s_waitcnt lgkmcnt(0)
	; wave barrier
	s_and_saveexec_b64 s[10:11], s[6:7]
	s_cbranch_execz .LBB91_458
; %bb.449:
	s_and_b64 vcc, exec, s[0:1]
	s_cbranch_vccnz .LBB91_451
; %bb.450:
	v_cmp_eq_u32_e32 vcc, 1, v0
	v_cndmask_b32_e32 v30, v2, v3, vcc
	v_cmp_eq_u32_e32 vcc, 2, v0
	v_cndmask_b32_e32 v30, v30, v4, vcc
	;; [unrolled: 2-line block ×23, first 2 shown]
	v_cmp_eq_u32_e32 vcc, 24, v0
	ds_read_b32 v31, v122
	v_cndmask_b32_e32 v30, v30, v26, vcc
	v_cmp_eq_u32_e32 vcc, 25, v0
	v_cndmask_b32_e32 v30, v30, v27, vcc
	v_cmp_eq_u32_e32 vcc, 26, v0
	;; [unrolled: 2-line block ×3, first 2 shown]
	v_cndmask_b32_e32 v30, v30, v29, vcc
	s_waitcnt lgkmcnt(0)
	v_mul_f32_e32 v32, v30, v31
	s_cbranch_execz .LBB91_452
	s_branch .LBB91_453
.LBB91_451:
                                        ; implicit-def: $vgpr32
.LBB91_452:
	ds_read_b32 v32, v122
.LBB91_453:
	v_cmp_ne_u32_e32 vcc, 4, v0
	s_and_saveexec_b64 s[12:13], vcc
	s_cbranch_execz .LBB91_457
; %bb.454:
	v_mov_b32_e32 v30, 0x74
	v_lshl_add_u32 v33, v0, 2, v30
	v_mov_b32_e32 v31, v1
	s_mov_b64 s[14:15], 0
	v_mov_b32_e32 v30, v0
.LBB91_455:                             ; =>This Inner Loop Header: Depth=1
	v_add_co_u32_e32 v30, vcc, 1, v30
	v_addc_co_u32_e32 v31, vcc, 0, v31, vcc
	v_cmp_eq_u32_e32 vcc, 1, v30
	v_cndmask_b32_e32 v36, v2, v3, vcc
	v_cmp_lt_u32_e32 vcc, 3, v30
	v_cmp_eq_u32_e64 s[8:9], 2, v30
	v_cndmask_b32_e64 v36, v36, v4, s[8:9]
	s_or_b64 s[14:15], vcc, s[14:15]
	v_cmp_eq_u32_e32 vcc, 3, v30
	v_cndmask_b32_e32 v36, v36, v5, vcc
	v_cmp_eq_u32_e32 vcc, 4, v30
	v_cndmask_b32_e32 v36, v36, v6, vcc
	;; [unrolled: 2-line block ×20, first 2 shown]
	v_cmp_eq_u32_e32 vcc, 23, v30
	ds_read_b32 v35, v33
	v_cndmask_b32_e32 v36, v36, v25, vcc
	v_cmp_eq_u32_e32 vcc, 24, v30
	v_cndmask_b32_e32 v36, v36, v26, vcc
	v_cmp_eq_u32_e32 vcc, 25, v30
	;; [unrolled: 2-line block ×4, first 2 shown]
	v_cndmask_b32_e32 v36, v36, v29, vcc
	v_add_u32_e32 v33, 4, v33
	s_waitcnt lgkmcnt(0)
	v_fmac_f32_e32 v32, v36, v35
	s_andn2_b64 exec, exec, s[14:15]
	s_cbranch_execnz .LBB91_455
; %bb.456:
	s_or_b64 exec, exec, s[14:15]
.LBB91_457:
	s_or_b64 exec, exec, s[12:13]
	v_mov_b32_e32 v7, 0
	ds_read_b32 v7, v7 offset:20
	s_waitcnt lgkmcnt(0)
	v_mul_f32_e32 v7, v32, v7
.LBB91_458:
	s_or_b64 exec, exec, s[10:11]
	v_cmp_gt_u32_e32 vcc, 6, v0
	ds_write_b32 v122, v8
	s_waitcnt lgkmcnt(0)
	; wave barrier
	s_and_saveexec_b64 s[10:11], vcc
	s_cbranch_execz .LBB91_468
; %bb.459:
	s_and_b64 vcc, exec, s[0:1]
	s_cbranch_vccnz .LBB91_461
; %bb.460:
	v_cmp_eq_u32_e32 vcc, 1, v0
	v_cndmask_b32_e32 v30, v2, v3, vcc
	v_cmp_eq_u32_e32 vcc, 2, v0
	v_cndmask_b32_e32 v30, v30, v4, vcc
	;; [unrolled: 2-line block ×23, first 2 shown]
	v_cmp_eq_u32_e32 vcc, 24, v0
	ds_read_b32 v31, v122
	v_cndmask_b32_e32 v30, v30, v26, vcc
	v_cmp_eq_u32_e32 vcc, 25, v0
	v_cndmask_b32_e32 v30, v30, v27, vcc
	v_cmp_eq_u32_e32 vcc, 26, v0
	;; [unrolled: 2-line block ×3, first 2 shown]
	v_cndmask_b32_e32 v30, v30, v29, vcc
	s_waitcnt lgkmcnt(0)
	v_mul_f32_e32 v32, v30, v31
	s_cbranch_execz .LBB91_462
	s_branch .LBB91_463
.LBB91_461:
                                        ; implicit-def: $vgpr32
.LBB91_462:
	ds_read_b32 v32, v122
.LBB91_463:
	v_cmp_ne_u32_e32 vcc, 5, v0
	s_and_saveexec_b64 s[12:13], vcc
	s_cbranch_execz .LBB91_467
; %bb.464:
	v_mov_b32_e32 v30, 0x74
	v_lshl_add_u32 v33, v0, 2, v30
	v_mov_b32_e32 v31, v1
	s_mov_b64 s[14:15], 0
	v_mov_b32_e32 v30, v0
.LBB91_465:                             ; =>This Inner Loop Header: Depth=1
	v_add_co_u32_e32 v30, vcc, 1, v30
	v_addc_co_u32_e32 v31, vcc, 0, v31, vcc
	v_cmp_eq_u32_e32 vcc, 1, v30
	v_cndmask_b32_e32 v36, v2, v3, vcc
	v_cmp_lt_u32_e32 vcc, 4, v30
	v_cmp_eq_u32_e64 s[8:9], 2, v30
	v_cndmask_b32_e64 v36, v36, v4, s[8:9]
	s_or_b64 s[14:15], vcc, s[14:15]
	v_cmp_eq_u32_e32 vcc, 3, v30
	v_cndmask_b32_e32 v36, v36, v5, vcc
	v_cmp_eq_u32_e32 vcc, 4, v30
	v_cndmask_b32_e32 v36, v36, v6, vcc
	;; [unrolled: 2-line block ×20, first 2 shown]
	v_cmp_eq_u32_e32 vcc, 23, v30
	ds_read_b32 v35, v33
	v_cndmask_b32_e32 v36, v36, v25, vcc
	v_cmp_eq_u32_e32 vcc, 24, v30
	v_cndmask_b32_e32 v36, v36, v26, vcc
	v_cmp_eq_u32_e32 vcc, 25, v30
	;; [unrolled: 2-line block ×4, first 2 shown]
	v_cndmask_b32_e32 v36, v36, v29, vcc
	v_add_u32_e32 v33, 4, v33
	s_waitcnt lgkmcnt(0)
	v_fmac_f32_e32 v32, v36, v35
	s_andn2_b64 exec, exec, s[14:15]
	s_cbranch_execnz .LBB91_465
; %bb.466:
	s_or_b64 exec, exec, s[14:15]
.LBB91_467:
	s_or_b64 exec, exec, s[12:13]
	v_mov_b32_e32 v8, 0
	ds_read_b32 v8, v8 offset:24
	s_waitcnt lgkmcnt(0)
	v_mul_f32_e32 v8, v32, v8
.LBB91_468:
	s_or_b64 exec, exec, s[10:11]
	v_cmp_gt_u32_e64 s[8:9], 7, v0
	ds_write_b32 v122, v9
	s_waitcnt lgkmcnt(0)
	; wave barrier
	s_and_saveexec_b64 s[12:13], s[8:9]
	s_cbranch_execz .LBB91_478
; %bb.469:
	s_and_b64 vcc, exec, s[0:1]
	s_cbranch_vccnz .LBB91_471
; %bb.470:
	v_cmp_eq_u32_e32 vcc, 1, v0
	v_cndmask_b32_e32 v30, v2, v3, vcc
	v_cmp_eq_u32_e32 vcc, 2, v0
	v_cndmask_b32_e32 v30, v30, v4, vcc
	;; [unrolled: 2-line block ×23, first 2 shown]
	v_cmp_eq_u32_e32 vcc, 24, v0
	ds_read_b32 v31, v122
	v_cndmask_b32_e32 v30, v30, v26, vcc
	v_cmp_eq_u32_e32 vcc, 25, v0
	v_cndmask_b32_e32 v30, v30, v27, vcc
	v_cmp_eq_u32_e32 vcc, 26, v0
	;; [unrolled: 2-line block ×3, first 2 shown]
	v_cndmask_b32_e32 v30, v30, v29, vcc
	s_waitcnt lgkmcnt(0)
	v_mul_f32_e32 v32, v30, v31
	s_cbranch_execz .LBB91_472
	s_branch .LBB91_473
.LBB91_471:
                                        ; implicit-def: $vgpr32
.LBB91_472:
	ds_read_b32 v32, v122
.LBB91_473:
	v_cmp_ne_u32_e32 vcc, 6, v0
	s_and_saveexec_b64 s[14:15], vcc
	s_cbranch_execz .LBB91_477
; %bb.474:
	v_mov_b32_e32 v30, 0x74
	v_lshl_add_u32 v33, v0, 2, v30
	v_mov_b32_e32 v31, v1
	s_mov_b64 s[16:17], 0
	v_mov_b32_e32 v30, v0
.LBB91_475:                             ; =>This Inner Loop Header: Depth=1
	v_add_co_u32_e32 v30, vcc, 1, v30
	v_addc_co_u32_e32 v31, vcc, 0, v31, vcc
	v_cmp_eq_u32_e32 vcc, 1, v30
	v_cndmask_b32_e32 v36, v2, v3, vcc
	v_cmp_lt_u32_e32 vcc, 5, v30
	v_cmp_eq_u32_e64 s[10:11], 2, v30
	v_cndmask_b32_e64 v36, v36, v4, s[10:11]
	s_or_b64 s[16:17], vcc, s[16:17]
	v_cmp_eq_u32_e32 vcc, 3, v30
	v_cndmask_b32_e32 v36, v36, v5, vcc
	v_cmp_eq_u32_e32 vcc, 4, v30
	v_cndmask_b32_e32 v36, v36, v6, vcc
	;; [unrolled: 2-line block ×20, first 2 shown]
	v_cmp_eq_u32_e32 vcc, 23, v30
	ds_read_b32 v35, v33
	v_cndmask_b32_e32 v36, v36, v25, vcc
	v_cmp_eq_u32_e32 vcc, 24, v30
	v_cndmask_b32_e32 v36, v36, v26, vcc
	v_cmp_eq_u32_e32 vcc, 25, v30
	;; [unrolled: 2-line block ×4, first 2 shown]
	v_cndmask_b32_e32 v36, v36, v29, vcc
	v_add_u32_e32 v33, 4, v33
	s_waitcnt lgkmcnt(0)
	v_fmac_f32_e32 v32, v36, v35
	s_andn2_b64 exec, exec, s[16:17]
	s_cbranch_execnz .LBB91_475
; %bb.476:
	s_or_b64 exec, exec, s[16:17]
.LBB91_477:
	s_or_b64 exec, exec, s[14:15]
	v_mov_b32_e32 v9, 0
	ds_read_b32 v9, v9 offset:28
	s_waitcnt lgkmcnt(0)
	v_mul_f32_e32 v9, v32, v9
.LBB91_478:
	s_or_b64 exec, exec, s[12:13]
	v_cmp_gt_u32_e32 vcc, 8, v0
	ds_write_b32 v122, v10
	s_waitcnt lgkmcnt(0)
	; wave barrier
	s_and_saveexec_b64 s[12:13], vcc
	s_cbranch_execz .LBB91_488
; %bb.479:
	s_and_b64 vcc, exec, s[0:1]
	s_cbranch_vccnz .LBB91_481
; %bb.480:
	v_cmp_eq_u32_e32 vcc, 1, v0
	v_cndmask_b32_e32 v30, v2, v3, vcc
	v_cmp_eq_u32_e32 vcc, 2, v0
	v_cndmask_b32_e32 v30, v30, v4, vcc
	;; [unrolled: 2-line block ×23, first 2 shown]
	v_cmp_eq_u32_e32 vcc, 24, v0
	ds_read_b32 v31, v122
	v_cndmask_b32_e32 v30, v30, v26, vcc
	v_cmp_eq_u32_e32 vcc, 25, v0
	v_cndmask_b32_e32 v30, v30, v27, vcc
	v_cmp_eq_u32_e32 vcc, 26, v0
	;; [unrolled: 2-line block ×3, first 2 shown]
	v_cndmask_b32_e32 v30, v30, v29, vcc
	s_waitcnt lgkmcnt(0)
	v_mul_f32_e32 v32, v30, v31
	s_cbranch_execz .LBB91_482
	s_branch .LBB91_483
.LBB91_481:
                                        ; implicit-def: $vgpr32
.LBB91_482:
	ds_read_b32 v32, v122
.LBB91_483:
	v_cmp_ne_u32_e32 vcc, 7, v0
	s_and_saveexec_b64 s[14:15], vcc
	s_cbranch_execz .LBB91_487
; %bb.484:
	v_mov_b32_e32 v30, 0x74
	v_lshl_add_u32 v33, v0, 2, v30
	v_mov_b32_e32 v31, v1
	s_mov_b64 s[16:17], 0
	v_mov_b32_e32 v30, v0
.LBB91_485:                             ; =>This Inner Loop Header: Depth=1
	v_add_co_u32_e32 v30, vcc, 1, v30
	v_addc_co_u32_e32 v31, vcc, 0, v31, vcc
	v_cmp_eq_u32_e32 vcc, 1, v30
	v_cndmask_b32_e32 v36, v2, v3, vcc
	v_cmp_lt_u32_e32 vcc, 6, v30
	v_cmp_eq_u32_e64 s[10:11], 2, v30
	v_cndmask_b32_e64 v36, v36, v4, s[10:11]
	s_or_b64 s[16:17], vcc, s[16:17]
	v_cmp_eq_u32_e32 vcc, 3, v30
	v_cndmask_b32_e32 v36, v36, v5, vcc
	v_cmp_eq_u32_e32 vcc, 4, v30
	v_cndmask_b32_e32 v36, v36, v6, vcc
	;; [unrolled: 2-line block ×20, first 2 shown]
	v_cmp_eq_u32_e32 vcc, 23, v30
	ds_read_b32 v35, v33
	v_cndmask_b32_e32 v36, v36, v25, vcc
	v_cmp_eq_u32_e32 vcc, 24, v30
	v_cndmask_b32_e32 v36, v36, v26, vcc
	v_cmp_eq_u32_e32 vcc, 25, v30
	;; [unrolled: 2-line block ×4, first 2 shown]
	v_cndmask_b32_e32 v36, v36, v29, vcc
	v_add_u32_e32 v33, 4, v33
	s_waitcnt lgkmcnt(0)
	v_fmac_f32_e32 v32, v36, v35
	s_andn2_b64 exec, exec, s[16:17]
	s_cbranch_execnz .LBB91_485
; %bb.486:
	s_or_b64 exec, exec, s[16:17]
.LBB91_487:
	s_or_b64 exec, exec, s[14:15]
	v_mov_b32_e32 v10, 0
	ds_read_b32 v10, v10 offset:32
	s_waitcnt lgkmcnt(0)
	v_mul_f32_e32 v10, v32, v10
.LBB91_488:
	s_or_b64 exec, exec, s[12:13]
	v_cmp_gt_u32_e32 vcc, 9, v0
	ds_write_b32 v122, v11
	s_waitcnt lgkmcnt(0)
	; wave barrier
	s_and_saveexec_b64 s[10:11], vcc
	s_cbranch_execz .LBB91_510
; %bb.489:
	s_and_b64 vcc, exec, s[0:1]
	s_cbranch_vccnz .LBB91_491
; %bb.490:
	v_cmp_eq_u32_e32 vcc, 1, v0
	v_cndmask_b32_e32 v30, v2, v3, vcc
	v_cmp_eq_u32_e32 vcc, 2, v0
	v_cndmask_b32_e32 v30, v30, v4, vcc
	v_cmp_eq_u32_e32 vcc, 3, v0
	v_cndmask_b32_e32 v30, v30, v5, vcc
	v_cmp_eq_u32_e32 vcc, 4, v0
	v_cndmask_b32_e32 v30, v30, v6, vcc
	v_cmp_eq_u32_e32 vcc, 5, v0
	v_cndmask_b32_e32 v30, v30, v7, vcc
	v_cmp_eq_u32_e32 vcc, 6, v0
	v_cndmask_b32_e32 v30, v30, v8, vcc
	v_cmp_eq_u32_e32 vcc, 7, v0
	v_cndmask_b32_e32 v30, v30, v9, vcc
	v_cmp_eq_u32_e32 vcc, 8, v0
	v_cndmask_b32_e32 v30, v30, v10, vcc
	v_cmp_eq_u32_e32 vcc, 9, v0
	v_cndmask_b32_e32 v30, v30, v11, vcc
	v_cmp_eq_u32_e32 vcc, 10, v0
	v_cndmask_b32_e32 v30, v30, v12, vcc
	v_cmp_eq_u32_e32 vcc, 11, v0
	v_cndmask_b32_e32 v30, v30, v13, vcc
	v_cmp_eq_u32_e32 vcc, 12, v0
	v_cndmask_b32_e32 v30, v30, v14, vcc
	v_cmp_eq_u32_e32 vcc, 13, v0
	v_cndmask_b32_e32 v30, v30, v15, vcc
	v_cmp_eq_u32_e32 vcc, 14, v0
	v_cndmask_b32_e32 v30, v30, v16, vcc
	v_cmp_eq_u32_e32 vcc, 15, v0
	v_cndmask_b32_e32 v30, v30, v17, vcc
	v_cmp_eq_u32_e32 vcc, 16, v0
	v_cndmask_b32_e32 v30, v30, v18, vcc
	v_cmp_eq_u32_e32 vcc, 17, v0
	v_cndmask_b32_e32 v30, v30, v19, vcc
	v_cmp_eq_u32_e32 vcc, 18, v0
	v_cndmask_b32_e32 v30, v30, v20, vcc
	v_cmp_eq_u32_e32 vcc, 19, v0
	v_cndmask_b32_e32 v30, v30, v21, vcc
	v_cmp_eq_u32_e32 vcc, 20, v0
	v_cndmask_b32_e32 v30, v30, v22, vcc
	v_cmp_eq_u32_e32 vcc, 21, v0
	v_cndmask_b32_e32 v30, v30, v23, vcc
	v_cmp_eq_u32_e32 vcc, 22, v0
	v_cndmask_b32_e32 v30, v30, v24, vcc
	v_cmp_eq_u32_e32 vcc, 23, v0
	v_cndmask_b32_e32 v30, v30, v25, vcc
	v_cmp_eq_u32_e32 vcc, 24, v0
	ds_read_b32 v31, v122
	v_cndmask_b32_e32 v30, v30, v26, vcc
	v_cmp_eq_u32_e32 vcc, 25, v0
	v_cndmask_b32_e32 v30, v30, v27, vcc
	v_cmp_eq_u32_e32 vcc, 26, v0
	;; [unrolled: 2-line block ×3, first 2 shown]
	v_cndmask_b32_e32 v30, v30, v29, vcc
	s_waitcnt lgkmcnt(0)
	v_mul_f32_e32 v30, v30, v31
	s_cbranch_execz .LBB91_492
	s_branch .LBB91_493
.LBB91_491:
                                        ; implicit-def: $vgpr30
.LBB91_492:
	ds_read_b32 v30, v122
.LBB91_493:
	v_cmp_ne_u32_e32 vcc, 8, v0
	s_and_saveexec_b64 s[12:13], vcc
	s_cbranch_execz .LBB91_509
; %bb.494:
	v_cmp_eq_u32_e32 vcc, 1, v34
	v_cndmask_b32_e32 v31, v2, v3, vcc
	v_cmp_eq_u32_e32 vcc, 2, v34
	v_cndmask_b32_e32 v31, v31, v4, vcc
	v_cmp_eq_u32_e32 vcc, 3, v34
	v_cndmask_b32_e32 v31, v31, v5, vcc
	v_cmp_eq_u32_e32 vcc, 4, v34
	v_cndmask_b32_e32 v31, v31, v6, vcc
	v_cmp_eq_u32_e32 vcc, 5, v34
	v_cndmask_b32_e32 v31, v31, v7, vcc
	v_cmp_eq_u32_e32 vcc, 6, v34
	v_cndmask_b32_e32 v31, v31, v8, vcc
	v_cmp_eq_u32_e32 vcc, 7, v34
	v_cndmask_b32_e32 v31, v31, v9, vcc
	v_cmp_eq_u32_e32 vcc, 8, v34
	v_cndmask_b32_e32 v31, v31, v10, vcc
	v_cmp_eq_u32_e32 vcc, 9, v34
	v_cndmask_b32_e32 v31, v31, v11, vcc
	v_cmp_eq_u32_e32 vcc, 10, v34
	v_cndmask_b32_e32 v31, v31, v12, vcc
	v_cmp_eq_u32_e32 vcc, 11, v34
	v_cndmask_b32_e32 v31, v31, v13, vcc
	v_cmp_eq_u32_e32 vcc, 12, v34
	v_cndmask_b32_e32 v31, v31, v14, vcc
	v_cmp_eq_u32_e32 vcc, 13, v34
	v_cndmask_b32_e32 v31, v31, v15, vcc
	v_cmp_eq_u32_e32 vcc, 14, v34
	v_cndmask_b32_e32 v31, v31, v16, vcc
	v_cmp_eq_u32_e32 vcc, 15, v34
	v_cndmask_b32_e32 v31, v31, v17, vcc
	v_cmp_eq_u32_e32 vcc, 16, v34
	v_cndmask_b32_e32 v31, v31, v18, vcc
	v_cmp_eq_u32_e32 vcc, 17, v34
	v_cndmask_b32_e32 v31, v31, v19, vcc
	v_cmp_eq_u32_e32 vcc, 18, v34
	v_cndmask_b32_e32 v31, v31, v20, vcc
	v_cmp_eq_u32_e32 vcc, 19, v34
	v_cndmask_b32_e32 v31, v31, v21, vcc
	v_cmp_eq_u32_e32 vcc, 20, v34
	v_cndmask_b32_e32 v31, v31, v22, vcc
	v_cmp_eq_u32_e32 vcc, 21, v34
	v_cndmask_b32_e32 v31, v31, v23, vcc
	v_cmp_eq_u32_e32 vcc, 22, v34
	v_cndmask_b32_e32 v31, v31, v24, vcc
	v_cmp_eq_u32_e32 vcc, 23, v34
	v_cndmask_b32_e32 v31, v31, v25, vcc
	v_cmp_eq_u32_e32 vcc, 24, v34
	ds_read_b32 v32, v122 offset:4
	v_cndmask_b32_e32 v31, v31, v26, vcc
	v_cmp_eq_u32_e32 vcc, 25, v34
	v_cndmask_b32_e32 v31, v31, v27, vcc
	v_cmp_eq_u32_e32 vcc, 26, v34
	v_cndmask_b32_e32 v31, v31, v28, vcc
	v_cmp_eq_u32_e32 vcc, 27, v34
	v_cndmask_b32_e32 v31, v31, v29, vcc
	s_waitcnt lgkmcnt(0)
	v_fmac_f32_e32 v30, v31, v32
	s_and_saveexec_b64 s[14:15], s[8:9]
	s_cbranch_execz .LBB91_508
; %bb.495:
	v_add_u32_e32 v31, 2, v0
	v_cmp_eq_u32_e32 vcc, 1, v31
	v_cndmask_b32_e32 v32, v2, v3, vcc
	v_cmp_eq_u32_e32 vcc, 2, v31
	v_cndmask_b32_e32 v32, v32, v4, vcc
	;; [unrolled: 2-line block ×23, first 2 shown]
	v_cmp_eq_u32_e32 vcc, 24, v31
	ds_read_b32 v33, v122 offset:8
	v_cndmask_b32_e32 v32, v32, v26, vcc
	v_cmp_eq_u32_e32 vcc, 25, v31
	v_cndmask_b32_e32 v32, v32, v27, vcc
	v_cmp_eq_u32_e32 vcc, 26, v31
	;; [unrolled: 2-line block ×3, first 2 shown]
	v_cndmask_b32_e32 v31, v32, v29, vcc
	s_waitcnt lgkmcnt(0)
	v_fmac_f32_e32 v30, v31, v33
	v_cmp_ne_u32_e32 vcc, 6, v0
	s_and_saveexec_b64 s[8:9], vcc
	s_cbranch_execz .LBB91_507
; %bb.496:
	v_add_u32_e32 v31, 3, v0
	v_cmp_eq_u32_e32 vcc, 1, v31
	v_cndmask_b32_e32 v32, v2, v3, vcc
	v_cmp_eq_u32_e32 vcc, 2, v31
	v_cndmask_b32_e32 v32, v32, v4, vcc
	;; [unrolled: 2-line block ×23, first 2 shown]
	v_cmp_eq_u32_e32 vcc, 24, v31
	ds_read_b32 v33, v122 offset:12
	v_cndmask_b32_e32 v32, v32, v26, vcc
	v_cmp_eq_u32_e32 vcc, 25, v31
	v_cndmask_b32_e32 v32, v32, v27, vcc
	v_cmp_eq_u32_e32 vcc, 26, v31
	;; [unrolled: 2-line block ×3, first 2 shown]
	v_cndmask_b32_e32 v31, v32, v29, vcc
	s_waitcnt lgkmcnt(0)
	v_fmac_f32_e32 v30, v31, v33
	s_and_saveexec_b64 s[16:17], s[6:7]
	s_cbranch_execz .LBB91_506
; %bb.497:
	v_add_u32_e32 v31, 4, v0
	v_cmp_eq_u32_e32 vcc, 1, v31
	v_cndmask_b32_e32 v32, v2, v3, vcc
	v_cmp_eq_u32_e32 vcc, 2, v31
	v_cndmask_b32_e32 v32, v32, v4, vcc
	;; [unrolled: 2-line block ×23, first 2 shown]
	v_cmp_eq_u32_e32 vcc, 24, v31
	ds_read_b32 v33, v122 offset:16
	v_cndmask_b32_e32 v32, v32, v26, vcc
	v_cmp_eq_u32_e32 vcc, 25, v31
	v_cndmask_b32_e32 v32, v32, v27, vcc
	v_cmp_eq_u32_e32 vcc, 26, v31
	;; [unrolled: 2-line block ×3, first 2 shown]
	v_cndmask_b32_e32 v31, v32, v29, vcc
	s_waitcnt lgkmcnt(0)
	v_fmac_f32_e32 v30, v31, v33
	v_cmp_ne_u32_e32 vcc, 4, v0
	s_and_saveexec_b64 s[6:7], vcc
	s_cbranch_execz .LBB91_505
; %bb.498:
	v_add_u32_e32 v31, 5, v0
	v_cmp_eq_u32_e32 vcc, 1, v31
	v_cndmask_b32_e32 v32, v2, v3, vcc
	v_cmp_eq_u32_e32 vcc, 2, v31
	v_cndmask_b32_e32 v32, v32, v4, vcc
	;; [unrolled: 2-line block ×23, first 2 shown]
	v_cmp_eq_u32_e32 vcc, 24, v31
	ds_read_b32 v33, v122 offset:20
	v_cndmask_b32_e32 v32, v32, v26, vcc
	v_cmp_eq_u32_e32 vcc, 25, v31
	v_cndmask_b32_e32 v32, v32, v27, vcc
	v_cmp_eq_u32_e32 vcc, 26, v31
	;; [unrolled: 2-line block ×3, first 2 shown]
	v_cndmask_b32_e32 v31, v32, v29, vcc
	s_waitcnt lgkmcnt(0)
	v_fmac_f32_e32 v30, v31, v33
	s_and_saveexec_b64 s[18:19], s[4:5]
	s_cbranch_execz .LBB91_504
; %bb.499:
	v_add_u32_e32 v31, 6, v0
	v_cmp_eq_u32_e32 vcc, 1, v31
	v_cndmask_b32_e32 v32, v2, v3, vcc
	v_cmp_eq_u32_e32 vcc, 2, v31
	v_cndmask_b32_e32 v32, v32, v4, vcc
	;; [unrolled: 2-line block ×23, first 2 shown]
	v_cmp_eq_u32_e32 vcc, 24, v31
	ds_read_b32 v33, v122 offset:24
	v_cndmask_b32_e32 v32, v32, v26, vcc
	v_cmp_eq_u32_e32 vcc, 25, v31
	v_cndmask_b32_e32 v32, v32, v27, vcc
	v_cmp_eq_u32_e32 vcc, 26, v31
	;; [unrolled: 2-line block ×3, first 2 shown]
	v_cndmask_b32_e32 v31, v32, v29, vcc
	s_waitcnt lgkmcnt(0)
	v_fmac_f32_e32 v30, v31, v33
	v_cmp_ne_u32_e32 vcc, 2, v0
	s_and_saveexec_b64 s[4:5], vcc
	s_cbranch_execz .LBB91_503
; %bb.500:
	v_add_u32_e32 v31, 7, v0
	v_cmp_eq_u32_e32 vcc, 1, v31
	v_cndmask_b32_e32 v32, v2, v3, vcc
	v_cmp_eq_u32_e32 vcc, 2, v31
	v_cndmask_b32_e32 v32, v32, v4, vcc
	;; [unrolled: 2-line block ×23, first 2 shown]
	v_cmp_eq_u32_e32 vcc, 24, v31
	ds_read_b32 v32, v122 offset:28
	v_cndmask_b32_e32 v11, v11, v26, vcc
	v_cmp_eq_u32_e32 vcc, 25, v31
	v_cndmask_b32_e32 v11, v11, v27, vcc
	v_cmp_eq_u32_e32 vcc, 26, v31
	;; [unrolled: 2-line block ×3, first 2 shown]
	v_cndmask_b32_e32 v11, v11, v29, vcc
	s_waitcnt lgkmcnt(0)
	v_fmac_f32_e32 v30, v11, v32
	s_and_saveexec_b64 s[20:21], s[2:3]
	s_cbranch_execz .LBB91_502
; %bb.501:
	ds_read_b32 v11, v122 offset:32
	s_waitcnt lgkmcnt(0)
	v_fmac_f32_e32 v30, v10, v11
.LBB91_502:
	s_or_b64 exec, exec, s[20:21]
.LBB91_503:
	s_or_b64 exec, exec, s[4:5]
.LBB91_504:
	s_or_b64 exec, exec, s[18:19]
.LBB91_505:
	s_or_b64 exec, exec, s[6:7]
.LBB91_506:
	s_or_b64 exec, exec, s[16:17]
.LBB91_507:
	s_or_b64 exec, exec, s[8:9]
.LBB91_508:
	s_or_b64 exec, exec, s[14:15]
.LBB91_509:
	s_or_b64 exec, exec, s[12:13]
	v_mov_b32_e32 v11, 0
	ds_read_b32 v11, v11 offset:36
	s_waitcnt lgkmcnt(0)
	v_mul_f32_e32 v11, v30, v11
.LBB91_510:
	s_or_b64 exec, exec, s[10:11]
	v_cmp_gt_u32_e32 vcc, 10, v0
	ds_write_b32 v122, v12
	s_waitcnt lgkmcnt(0)
	; wave barrier
	s_and_saveexec_b64 s[4:5], vcc
	s_cbranch_execz .LBB91_520
; %bb.511:
	s_and_b64 vcc, exec, s[0:1]
	s_cbranch_vccnz .LBB91_513
; %bb.512:
	v_cmp_eq_u32_e32 vcc, 1, v0
	v_cndmask_b32_e32 v30, v2, v3, vcc
	v_cmp_eq_u32_e32 vcc, 2, v0
	v_cndmask_b32_e32 v30, v30, v4, vcc
	;; [unrolled: 2-line block ×23, first 2 shown]
	v_cmp_eq_u32_e32 vcc, 24, v0
	ds_read_b32 v31, v122
	v_cndmask_b32_e32 v30, v30, v26, vcc
	v_cmp_eq_u32_e32 vcc, 25, v0
	v_cndmask_b32_e32 v30, v30, v27, vcc
	v_cmp_eq_u32_e32 vcc, 26, v0
	;; [unrolled: 2-line block ×3, first 2 shown]
	v_cndmask_b32_e32 v30, v30, v29, vcc
	s_waitcnt lgkmcnt(0)
	v_mul_f32_e32 v32, v30, v31
	s_cbranch_execz .LBB91_514
	s_branch .LBB91_515
.LBB91_513:
                                        ; implicit-def: $vgpr32
.LBB91_514:
	ds_read_b32 v32, v122
.LBB91_515:
	v_cmp_ne_u32_e32 vcc, 9, v0
	s_and_saveexec_b64 s[6:7], vcc
	s_cbranch_execz .LBB91_519
; %bb.516:
	v_mov_b32_e32 v30, 0x74
	v_lshl_add_u32 v33, v0, 2, v30
	v_mov_b32_e32 v31, v1
	s_mov_b64 s[8:9], 0
	v_mov_b32_e32 v30, v0
.LBB91_517:                             ; =>This Inner Loop Header: Depth=1
	v_add_co_u32_e32 v30, vcc, 1, v30
	v_addc_co_u32_e32 v31, vcc, 0, v31, vcc
	v_cmp_eq_u32_e32 vcc, 1, v30
	v_cndmask_b32_e32 v35, v2, v3, vcc
	v_cmp_lt_u32_e32 vcc, 8, v30
	v_cmp_eq_u32_e64 s[2:3], 2, v30
	v_cndmask_b32_e64 v35, v35, v4, s[2:3]
	s_or_b64 s[8:9], vcc, s[8:9]
	v_cmp_eq_u32_e32 vcc, 3, v30
	v_cndmask_b32_e32 v35, v35, v5, vcc
	v_cmp_eq_u32_e32 vcc, 4, v30
	v_cndmask_b32_e32 v35, v35, v6, vcc
	;; [unrolled: 2-line block ×20, first 2 shown]
	v_cmp_eq_u32_e32 vcc, 23, v30
	ds_read_b32 v34, v33
	v_cndmask_b32_e32 v35, v35, v25, vcc
	v_cmp_eq_u32_e32 vcc, 24, v30
	v_cndmask_b32_e32 v35, v35, v26, vcc
	v_cmp_eq_u32_e32 vcc, 25, v30
	;; [unrolled: 2-line block ×4, first 2 shown]
	v_cndmask_b32_e32 v35, v35, v29, vcc
	v_add_u32_e32 v33, 4, v33
	s_waitcnt lgkmcnt(0)
	v_fmac_f32_e32 v32, v35, v34
	s_andn2_b64 exec, exec, s[8:9]
	s_cbranch_execnz .LBB91_517
; %bb.518:
	s_or_b64 exec, exec, s[8:9]
.LBB91_519:
	s_or_b64 exec, exec, s[6:7]
	v_mov_b32_e32 v12, 0
	ds_read_b32 v12, v12 offset:40
	s_waitcnt lgkmcnt(0)
	v_mul_f32_e32 v12, v32, v12
.LBB91_520:
	s_or_b64 exec, exec, s[4:5]
	v_cmp_gt_u32_e32 vcc, 11, v0
	ds_write_b32 v122, v13
	s_waitcnt lgkmcnt(0)
	; wave barrier
	s_and_saveexec_b64 s[4:5], vcc
	s_cbranch_execz .LBB91_530
; %bb.521:
	s_and_b64 vcc, exec, s[0:1]
	s_cbranch_vccnz .LBB91_523
; %bb.522:
	v_cmp_eq_u32_e32 vcc, 1, v0
	v_cndmask_b32_e32 v30, v2, v3, vcc
	v_cmp_eq_u32_e32 vcc, 2, v0
	v_cndmask_b32_e32 v30, v30, v4, vcc
	;; [unrolled: 2-line block ×23, first 2 shown]
	v_cmp_eq_u32_e32 vcc, 24, v0
	ds_read_b32 v31, v122
	v_cndmask_b32_e32 v30, v30, v26, vcc
	v_cmp_eq_u32_e32 vcc, 25, v0
	v_cndmask_b32_e32 v30, v30, v27, vcc
	v_cmp_eq_u32_e32 vcc, 26, v0
	;; [unrolled: 2-line block ×3, first 2 shown]
	v_cndmask_b32_e32 v30, v30, v29, vcc
	s_waitcnt lgkmcnt(0)
	v_mul_f32_e32 v32, v30, v31
	s_cbranch_execz .LBB91_524
	s_branch .LBB91_525
.LBB91_523:
                                        ; implicit-def: $vgpr32
.LBB91_524:
	ds_read_b32 v32, v122
.LBB91_525:
	v_cmp_ne_u32_e32 vcc, 10, v0
	s_and_saveexec_b64 s[6:7], vcc
	s_cbranch_execz .LBB91_529
; %bb.526:
	v_mov_b32_e32 v30, 0x74
	v_lshl_add_u32 v33, v0, 2, v30
	v_mov_b32_e32 v31, v1
	s_mov_b64 s[8:9], 0
	v_mov_b32_e32 v30, v0
.LBB91_527:                             ; =>This Inner Loop Header: Depth=1
	v_add_co_u32_e32 v30, vcc, 1, v30
	v_addc_co_u32_e32 v31, vcc, 0, v31, vcc
	v_cmp_eq_u32_e32 vcc, 1, v30
	v_cndmask_b32_e32 v35, v2, v3, vcc
	v_cmp_lt_u32_e32 vcc, 9, v30
	v_cmp_eq_u32_e64 s[2:3], 2, v30
	v_cndmask_b32_e64 v35, v35, v4, s[2:3]
	s_or_b64 s[8:9], vcc, s[8:9]
	v_cmp_eq_u32_e32 vcc, 3, v30
	v_cndmask_b32_e32 v35, v35, v5, vcc
	v_cmp_eq_u32_e32 vcc, 4, v30
	v_cndmask_b32_e32 v35, v35, v6, vcc
	;; [unrolled: 2-line block ×20, first 2 shown]
	v_cmp_eq_u32_e32 vcc, 23, v30
	ds_read_b32 v34, v33
	v_cndmask_b32_e32 v35, v35, v25, vcc
	v_cmp_eq_u32_e32 vcc, 24, v30
	v_cndmask_b32_e32 v35, v35, v26, vcc
	v_cmp_eq_u32_e32 vcc, 25, v30
	;; [unrolled: 2-line block ×4, first 2 shown]
	v_cndmask_b32_e32 v35, v35, v29, vcc
	v_add_u32_e32 v33, 4, v33
	s_waitcnt lgkmcnt(0)
	v_fmac_f32_e32 v32, v35, v34
	s_andn2_b64 exec, exec, s[8:9]
	s_cbranch_execnz .LBB91_527
; %bb.528:
	s_or_b64 exec, exec, s[8:9]
.LBB91_529:
	s_or_b64 exec, exec, s[6:7]
	v_mov_b32_e32 v13, 0
	ds_read_b32 v13, v13 offset:44
	s_waitcnt lgkmcnt(0)
	v_mul_f32_e32 v13, v32, v13
.LBB91_530:
	s_or_b64 exec, exec, s[4:5]
	v_cmp_gt_u32_e32 vcc, 12, v0
	ds_write_b32 v122, v14
	s_waitcnt lgkmcnt(0)
	; wave barrier
	s_and_saveexec_b64 s[4:5], vcc
	s_cbranch_execz .LBB91_540
; %bb.531:
	s_and_b64 vcc, exec, s[0:1]
	s_cbranch_vccnz .LBB91_533
; %bb.532:
	v_cmp_eq_u32_e32 vcc, 1, v0
	v_cndmask_b32_e32 v30, v2, v3, vcc
	v_cmp_eq_u32_e32 vcc, 2, v0
	v_cndmask_b32_e32 v30, v30, v4, vcc
	;; [unrolled: 2-line block ×23, first 2 shown]
	v_cmp_eq_u32_e32 vcc, 24, v0
	ds_read_b32 v31, v122
	v_cndmask_b32_e32 v30, v30, v26, vcc
	v_cmp_eq_u32_e32 vcc, 25, v0
	v_cndmask_b32_e32 v30, v30, v27, vcc
	v_cmp_eq_u32_e32 vcc, 26, v0
	v_cndmask_b32_e32 v30, v30, v28, vcc
	v_cmp_eq_u32_e32 vcc, 27, v0
	v_cndmask_b32_e32 v30, v30, v29, vcc
	s_waitcnt lgkmcnt(0)
	v_mul_f32_e32 v32, v30, v31
	s_cbranch_execz .LBB91_534
	s_branch .LBB91_535
.LBB91_533:
                                        ; implicit-def: $vgpr32
.LBB91_534:
	ds_read_b32 v32, v122
.LBB91_535:
	v_cmp_ne_u32_e32 vcc, 11, v0
	s_and_saveexec_b64 s[6:7], vcc
	s_cbranch_execz .LBB91_539
; %bb.536:
	v_mov_b32_e32 v30, 0x74
	v_lshl_add_u32 v33, v0, 2, v30
	v_mov_b32_e32 v31, v1
	s_mov_b64 s[8:9], 0
	v_mov_b32_e32 v30, v0
.LBB91_537:                             ; =>This Inner Loop Header: Depth=1
	v_add_co_u32_e32 v30, vcc, 1, v30
	v_addc_co_u32_e32 v31, vcc, 0, v31, vcc
	v_cmp_eq_u32_e32 vcc, 1, v30
	v_cndmask_b32_e32 v35, v2, v3, vcc
	v_cmp_lt_u32_e32 vcc, 10, v30
	v_cmp_eq_u32_e64 s[2:3], 2, v30
	v_cndmask_b32_e64 v35, v35, v4, s[2:3]
	s_or_b64 s[8:9], vcc, s[8:9]
	v_cmp_eq_u32_e32 vcc, 3, v30
	v_cndmask_b32_e32 v35, v35, v5, vcc
	v_cmp_eq_u32_e32 vcc, 4, v30
	v_cndmask_b32_e32 v35, v35, v6, vcc
	;; [unrolled: 2-line block ×20, first 2 shown]
	v_cmp_eq_u32_e32 vcc, 23, v30
	ds_read_b32 v34, v33
	v_cndmask_b32_e32 v35, v35, v25, vcc
	v_cmp_eq_u32_e32 vcc, 24, v30
	v_cndmask_b32_e32 v35, v35, v26, vcc
	v_cmp_eq_u32_e32 vcc, 25, v30
	;; [unrolled: 2-line block ×4, first 2 shown]
	v_cndmask_b32_e32 v35, v35, v29, vcc
	v_add_u32_e32 v33, 4, v33
	s_waitcnt lgkmcnt(0)
	v_fmac_f32_e32 v32, v35, v34
	s_andn2_b64 exec, exec, s[8:9]
	s_cbranch_execnz .LBB91_537
; %bb.538:
	s_or_b64 exec, exec, s[8:9]
.LBB91_539:
	s_or_b64 exec, exec, s[6:7]
	v_mov_b32_e32 v14, 0
	ds_read_b32 v14, v14 offset:48
	s_waitcnt lgkmcnt(0)
	v_mul_f32_e32 v14, v32, v14
.LBB91_540:
	s_or_b64 exec, exec, s[4:5]
	v_cmp_gt_u32_e32 vcc, 13, v0
	ds_write_b32 v122, v15
	s_waitcnt lgkmcnt(0)
	; wave barrier
	s_and_saveexec_b64 s[4:5], vcc
	s_cbranch_execz .LBB91_550
; %bb.541:
	s_and_b64 vcc, exec, s[0:1]
	s_cbranch_vccnz .LBB91_543
; %bb.542:
	v_cmp_eq_u32_e32 vcc, 1, v0
	v_cndmask_b32_e32 v30, v2, v3, vcc
	v_cmp_eq_u32_e32 vcc, 2, v0
	v_cndmask_b32_e32 v30, v30, v4, vcc
	v_cmp_eq_u32_e32 vcc, 3, v0
	v_cndmask_b32_e32 v30, v30, v5, vcc
	v_cmp_eq_u32_e32 vcc, 4, v0
	v_cndmask_b32_e32 v30, v30, v6, vcc
	v_cmp_eq_u32_e32 vcc, 5, v0
	v_cndmask_b32_e32 v30, v30, v7, vcc
	v_cmp_eq_u32_e32 vcc, 6, v0
	v_cndmask_b32_e32 v30, v30, v8, vcc
	v_cmp_eq_u32_e32 vcc, 7, v0
	v_cndmask_b32_e32 v30, v30, v9, vcc
	v_cmp_eq_u32_e32 vcc, 8, v0
	v_cndmask_b32_e32 v30, v30, v10, vcc
	v_cmp_eq_u32_e32 vcc, 9, v0
	v_cndmask_b32_e32 v30, v30, v11, vcc
	v_cmp_eq_u32_e32 vcc, 10, v0
	v_cndmask_b32_e32 v30, v30, v12, vcc
	v_cmp_eq_u32_e32 vcc, 11, v0
	v_cndmask_b32_e32 v30, v30, v13, vcc
	v_cmp_eq_u32_e32 vcc, 12, v0
	v_cndmask_b32_e32 v30, v30, v14, vcc
	v_cmp_eq_u32_e32 vcc, 13, v0
	v_cndmask_b32_e32 v30, v30, v15, vcc
	v_cmp_eq_u32_e32 vcc, 14, v0
	v_cndmask_b32_e32 v30, v30, v16, vcc
	v_cmp_eq_u32_e32 vcc, 15, v0
	v_cndmask_b32_e32 v30, v30, v17, vcc
	v_cmp_eq_u32_e32 vcc, 16, v0
	v_cndmask_b32_e32 v30, v30, v18, vcc
	v_cmp_eq_u32_e32 vcc, 17, v0
	v_cndmask_b32_e32 v30, v30, v19, vcc
	v_cmp_eq_u32_e32 vcc, 18, v0
	v_cndmask_b32_e32 v30, v30, v20, vcc
	v_cmp_eq_u32_e32 vcc, 19, v0
	v_cndmask_b32_e32 v30, v30, v21, vcc
	v_cmp_eq_u32_e32 vcc, 20, v0
	v_cndmask_b32_e32 v30, v30, v22, vcc
	v_cmp_eq_u32_e32 vcc, 21, v0
	v_cndmask_b32_e32 v30, v30, v23, vcc
	v_cmp_eq_u32_e32 vcc, 22, v0
	v_cndmask_b32_e32 v30, v30, v24, vcc
	v_cmp_eq_u32_e32 vcc, 23, v0
	v_cndmask_b32_e32 v30, v30, v25, vcc
	v_cmp_eq_u32_e32 vcc, 24, v0
	ds_read_b32 v31, v122
	v_cndmask_b32_e32 v30, v30, v26, vcc
	v_cmp_eq_u32_e32 vcc, 25, v0
	v_cndmask_b32_e32 v30, v30, v27, vcc
	v_cmp_eq_u32_e32 vcc, 26, v0
	v_cndmask_b32_e32 v30, v30, v28, vcc
	v_cmp_eq_u32_e32 vcc, 27, v0
	v_cndmask_b32_e32 v30, v30, v29, vcc
	s_waitcnt lgkmcnt(0)
	v_mul_f32_e32 v32, v30, v31
	s_cbranch_execz .LBB91_544
	s_branch .LBB91_545
.LBB91_543:
                                        ; implicit-def: $vgpr32
.LBB91_544:
	ds_read_b32 v32, v122
.LBB91_545:
	v_cmp_ne_u32_e32 vcc, 12, v0
	s_and_saveexec_b64 s[6:7], vcc
	s_cbranch_execz .LBB91_549
; %bb.546:
	v_mov_b32_e32 v30, 0x74
	v_lshl_add_u32 v33, v0, 2, v30
	v_mov_b32_e32 v31, v1
	s_mov_b64 s[8:9], 0
	v_mov_b32_e32 v30, v0
.LBB91_547:                             ; =>This Inner Loop Header: Depth=1
	v_add_co_u32_e32 v30, vcc, 1, v30
	v_addc_co_u32_e32 v31, vcc, 0, v31, vcc
	v_cmp_eq_u32_e32 vcc, 1, v30
	v_cndmask_b32_e32 v35, v2, v3, vcc
	v_cmp_lt_u32_e32 vcc, 11, v30
	v_cmp_eq_u32_e64 s[2:3], 2, v30
	v_cndmask_b32_e64 v35, v35, v4, s[2:3]
	s_or_b64 s[8:9], vcc, s[8:9]
	v_cmp_eq_u32_e32 vcc, 3, v30
	v_cndmask_b32_e32 v35, v35, v5, vcc
	v_cmp_eq_u32_e32 vcc, 4, v30
	v_cndmask_b32_e32 v35, v35, v6, vcc
	;; [unrolled: 2-line block ×20, first 2 shown]
	v_cmp_eq_u32_e32 vcc, 23, v30
	ds_read_b32 v34, v33
	v_cndmask_b32_e32 v35, v35, v25, vcc
	v_cmp_eq_u32_e32 vcc, 24, v30
	v_cndmask_b32_e32 v35, v35, v26, vcc
	v_cmp_eq_u32_e32 vcc, 25, v30
	;; [unrolled: 2-line block ×4, first 2 shown]
	v_cndmask_b32_e32 v35, v35, v29, vcc
	v_add_u32_e32 v33, 4, v33
	s_waitcnt lgkmcnt(0)
	v_fmac_f32_e32 v32, v35, v34
	s_andn2_b64 exec, exec, s[8:9]
	s_cbranch_execnz .LBB91_547
; %bb.548:
	s_or_b64 exec, exec, s[8:9]
.LBB91_549:
	s_or_b64 exec, exec, s[6:7]
	v_mov_b32_e32 v15, 0
	ds_read_b32 v15, v15 offset:52
	s_waitcnt lgkmcnt(0)
	v_mul_f32_e32 v15, v32, v15
.LBB91_550:
	s_or_b64 exec, exec, s[4:5]
	v_cmp_gt_u32_e32 vcc, 14, v0
	ds_write_b32 v122, v16
	s_waitcnt lgkmcnt(0)
	; wave barrier
	s_and_saveexec_b64 s[4:5], vcc
	s_cbranch_execz .LBB91_560
; %bb.551:
	s_and_b64 vcc, exec, s[0:1]
	s_cbranch_vccnz .LBB91_553
; %bb.552:
	v_cmp_eq_u32_e32 vcc, 1, v0
	v_cndmask_b32_e32 v30, v2, v3, vcc
	v_cmp_eq_u32_e32 vcc, 2, v0
	v_cndmask_b32_e32 v30, v30, v4, vcc
	;; [unrolled: 2-line block ×23, first 2 shown]
	v_cmp_eq_u32_e32 vcc, 24, v0
	ds_read_b32 v31, v122
	v_cndmask_b32_e32 v30, v30, v26, vcc
	v_cmp_eq_u32_e32 vcc, 25, v0
	v_cndmask_b32_e32 v30, v30, v27, vcc
	v_cmp_eq_u32_e32 vcc, 26, v0
	;; [unrolled: 2-line block ×3, first 2 shown]
	v_cndmask_b32_e32 v30, v30, v29, vcc
	s_waitcnt lgkmcnt(0)
	v_mul_f32_e32 v32, v30, v31
	s_cbranch_execz .LBB91_554
	s_branch .LBB91_555
.LBB91_553:
                                        ; implicit-def: $vgpr32
.LBB91_554:
	ds_read_b32 v32, v122
.LBB91_555:
	v_cmp_ne_u32_e32 vcc, 13, v0
	s_and_saveexec_b64 s[6:7], vcc
	s_cbranch_execz .LBB91_559
; %bb.556:
	v_mov_b32_e32 v30, 0x74
	v_lshl_add_u32 v33, v0, 2, v30
	v_mov_b32_e32 v31, v1
	s_mov_b64 s[8:9], 0
	v_mov_b32_e32 v30, v0
.LBB91_557:                             ; =>This Inner Loop Header: Depth=1
	v_add_co_u32_e32 v30, vcc, 1, v30
	v_addc_co_u32_e32 v31, vcc, 0, v31, vcc
	v_cmp_eq_u32_e32 vcc, 1, v30
	v_cndmask_b32_e32 v35, v2, v3, vcc
	v_cmp_lt_u32_e32 vcc, 12, v30
	v_cmp_eq_u32_e64 s[2:3], 2, v30
	v_cndmask_b32_e64 v35, v35, v4, s[2:3]
	s_or_b64 s[8:9], vcc, s[8:9]
	v_cmp_eq_u32_e32 vcc, 3, v30
	v_cndmask_b32_e32 v35, v35, v5, vcc
	v_cmp_eq_u32_e32 vcc, 4, v30
	v_cndmask_b32_e32 v35, v35, v6, vcc
	;; [unrolled: 2-line block ×20, first 2 shown]
	v_cmp_eq_u32_e32 vcc, 23, v30
	ds_read_b32 v34, v33
	v_cndmask_b32_e32 v35, v35, v25, vcc
	v_cmp_eq_u32_e32 vcc, 24, v30
	v_cndmask_b32_e32 v35, v35, v26, vcc
	v_cmp_eq_u32_e32 vcc, 25, v30
	;; [unrolled: 2-line block ×4, first 2 shown]
	v_cndmask_b32_e32 v35, v35, v29, vcc
	v_add_u32_e32 v33, 4, v33
	s_waitcnt lgkmcnt(0)
	v_fmac_f32_e32 v32, v35, v34
	s_andn2_b64 exec, exec, s[8:9]
	s_cbranch_execnz .LBB91_557
; %bb.558:
	s_or_b64 exec, exec, s[8:9]
.LBB91_559:
	s_or_b64 exec, exec, s[6:7]
	v_mov_b32_e32 v16, 0
	ds_read_b32 v16, v16 offset:56
	s_waitcnt lgkmcnt(0)
	v_mul_f32_e32 v16, v32, v16
.LBB91_560:
	s_or_b64 exec, exec, s[4:5]
	v_cmp_gt_u32_e32 vcc, 15, v0
	ds_write_b32 v122, v17
	s_waitcnt lgkmcnt(0)
	; wave barrier
	s_and_saveexec_b64 s[4:5], vcc
	s_cbranch_execz .LBB91_570
; %bb.561:
	s_and_b64 vcc, exec, s[0:1]
	s_cbranch_vccnz .LBB91_563
; %bb.562:
	v_cmp_eq_u32_e32 vcc, 1, v0
	v_cndmask_b32_e32 v30, v2, v3, vcc
	v_cmp_eq_u32_e32 vcc, 2, v0
	v_cndmask_b32_e32 v30, v30, v4, vcc
	;; [unrolled: 2-line block ×23, first 2 shown]
	v_cmp_eq_u32_e32 vcc, 24, v0
	ds_read_b32 v31, v122
	v_cndmask_b32_e32 v30, v30, v26, vcc
	v_cmp_eq_u32_e32 vcc, 25, v0
	v_cndmask_b32_e32 v30, v30, v27, vcc
	v_cmp_eq_u32_e32 vcc, 26, v0
	;; [unrolled: 2-line block ×3, first 2 shown]
	v_cndmask_b32_e32 v30, v30, v29, vcc
	s_waitcnt lgkmcnt(0)
	v_mul_f32_e32 v32, v30, v31
	s_cbranch_execz .LBB91_564
	s_branch .LBB91_565
.LBB91_563:
                                        ; implicit-def: $vgpr32
.LBB91_564:
	ds_read_b32 v32, v122
.LBB91_565:
	v_cmp_ne_u32_e32 vcc, 14, v0
	s_and_saveexec_b64 s[6:7], vcc
	s_cbranch_execz .LBB91_569
; %bb.566:
	v_mov_b32_e32 v30, 0x74
	v_lshl_add_u32 v33, v0, 2, v30
	v_mov_b32_e32 v31, v1
	s_mov_b64 s[8:9], 0
	v_mov_b32_e32 v30, v0
.LBB91_567:                             ; =>This Inner Loop Header: Depth=1
	v_add_co_u32_e32 v30, vcc, 1, v30
	v_addc_co_u32_e32 v31, vcc, 0, v31, vcc
	v_cmp_eq_u32_e32 vcc, 1, v30
	v_cndmask_b32_e32 v35, v2, v3, vcc
	v_cmp_lt_u32_e32 vcc, 13, v30
	v_cmp_eq_u32_e64 s[2:3], 2, v30
	v_cndmask_b32_e64 v35, v35, v4, s[2:3]
	s_or_b64 s[8:9], vcc, s[8:9]
	v_cmp_eq_u32_e32 vcc, 3, v30
	v_cndmask_b32_e32 v35, v35, v5, vcc
	v_cmp_eq_u32_e32 vcc, 4, v30
	v_cndmask_b32_e32 v35, v35, v6, vcc
	;; [unrolled: 2-line block ×20, first 2 shown]
	v_cmp_eq_u32_e32 vcc, 23, v30
	ds_read_b32 v34, v33
	v_cndmask_b32_e32 v35, v35, v25, vcc
	v_cmp_eq_u32_e32 vcc, 24, v30
	v_cndmask_b32_e32 v35, v35, v26, vcc
	v_cmp_eq_u32_e32 vcc, 25, v30
	;; [unrolled: 2-line block ×4, first 2 shown]
	v_cndmask_b32_e32 v35, v35, v29, vcc
	v_add_u32_e32 v33, 4, v33
	s_waitcnt lgkmcnt(0)
	v_fmac_f32_e32 v32, v35, v34
	s_andn2_b64 exec, exec, s[8:9]
	s_cbranch_execnz .LBB91_567
; %bb.568:
	s_or_b64 exec, exec, s[8:9]
.LBB91_569:
	s_or_b64 exec, exec, s[6:7]
	v_mov_b32_e32 v17, 0
	ds_read_b32 v17, v17 offset:60
	s_waitcnt lgkmcnt(0)
	v_mul_f32_e32 v17, v32, v17
.LBB91_570:
	s_or_b64 exec, exec, s[4:5]
	v_cmp_gt_u32_e32 vcc, 16, v0
	ds_write_b32 v122, v18
	s_waitcnt lgkmcnt(0)
	; wave barrier
	s_and_saveexec_b64 s[4:5], vcc
	s_cbranch_execz .LBB91_580
; %bb.571:
	s_and_b64 vcc, exec, s[0:1]
	s_cbranch_vccnz .LBB91_573
; %bb.572:
	v_cmp_eq_u32_e32 vcc, 1, v0
	v_cndmask_b32_e32 v30, v2, v3, vcc
	v_cmp_eq_u32_e32 vcc, 2, v0
	v_cndmask_b32_e32 v30, v30, v4, vcc
	;; [unrolled: 2-line block ×23, first 2 shown]
	v_cmp_eq_u32_e32 vcc, 24, v0
	ds_read_b32 v31, v122
	v_cndmask_b32_e32 v30, v30, v26, vcc
	v_cmp_eq_u32_e32 vcc, 25, v0
	v_cndmask_b32_e32 v30, v30, v27, vcc
	v_cmp_eq_u32_e32 vcc, 26, v0
	;; [unrolled: 2-line block ×3, first 2 shown]
	v_cndmask_b32_e32 v30, v30, v29, vcc
	s_waitcnt lgkmcnt(0)
	v_mul_f32_e32 v32, v30, v31
	s_cbranch_execz .LBB91_574
	s_branch .LBB91_575
.LBB91_573:
                                        ; implicit-def: $vgpr32
.LBB91_574:
	ds_read_b32 v32, v122
.LBB91_575:
	v_cmp_ne_u32_e32 vcc, 15, v0
	s_and_saveexec_b64 s[6:7], vcc
	s_cbranch_execz .LBB91_579
; %bb.576:
	v_mov_b32_e32 v30, 0x74
	v_lshl_add_u32 v33, v0, 2, v30
	v_mov_b32_e32 v31, v1
	s_mov_b64 s[8:9], 0
	v_mov_b32_e32 v30, v0
.LBB91_577:                             ; =>This Inner Loop Header: Depth=1
	v_add_co_u32_e32 v30, vcc, 1, v30
	v_addc_co_u32_e32 v31, vcc, 0, v31, vcc
	v_cmp_eq_u32_e32 vcc, 1, v30
	v_cndmask_b32_e32 v35, v2, v3, vcc
	v_cmp_lt_u32_e32 vcc, 14, v30
	v_cmp_eq_u32_e64 s[2:3], 2, v30
	v_cndmask_b32_e64 v35, v35, v4, s[2:3]
	s_or_b64 s[8:9], vcc, s[8:9]
	v_cmp_eq_u32_e32 vcc, 3, v30
	v_cndmask_b32_e32 v35, v35, v5, vcc
	v_cmp_eq_u32_e32 vcc, 4, v30
	v_cndmask_b32_e32 v35, v35, v6, vcc
	v_cmp_eq_u32_e32 vcc, 5, v30
	v_cndmask_b32_e32 v35, v35, v7, vcc
	v_cmp_eq_u32_e32 vcc, 6, v30
	v_cndmask_b32_e32 v35, v35, v8, vcc
	v_cmp_eq_u32_e32 vcc, 7, v30
	v_cndmask_b32_e32 v35, v35, v9, vcc
	v_cmp_eq_u32_e32 vcc, 8, v30
	v_cndmask_b32_e32 v35, v35, v10, vcc
	v_cmp_eq_u32_e32 vcc, 9, v30
	v_cndmask_b32_e32 v35, v35, v11, vcc
	v_cmp_eq_u32_e32 vcc, 10, v30
	v_cndmask_b32_e32 v35, v35, v12, vcc
	v_cmp_eq_u32_e32 vcc, 11, v30
	v_cndmask_b32_e32 v35, v35, v13, vcc
	v_cmp_eq_u32_e32 vcc, 12, v30
	v_cndmask_b32_e32 v35, v35, v14, vcc
	v_cmp_eq_u32_e32 vcc, 13, v30
	v_cndmask_b32_e32 v35, v35, v15, vcc
	v_cmp_eq_u32_e32 vcc, 14, v30
	v_cndmask_b32_e32 v35, v35, v16, vcc
	v_cmp_eq_u32_e32 vcc, 15, v30
	v_cndmask_b32_e32 v35, v35, v17, vcc
	v_cmp_eq_u32_e32 vcc, 16, v30
	v_cndmask_b32_e32 v35, v35, v18, vcc
	v_cmp_eq_u32_e32 vcc, 17, v30
	v_cndmask_b32_e32 v35, v35, v19, vcc
	v_cmp_eq_u32_e32 vcc, 18, v30
	v_cndmask_b32_e32 v35, v35, v20, vcc
	v_cmp_eq_u32_e32 vcc, 19, v30
	v_cndmask_b32_e32 v35, v35, v21, vcc
	v_cmp_eq_u32_e32 vcc, 20, v30
	v_cndmask_b32_e32 v35, v35, v22, vcc
	v_cmp_eq_u32_e32 vcc, 21, v30
	v_cndmask_b32_e32 v35, v35, v23, vcc
	v_cmp_eq_u32_e32 vcc, 22, v30
	v_cndmask_b32_e32 v35, v35, v24, vcc
	v_cmp_eq_u32_e32 vcc, 23, v30
	ds_read_b32 v34, v33
	v_cndmask_b32_e32 v35, v35, v25, vcc
	v_cmp_eq_u32_e32 vcc, 24, v30
	v_cndmask_b32_e32 v35, v35, v26, vcc
	v_cmp_eq_u32_e32 vcc, 25, v30
	;; [unrolled: 2-line block ×4, first 2 shown]
	v_cndmask_b32_e32 v35, v35, v29, vcc
	v_add_u32_e32 v33, 4, v33
	s_waitcnt lgkmcnt(0)
	v_fmac_f32_e32 v32, v35, v34
	s_andn2_b64 exec, exec, s[8:9]
	s_cbranch_execnz .LBB91_577
; %bb.578:
	s_or_b64 exec, exec, s[8:9]
.LBB91_579:
	s_or_b64 exec, exec, s[6:7]
	v_mov_b32_e32 v18, 0
	ds_read_b32 v18, v18 offset:64
	s_waitcnt lgkmcnt(0)
	v_mul_f32_e32 v18, v32, v18
.LBB91_580:
	s_or_b64 exec, exec, s[4:5]
	v_cmp_gt_u32_e32 vcc, 17, v0
	ds_write_b32 v122, v19
	s_waitcnt lgkmcnt(0)
	; wave barrier
	s_and_saveexec_b64 s[4:5], vcc
	s_cbranch_execz .LBB91_590
; %bb.581:
	s_and_b64 vcc, exec, s[0:1]
	s_cbranch_vccnz .LBB91_583
; %bb.582:
	v_cmp_eq_u32_e32 vcc, 1, v0
	v_cndmask_b32_e32 v30, v2, v3, vcc
	v_cmp_eq_u32_e32 vcc, 2, v0
	v_cndmask_b32_e32 v30, v30, v4, vcc
	v_cmp_eq_u32_e32 vcc, 3, v0
	v_cndmask_b32_e32 v30, v30, v5, vcc
	v_cmp_eq_u32_e32 vcc, 4, v0
	v_cndmask_b32_e32 v30, v30, v6, vcc
	v_cmp_eq_u32_e32 vcc, 5, v0
	v_cndmask_b32_e32 v30, v30, v7, vcc
	v_cmp_eq_u32_e32 vcc, 6, v0
	v_cndmask_b32_e32 v30, v30, v8, vcc
	v_cmp_eq_u32_e32 vcc, 7, v0
	v_cndmask_b32_e32 v30, v30, v9, vcc
	v_cmp_eq_u32_e32 vcc, 8, v0
	v_cndmask_b32_e32 v30, v30, v10, vcc
	v_cmp_eq_u32_e32 vcc, 9, v0
	v_cndmask_b32_e32 v30, v30, v11, vcc
	v_cmp_eq_u32_e32 vcc, 10, v0
	v_cndmask_b32_e32 v30, v30, v12, vcc
	v_cmp_eq_u32_e32 vcc, 11, v0
	v_cndmask_b32_e32 v30, v30, v13, vcc
	v_cmp_eq_u32_e32 vcc, 12, v0
	v_cndmask_b32_e32 v30, v30, v14, vcc
	v_cmp_eq_u32_e32 vcc, 13, v0
	v_cndmask_b32_e32 v30, v30, v15, vcc
	v_cmp_eq_u32_e32 vcc, 14, v0
	v_cndmask_b32_e32 v30, v30, v16, vcc
	v_cmp_eq_u32_e32 vcc, 15, v0
	v_cndmask_b32_e32 v30, v30, v17, vcc
	v_cmp_eq_u32_e32 vcc, 16, v0
	v_cndmask_b32_e32 v30, v30, v18, vcc
	v_cmp_eq_u32_e32 vcc, 17, v0
	v_cndmask_b32_e32 v30, v30, v19, vcc
	v_cmp_eq_u32_e32 vcc, 18, v0
	v_cndmask_b32_e32 v30, v30, v20, vcc
	v_cmp_eq_u32_e32 vcc, 19, v0
	v_cndmask_b32_e32 v30, v30, v21, vcc
	v_cmp_eq_u32_e32 vcc, 20, v0
	v_cndmask_b32_e32 v30, v30, v22, vcc
	v_cmp_eq_u32_e32 vcc, 21, v0
	v_cndmask_b32_e32 v30, v30, v23, vcc
	v_cmp_eq_u32_e32 vcc, 22, v0
	v_cndmask_b32_e32 v30, v30, v24, vcc
	v_cmp_eq_u32_e32 vcc, 23, v0
	v_cndmask_b32_e32 v30, v30, v25, vcc
	v_cmp_eq_u32_e32 vcc, 24, v0
	ds_read_b32 v31, v122
	v_cndmask_b32_e32 v30, v30, v26, vcc
	v_cmp_eq_u32_e32 vcc, 25, v0
	v_cndmask_b32_e32 v30, v30, v27, vcc
	v_cmp_eq_u32_e32 vcc, 26, v0
	;; [unrolled: 2-line block ×3, first 2 shown]
	v_cndmask_b32_e32 v30, v30, v29, vcc
	s_waitcnt lgkmcnt(0)
	v_mul_f32_e32 v32, v30, v31
	s_cbranch_execz .LBB91_584
	s_branch .LBB91_585
.LBB91_583:
                                        ; implicit-def: $vgpr32
.LBB91_584:
	ds_read_b32 v32, v122
.LBB91_585:
	v_cmp_ne_u32_e32 vcc, 16, v0
	s_and_saveexec_b64 s[6:7], vcc
	s_cbranch_execz .LBB91_589
; %bb.586:
	v_mov_b32_e32 v30, 0x74
	v_lshl_add_u32 v33, v0, 2, v30
	v_mov_b32_e32 v31, v1
	s_mov_b64 s[8:9], 0
	v_mov_b32_e32 v30, v0
.LBB91_587:                             ; =>This Inner Loop Header: Depth=1
	v_add_co_u32_e32 v30, vcc, 1, v30
	v_addc_co_u32_e32 v31, vcc, 0, v31, vcc
	v_cmp_eq_u32_e32 vcc, 1, v30
	v_cndmask_b32_e32 v35, v2, v3, vcc
	v_cmp_lt_u32_e32 vcc, 15, v30
	v_cmp_eq_u32_e64 s[2:3], 2, v30
	v_cndmask_b32_e64 v35, v35, v4, s[2:3]
	s_or_b64 s[8:9], vcc, s[8:9]
	v_cmp_eq_u32_e32 vcc, 3, v30
	v_cndmask_b32_e32 v35, v35, v5, vcc
	v_cmp_eq_u32_e32 vcc, 4, v30
	v_cndmask_b32_e32 v35, v35, v6, vcc
	;; [unrolled: 2-line block ×20, first 2 shown]
	v_cmp_eq_u32_e32 vcc, 23, v30
	ds_read_b32 v34, v33
	v_cndmask_b32_e32 v35, v35, v25, vcc
	v_cmp_eq_u32_e32 vcc, 24, v30
	v_cndmask_b32_e32 v35, v35, v26, vcc
	v_cmp_eq_u32_e32 vcc, 25, v30
	v_cndmask_b32_e32 v35, v35, v27, vcc
	v_cmp_eq_u32_e32 vcc, 26, v30
	v_cndmask_b32_e32 v35, v35, v28, vcc
	v_cmp_eq_u32_e32 vcc, 27, v30
	v_cndmask_b32_e32 v35, v35, v29, vcc
	v_add_u32_e32 v33, 4, v33
	s_waitcnt lgkmcnt(0)
	v_fmac_f32_e32 v32, v35, v34
	s_andn2_b64 exec, exec, s[8:9]
	s_cbranch_execnz .LBB91_587
; %bb.588:
	s_or_b64 exec, exec, s[8:9]
.LBB91_589:
	s_or_b64 exec, exec, s[6:7]
	v_mov_b32_e32 v19, 0
	ds_read_b32 v19, v19 offset:68
	s_waitcnt lgkmcnt(0)
	v_mul_f32_e32 v19, v32, v19
.LBB91_590:
	s_or_b64 exec, exec, s[4:5]
	v_cmp_gt_u32_e32 vcc, 18, v0
	ds_write_b32 v122, v20
	s_waitcnt lgkmcnt(0)
	; wave barrier
	s_and_saveexec_b64 s[4:5], vcc
	s_cbranch_execz .LBB91_600
; %bb.591:
	s_and_b64 vcc, exec, s[0:1]
	s_cbranch_vccnz .LBB91_593
; %bb.592:
	v_cmp_eq_u32_e32 vcc, 1, v0
	v_cndmask_b32_e32 v30, v2, v3, vcc
	v_cmp_eq_u32_e32 vcc, 2, v0
	v_cndmask_b32_e32 v30, v30, v4, vcc
	;; [unrolled: 2-line block ×23, first 2 shown]
	v_cmp_eq_u32_e32 vcc, 24, v0
	ds_read_b32 v31, v122
	v_cndmask_b32_e32 v30, v30, v26, vcc
	v_cmp_eq_u32_e32 vcc, 25, v0
	v_cndmask_b32_e32 v30, v30, v27, vcc
	v_cmp_eq_u32_e32 vcc, 26, v0
	;; [unrolled: 2-line block ×3, first 2 shown]
	v_cndmask_b32_e32 v30, v30, v29, vcc
	s_waitcnt lgkmcnt(0)
	v_mul_f32_e32 v32, v30, v31
	s_cbranch_execz .LBB91_594
	s_branch .LBB91_595
.LBB91_593:
                                        ; implicit-def: $vgpr32
.LBB91_594:
	ds_read_b32 v32, v122
.LBB91_595:
	v_cmp_ne_u32_e32 vcc, 17, v0
	s_and_saveexec_b64 s[6:7], vcc
	s_cbranch_execz .LBB91_599
; %bb.596:
	v_mov_b32_e32 v30, 0x74
	v_lshl_add_u32 v33, v0, 2, v30
	v_mov_b32_e32 v31, v1
	s_mov_b64 s[8:9], 0
	v_mov_b32_e32 v30, v0
.LBB91_597:                             ; =>This Inner Loop Header: Depth=1
	v_add_co_u32_e32 v30, vcc, 1, v30
	v_addc_co_u32_e32 v31, vcc, 0, v31, vcc
	v_cmp_eq_u32_e32 vcc, 1, v30
	v_cndmask_b32_e32 v35, v2, v3, vcc
	v_cmp_lt_u32_e32 vcc, 16, v30
	v_cmp_eq_u32_e64 s[2:3], 2, v30
	v_cndmask_b32_e64 v35, v35, v4, s[2:3]
	s_or_b64 s[8:9], vcc, s[8:9]
	v_cmp_eq_u32_e32 vcc, 3, v30
	v_cndmask_b32_e32 v35, v35, v5, vcc
	v_cmp_eq_u32_e32 vcc, 4, v30
	v_cndmask_b32_e32 v35, v35, v6, vcc
	;; [unrolled: 2-line block ×20, first 2 shown]
	v_cmp_eq_u32_e32 vcc, 23, v30
	ds_read_b32 v34, v33
	v_cndmask_b32_e32 v35, v35, v25, vcc
	v_cmp_eq_u32_e32 vcc, 24, v30
	v_cndmask_b32_e32 v35, v35, v26, vcc
	v_cmp_eq_u32_e32 vcc, 25, v30
	;; [unrolled: 2-line block ×4, first 2 shown]
	v_cndmask_b32_e32 v35, v35, v29, vcc
	v_add_u32_e32 v33, 4, v33
	s_waitcnt lgkmcnt(0)
	v_fmac_f32_e32 v32, v35, v34
	s_andn2_b64 exec, exec, s[8:9]
	s_cbranch_execnz .LBB91_597
; %bb.598:
	s_or_b64 exec, exec, s[8:9]
.LBB91_599:
	s_or_b64 exec, exec, s[6:7]
	v_mov_b32_e32 v20, 0
	ds_read_b32 v20, v20 offset:72
	s_waitcnt lgkmcnt(0)
	v_mul_f32_e32 v20, v32, v20
.LBB91_600:
	s_or_b64 exec, exec, s[4:5]
	v_cmp_gt_u32_e32 vcc, 19, v0
	ds_write_b32 v122, v21
	s_waitcnt lgkmcnt(0)
	; wave barrier
	s_and_saveexec_b64 s[4:5], vcc
	s_cbranch_execz .LBB91_610
; %bb.601:
	s_and_b64 vcc, exec, s[0:1]
	s_cbranch_vccnz .LBB91_603
; %bb.602:
	v_cmp_eq_u32_e32 vcc, 1, v0
	v_cndmask_b32_e32 v30, v2, v3, vcc
	v_cmp_eq_u32_e32 vcc, 2, v0
	v_cndmask_b32_e32 v30, v30, v4, vcc
	v_cmp_eq_u32_e32 vcc, 3, v0
	v_cndmask_b32_e32 v30, v30, v5, vcc
	v_cmp_eq_u32_e32 vcc, 4, v0
	v_cndmask_b32_e32 v30, v30, v6, vcc
	v_cmp_eq_u32_e32 vcc, 5, v0
	v_cndmask_b32_e32 v30, v30, v7, vcc
	v_cmp_eq_u32_e32 vcc, 6, v0
	v_cndmask_b32_e32 v30, v30, v8, vcc
	v_cmp_eq_u32_e32 vcc, 7, v0
	v_cndmask_b32_e32 v30, v30, v9, vcc
	v_cmp_eq_u32_e32 vcc, 8, v0
	v_cndmask_b32_e32 v30, v30, v10, vcc
	v_cmp_eq_u32_e32 vcc, 9, v0
	v_cndmask_b32_e32 v30, v30, v11, vcc
	v_cmp_eq_u32_e32 vcc, 10, v0
	v_cndmask_b32_e32 v30, v30, v12, vcc
	v_cmp_eq_u32_e32 vcc, 11, v0
	v_cndmask_b32_e32 v30, v30, v13, vcc
	v_cmp_eq_u32_e32 vcc, 12, v0
	v_cndmask_b32_e32 v30, v30, v14, vcc
	v_cmp_eq_u32_e32 vcc, 13, v0
	v_cndmask_b32_e32 v30, v30, v15, vcc
	v_cmp_eq_u32_e32 vcc, 14, v0
	v_cndmask_b32_e32 v30, v30, v16, vcc
	v_cmp_eq_u32_e32 vcc, 15, v0
	v_cndmask_b32_e32 v30, v30, v17, vcc
	v_cmp_eq_u32_e32 vcc, 16, v0
	v_cndmask_b32_e32 v30, v30, v18, vcc
	v_cmp_eq_u32_e32 vcc, 17, v0
	v_cndmask_b32_e32 v30, v30, v19, vcc
	v_cmp_eq_u32_e32 vcc, 18, v0
	v_cndmask_b32_e32 v30, v30, v20, vcc
	v_cmp_eq_u32_e32 vcc, 19, v0
	v_cndmask_b32_e32 v30, v30, v21, vcc
	v_cmp_eq_u32_e32 vcc, 20, v0
	v_cndmask_b32_e32 v30, v30, v22, vcc
	v_cmp_eq_u32_e32 vcc, 21, v0
	v_cndmask_b32_e32 v30, v30, v23, vcc
	v_cmp_eq_u32_e32 vcc, 22, v0
	v_cndmask_b32_e32 v30, v30, v24, vcc
	v_cmp_eq_u32_e32 vcc, 23, v0
	v_cndmask_b32_e32 v30, v30, v25, vcc
	v_cmp_eq_u32_e32 vcc, 24, v0
	ds_read_b32 v31, v122
	v_cndmask_b32_e32 v30, v30, v26, vcc
	v_cmp_eq_u32_e32 vcc, 25, v0
	v_cndmask_b32_e32 v30, v30, v27, vcc
	v_cmp_eq_u32_e32 vcc, 26, v0
	;; [unrolled: 2-line block ×3, first 2 shown]
	v_cndmask_b32_e32 v30, v30, v29, vcc
	s_waitcnt lgkmcnt(0)
	v_mul_f32_e32 v32, v30, v31
	s_cbranch_execz .LBB91_604
	s_branch .LBB91_605
.LBB91_603:
                                        ; implicit-def: $vgpr32
.LBB91_604:
	ds_read_b32 v32, v122
.LBB91_605:
	v_cmp_ne_u32_e32 vcc, 18, v0
	s_and_saveexec_b64 s[6:7], vcc
	s_cbranch_execz .LBB91_609
; %bb.606:
	v_mov_b32_e32 v30, 0x74
	v_lshl_add_u32 v33, v0, 2, v30
	v_mov_b32_e32 v31, v1
	s_mov_b64 s[8:9], 0
	v_mov_b32_e32 v30, v0
.LBB91_607:                             ; =>This Inner Loop Header: Depth=1
	v_add_co_u32_e32 v30, vcc, 1, v30
	v_addc_co_u32_e32 v31, vcc, 0, v31, vcc
	v_cmp_eq_u32_e32 vcc, 1, v30
	v_cndmask_b32_e32 v35, v2, v3, vcc
	v_cmp_lt_u32_e32 vcc, 17, v30
	v_cmp_eq_u32_e64 s[2:3], 2, v30
	v_cndmask_b32_e64 v35, v35, v4, s[2:3]
	s_or_b64 s[8:9], vcc, s[8:9]
	v_cmp_eq_u32_e32 vcc, 3, v30
	v_cndmask_b32_e32 v35, v35, v5, vcc
	v_cmp_eq_u32_e32 vcc, 4, v30
	v_cndmask_b32_e32 v35, v35, v6, vcc
	;; [unrolled: 2-line block ×20, first 2 shown]
	v_cmp_eq_u32_e32 vcc, 23, v30
	ds_read_b32 v34, v33
	v_cndmask_b32_e32 v35, v35, v25, vcc
	v_cmp_eq_u32_e32 vcc, 24, v30
	v_cndmask_b32_e32 v35, v35, v26, vcc
	v_cmp_eq_u32_e32 vcc, 25, v30
	;; [unrolled: 2-line block ×4, first 2 shown]
	v_cndmask_b32_e32 v35, v35, v29, vcc
	v_add_u32_e32 v33, 4, v33
	s_waitcnt lgkmcnt(0)
	v_fmac_f32_e32 v32, v35, v34
	s_andn2_b64 exec, exec, s[8:9]
	s_cbranch_execnz .LBB91_607
; %bb.608:
	s_or_b64 exec, exec, s[8:9]
.LBB91_609:
	s_or_b64 exec, exec, s[6:7]
	v_mov_b32_e32 v21, 0
	ds_read_b32 v21, v21 offset:76
	s_waitcnt lgkmcnt(0)
	v_mul_f32_e32 v21, v32, v21
.LBB91_610:
	s_or_b64 exec, exec, s[4:5]
	v_cmp_gt_u32_e32 vcc, 20, v0
	ds_write_b32 v122, v22
	s_waitcnt lgkmcnt(0)
	; wave barrier
	s_and_saveexec_b64 s[4:5], vcc
	s_cbranch_execz .LBB91_620
; %bb.611:
	s_and_b64 vcc, exec, s[0:1]
	s_cbranch_vccnz .LBB91_613
; %bb.612:
	v_cmp_eq_u32_e32 vcc, 1, v0
	v_cndmask_b32_e32 v30, v2, v3, vcc
	v_cmp_eq_u32_e32 vcc, 2, v0
	v_cndmask_b32_e32 v30, v30, v4, vcc
	;; [unrolled: 2-line block ×23, first 2 shown]
	v_cmp_eq_u32_e32 vcc, 24, v0
	ds_read_b32 v31, v122
	v_cndmask_b32_e32 v30, v30, v26, vcc
	v_cmp_eq_u32_e32 vcc, 25, v0
	v_cndmask_b32_e32 v30, v30, v27, vcc
	v_cmp_eq_u32_e32 vcc, 26, v0
	;; [unrolled: 2-line block ×3, first 2 shown]
	v_cndmask_b32_e32 v30, v30, v29, vcc
	s_waitcnt lgkmcnt(0)
	v_mul_f32_e32 v32, v30, v31
	s_cbranch_execz .LBB91_614
	s_branch .LBB91_615
.LBB91_613:
                                        ; implicit-def: $vgpr32
.LBB91_614:
	ds_read_b32 v32, v122
.LBB91_615:
	v_cmp_ne_u32_e32 vcc, 19, v0
	s_and_saveexec_b64 s[6:7], vcc
	s_cbranch_execz .LBB91_619
; %bb.616:
	v_mov_b32_e32 v30, 0x74
	v_lshl_add_u32 v33, v0, 2, v30
	v_mov_b32_e32 v31, v1
	s_mov_b64 s[8:9], 0
	v_mov_b32_e32 v30, v0
.LBB91_617:                             ; =>This Inner Loop Header: Depth=1
	v_add_co_u32_e32 v30, vcc, 1, v30
	v_addc_co_u32_e32 v31, vcc, 0, v31, vcc
	v_cmp_eq_u32_e32 vcc, 1, v30
	v_cndmask_b32_e32 v35, v2, v3, vcc
	v_cmp_lt_u32_e32 vcc, 18, v30
	v_cmp_eq_u32_e64 s[2:3], 2, v30
	v_cndmask_b32_e64 v35, v35, v4, s[2:3]
	s_or_b64 s[8:9], vcc, s[8:9]
	v_cmp_eq_u32_e32 vcc, 3, v30
	v_cndmask_b32_e32 v35, v35, v5, vcc
	v_cmp_eq_u32_e32 vcc, 4, v30
	v_cndmask_b32_e32 v35, v35, v6, vcc
	;; [unrolled: 2-line block ×20, first 2 shown]
	v_cmp_eq_u32_e32 vcc, 23, v30
	ds_read_b32 v34, v33
	v_cndmask_b32_e32 v35, v35, v25, vcc
	v_cmp_eq_u32_e32 vcc, 24, v30
	v_cndmask_b32_e32 v35, v35, v26, vcc
	v_cmp_eq_u32_e32 vcc, 25, v30
	;; [unrolled: 2-line block ×4, first 2 shown]
	v_cndmask_b32_e32 v35, v35, v29, vcc
	v_add_u32_e32 v33, 4, v33
	s_waitcnt lgkmcnt(0)
	v_fmac_f32_e32 v32, v35, v34
	s_andn2_b64 exec, exec, s[8:9]
	s_cbranch_execnz .LBB91_617
; %bb.618:
	s_or_b64 exec, exec, s[8:9]
.LBB91_619:
	s_or_b64 exec, exec, s[6:7]
	v_mov_b32_e32 v22, 0
	ds_read_b32 v22, v22 offset:80
	s_waitcnt lgkmcnt(0)
	v_mul_f32_e32 v22, v32, v22
.LBB91_620:
	s_or_b64 exec, exec, s[4:5]
	v_cmp_gt_u32_e32 vcc, 21, v0
	ds_write_b32 v122, v23
	s_waitcnt lgkmcnt(0)
	; wave barrier
	s_and_saveexec_b64 s[4:5], vcc
	s_cbranch_execz .LBB91_630
; %bb.621:
	s_and_b64 vcc, exec, s[0:1]
	s_cbranch_vccnz .LBB91_623
; %bb.622:
	v_cmp_eq_u32_e32 vcc, 1, v0
	v_cndmask_b32_e32 v30, v2, v3, vcc
	v_cmp_eq_u32_e32 vcc, 2, v0
	v_cndmask_b32_e32 v30, v30, v4, vcc
	;; [unrolled: 2-line block ×23, first 2 shown]
	v_cmp_eq_u32_e32 vcc, 24, v0
	ds_read_b32 v31, v122
	v_cndmask_b32_e32 v30, v30, v26, vcc
	v_cmp_eq_u32_e32 vcc, 25, v0
	v_cndmask_b32_e32 v30, v30, v27, vcc
	v_cmp_eq_u32_e32 vcc, 26, v0
	;; [unrolled: 2-line block ×3, first 2 shown]
	v_cndmask_b32_e32 v30, v30, v29, vcc
	s_waitcnt lgkmcnt(0)
	v_mul_f32_e32 v32, v30, v31
	s_cbranch_execz .LBB91_624
	s_branch .LBB91_625
.LBB91_623:
                                        ; implicit-def: $vgpr32
.LBB91_624:
	ds_read_b32 v32, v122
.LBB91_625:
	v_cmp_ne_u32_e32 vcc, 20, v0
	s_and_saveexec_b64 s[6:7], vcc
	s_cbranch_execz .LBB91_629
; %bb.626:
	v_mov_b32_e32 v30, 0x74
	v_lshl_add_u32 v33, v0, 2, v30
	v_mov_b32_e32 v31, v1
	s_mov_b64 s[8:9], 0
	v_mov_b32_e32 v30, v0
.LBB91_627:                             ; =>This Inner Loop Header: Depth=1
	v_add_co_u32_e32 v30, vcc, 1, v30
	v_addc_co_u32_e32 v31, vcc, 0, v31, vcc
	v_cmp_eq_u32_e32 vcc, 1, v30
	v_cndmask_b32_e32 v35, v2, v3, vcc
	v_cmp_lt_u32_e32 vcc, 19, v30
	v_cmp_eq_u32_e64 s[2:3], 2, v30
	v_cndmask_b32_e64 v35, v35, v4, s[2:3]
	s_or_b64 s[8:9], vcc, s[8:9]
	v_cmp_eq_u32_e32 vcc, 3, v30
	v_cndmask_b32_e32 v35, v35, v5, vcc
	v_cmp_eq_u32_e32 vcc, 4, v30
	v_cndmask_b32_e32 v35, v35, v6, vcc
	;; [unrolled: 2-line block ×20, first 2 shown]
	v_cmp_eq_u32_e32 vcc, 23, v30
	ds_read_b32 v34, v33
	v_cndmask_b32_e32 v35, v35, v25, vcc
	v_cmp_eq_u32_e32 vcc, 24, v30
	v_cndmask_b32_e32 v35, v35, v26, vcc
	v_cmp_eq_u32_e32 vcc, 25, v30
	v_cndmask_b32_e32 v35, v35, v27, vcc
	v_cmp_eq_u32_e32 vcc, 26, v30
	v_cndmask_b32_e32 v35, v35, v28, vcc
	v_cmp_eq_u32_e32 vcc, 27, v30
	v_cndmask_b32_e32 v35, v35, v29, vcc
	v_add_u32_e32 v33, 4, v33
	s_waitcnt lgkmcnt(0)
	v_fmac_f32_e32 v32, v35, v34
	s_andn2_b64 exec, exec, s[8:9]
	s_cbranch_execnz .LBB91_627
; %bb.628:
	s_or_b64 exec, exec, s[8:9]
.LBB91_629:
	s_or_b64 exec, exec, s[6:7]
	v_mov_b32_e32 v23, 0
	ds_read_b32 v23, v23 offset:84
	s_waitcnt lgkmcnt(0)
	v_mul_f32_e32 v23, v32, v23
.LBB91_630:
	s_or_b64 exec, exec, s[4:5]
	v_cmp_gt_u32_e32 vcc, 22, v0
	ds_write_b32 v122, v24
	s_waitcnt lgkmcnt(0)
	; wave barrier
	s_and_saveexec_b64 s[4:5], vcc
	s_cbranch_execz .LBB91_640
; %bb.631:
	s_and_b64 vcc, exec, s[0:1]
	s_cbranch_vccnz .LBB91_633
; %bb.632:
	v_cmp_eq_u32_e32 vcc, 1, v0
	v_cndmask_b32_e32 v30, v2, v3, vcc
	v_cmp_eq_u32_e32 vcc, 2, v0
	v_cndmask_b32_e32 v30, v30, v4, vcc
	;; [unrolled: 2-line block ×23, first 2 shown]
	v_cmp_eq_u32_e32 vcc, 24, v0
	ds_read_b32 v31, v122
	v_cndmask_b32_e32 v30, v30, v26, vcc
	v_cmp_eq_u32_e32 vcc, 25, v0
	v_cndmask_b32_e32 v30, v30, v27, vcc
	v_cmp_eq_u32_e32 vcc, 26, v0
	v_cndmask_b32_e32 v30, v30, v28, vcc
	v_cmp_eq_u32_e32 vcc, 27, v0
	v_cndmask_b32_e32 v30, v30, v29, vcc
	s_waitcnt lgkmcnt(0)
	v_mul_f32_e32 v32, v30, v31
	s_cbranch_execz .LBB91_634
	s_branch .LBB91_635
.LBB91_633:
                                        ; implicit-def: $vgpr32
.LBB91_634:
	ds_read_b32 v32, v122
.LBB91_635:
	v_cmp_ne_u32_e32 vcc, 21, v0
	s_and_saveexec_b64 s[6:7], vcc
	s_cbranch_execz .LBB91_639
; %bb.636:
	v_mov_b32_e32 v30, 0x74
	v_lshl_add_u32 v33, v0, 2, v30
	v_mov_b32_e32 v31, v1
	s_mov_b64 s[8:9], 0
	v_mov_b32_e32 v30, v0
.LBB91_637:                             ; =>This Inner Loop Header: Depth=1
	v_add_co_u32_e32 v30, vcc, 1, v30
	v_addc_co_u32_e32 v31, vcc, 0, v31, vcc
	v_cmp_eq_u32_e32 vcc, 1, v30
	v_cndmask_b32_e32 v35, v2, v3, vcc
	v_cmp_lt_u32_e32 vcc, 20, v30
	v_cmp_eq_u32_e64 s[2:3], 2, v30
	v_cndmask_b32_e64 v35, v35, v4, s[2:3]
	s_or_b64 s[8:9], vcc, s[8:9]
	v_cmp_eq_u32_e32 vcc, 3, v30
	v_cndmask_b32_e32 v35, v35, v5, vcc
	v_cmp_eq_u32_e32 vcc, 4, v30
	v_cndmask_b32_e32 v35, v35, v6, vcc
	v_cmp_eq_u32_e32 vcc, 5, v30
	v_cndmask_b32_e32 v35, v35, v7, vcc
	v_cmp_eq_u32_e32 vcc, 6, v30
	v_cndmask_b32_e32 v35, v35, v8, vcc
	v_cmp_eq_u32_e32 vcc, 7, v30
	v_cndmask_b32_e32 v35, v35, v9, vcc
	v_cmp_eq_u32_e32 vcc, 8, v30
	v_cndmask_b32_e32 v35, v35, v10, vcc
	v_cmp_eq_u32_e32 vcc, 9, v30
	v_cndmask_b32_e32 v35, v35, v11, vcc
	v_cmp_eq_u32_e32 vcc, 10, v30
	v_cndmask_b32_e32 v35, v35, v12, vcc
	v_cmp_eq_u32_e32 vcc, 11, v30
	v_cndmask_b32_e32 v35, v35, v13, vcc
	v_cmp_eq_u32_e32 vcc, 12, v30
	v_cndmask_b32_e32 v35, v35, v14, vcc
	v_cmp_eq_u32_e32 vcc, 13, v30
	v_cndmask_b32_e32 v35, v35, v15, vcc
	v_cmp_eq_u32_e32 vcc, 14, v30
	v_cndmask_b32_e32 v35, v35, v16, vcc
	v_cmp_eq_u32_e32 vcc, 15, v30
	v_cndmask_b32_e32 v35, v35, v17, vcc
	v_cmp_eq_u32_e32 vcc, 16, v30
	v_cndmask_b32_e32 v35, v35, v18, vcc
	v_cmp_eq_u32_e32 vcc, 17, v30
	v_cndmask_b32_e32 v35, v35, v19, vcc
	v_cmp_eq_u32_e32 vcc, 18, v30
	v_cndmask_b32_e32 v35, v35, v20, vcc
	v_cmp_eq_u32_e32 vcc, 19, v30
	v_cndmask_b32_e32 v35, v35, v21, vcc
	v_cmp_eq_u32_e32 vcc, 20, v30
	v_cndmask_b32_e32 v35, v35, v22, vcc
	v_cmp_eq_u32_e32 vcc, 21, v30
	v_cndmask_b32_e32 v35, v35, v23, vcc
	v_cmp_eq_u32_e32 vcc, 22, v30
	v_cndmask_b32_e32 v35, v35, v24, vcc
	v_cmp_eq_u32_e32 vcc, 23, v30
	ds_read_b32 v34, v33
	v_cndmask_b32_e32 v35, v35, v25, vcc
	v_cmp_eq_u32_e32 vcc, 24, v30
	v_cndmask_b32_e32 v35, v35, v26, vcc
	v_cmp_eq_u32_e32 vcc, 25, v30
	;; [unrolled: 2-line block ×4, first 2 shown]
	v_cndmask_b32_e32 v35, v35, v29, vcc
	v_add_u32_e32 v33, 4, v33
	s_waitcnt lgkmcnt(0)
	v_fmac_f32_e32 v32, v35, v34
	s_andn2_b64 exec, exec, s[8:9]
	s_cbranch_execnz .LBB91_637
; %bb.638:
	s_or_b64 exec, exec, s[8:9]
.LBB91_639:
	s_or_b64 exec, exec, s[6:7]
	v_mov_b32_e32 v24, 0
	ds_read_b32 v24, v24 offset:88
	s_waitcnt lgkmcnt(0)
	v_mul_f32_e32 v24, v32, v24
.LBB91_640:
	s_or_b64 exec, exec, s[4:5]
	v_cmp_gt_u32_e32 vcc, 23, v0
	ds_write_b32 v122, v25
	s_waitcnt lgkmcnt(0)
	; wave barrier
	s_and_saveexec_b64 s[4:5], vcc
	s_cbranch_execz .LBB91_650
; %bb.641:
	s_and_b64 vcc, exec, s[0:1]
	s_cbranch_vccnz .LBB91_643
; %bb.642:
	v_cmp_eq_u32_e32 vcc, 1, v0
	v_cndmask_b32_e32 v30, v2, v3, vcc
	v_cmp_eq_u32_e32 vcc, 2, v0
	v_cndmask_b32_e32 v30, v30, v4, vcc
	;; [unrolled: 2-line block ×23, first 2 shown]
	v_cmp_eq_u32_e32 vcc, 24, v0
	ds_read_b32 v31, v122
	v_cndmask_b32_e32 v30, v30, v26, vcc
	v_cmp_eq_u32_e32 vcc, 25, v0
	v_cndmask_b32_e32 v30, v30, v27, vcc
	v_cmp_eq_u32_e32 vcc, 26, v0
	;; [unrolled: 2-line block ×3, first 2 shown]
	v_cndmask_b32_e32 v30, v30, v29, vcc
	s_waitcnt lgkmcnt(0)
	v_mul_f32_e32 v32, v30, v31
	s_cbranch_execz .LBB91_644
	s_branch .LBB91_645
.LBB91_643:
                                        ; implicit-def: $vgpr32
.LBB91_644:
	ds_read_b32 v32, v122
.LBB91_645:
	v_cmp_ne_u32_e32 vcc, 22, v0
	s_and_saveexec_b64 s[6:7], vcc
	s_cbranch_execz .LBB91_649
; %bb.646:
	v_mov_b32_e32 v30, 0x74
	v_lshl_add_u32 v33, v0, 2, v30
	v_mov_b32_e32 v31, v1
	s_mov_b64 s[8:9], 0
	v_mov_b32_e32 v30, v0
.LBB91_647:                             ; =>This Inner Loop Header: Depth=1
	v_add_co_u32_e32 v30, vcc, 1, v30
	v_addc_co_u32_e32 v31, vcc, 0, v31, vcc
	v_cmp_eq_u32_e32 vcc, 1, v30
	v_cndmask_b32_e32 v35, v2, v3, vcc
	v_cmp_lt_u32_e32 vcc, 21, v30
	v_cmp_eq_u32_e64 s[2:3], 2, v30
	v_cndmask_b32_e64 v35, v35, v4, s[2:3]
	s_or_b64 s[8:9], vcc, s[8:9]
	v_cmp_eq_u32_e32 vcc, 3, v30
	v_cndmask_b32_e32 v35, v35, v5, vcc
	v_cmp_eq_u32_e32 vcc, 4, v30
	v_cndmask_b32_e32 v35, v35, v6, vcc
	;; [unrolled: 2-line block ×20, first 2 shown]
	v_cmp_eq_u32_e32 vcc, 23, v30
	ds_read_b32 v34, v33
	v_cndmask_b32_e32 v35, v35, v25, vcc
	v_cmp_eq_u32_e32 vcc, 24, v30
	v_cndmask_b32_e32 v35, v35, v26, vcc
	v_cmp_eq_u32_e32 vcc, 25, v30
	;; [unrolled: 2-line block ×4, first 2 shown]
	v_cndmask_b32_e32 v35, v35, v29, vcc
	v_add_u32_e32 v33, 4, v33
	s_waitcnt lgkmcnt(0)
	v_fmac_f32_e32 v32, v35, v34
	s_andn2_b64 exec, exec, s[8:9]
	s_cbranch_execnz .LBB91_647
; %bb.648:
	s_or_b64 exec, exec, s[8:9]
.LBB91_649:
	s_or_b64 exec, exec, s[6:7]
	v_mov_b32_e32 v25, 0
	ds_read_b32 v25, v25 offset:92
	s_waitcnt lgkmcnt(0)
	v_mul_f32_e32 v25, v32, v25
.LBB91_650:
	s_or_b64 exec, exec, s[4:5]
	v_cmp_gt_u32_e32 vcc, 24, v0
	ds_write_b32 v122, v26
	s_waitcnt lgkmcnt(0)
	; wave barrier
	s_and_saveexec_b64 s[4:5], vcc
	s_cbranch_execz .LBB91_660
; %bb.651:
	s_and_b64 vcc, exec, s[0:1]
	s_cbranch_vccnz .LBB91_653
; %bb.652:
	v_cmp_eq_u32_e32 vcc, 1, v0
	v_cndmask_b32_e32 v30, v2, v3, vcc
	v_cmp_eq_u32_e32 vcc, 2, v0
	v_cndmask_b32_e32 v30, v30, v4, vcc
	;; [unrolled: 2-line block ×23, first 2 shown]
	v_cmp_eq_u32_e32 vcc, 24, v0
	ds_read_b32 v31, v122
	v_cndmask_b32_e32 v30, v30, v26, vcc
	v_cmp_eq_u32_e32 vcc, 25, v0
	v_cndmask_b32_e32 v30, v30, v27, vcc
	v_cmp_eq_u32_e32 vcc, 26, v0
	;; [unrolled: 2-line block ×3, first 2 shown]
	v_cndmask_b32_e32 v30, v30, v29, vcc
	s_waitcnt lgkmcnt(0)
	v_mul_f32_e32 v32, v30, v31
	s_cbranch_execz .LBB91_654
	s_branch .LBB91_655
.LBB91_653:
                                        ; implicit-def: $vgpr32
.LBB91_654:
	ds_read_b32 v32, v122
.LBB91_655:
	v_cmp_ne_u32_e32 vcc, 23, v0
	s_and_saveexec_b64 s[6:7], vcc
	s_cbranch_execz .LBB91_659
; %bb.656:
	v_mov_b32_e32 v30, 0x74
	v_lshl_add_u32 v33, v0, 2, v30
	v_mov_b32_e32 v31, v1
	s_mov_b64 s[8:9], 0
	v_mov_b32_e32 v30, v0
.LBB91_657:                             ; =>This Inner Loop Header: Depth=1
	v_add_co_u32_e32 v30, vcc, 1, v30
	v_addc_co_u32_e32 v31, vcc, 0, v31, vcc
	v_cmp_eq_u32_e32 vcc, 1, v30
	v_cndmask_b32_e32 v35, v2, v3, vcc
	v_cmp_lt_u32_e32 vcc, 22, v30
	v_cmp_eq_u32_e64 s[2:3], 2, v30
	v_cndmask_b32_e64 v35, v35, v4, s[2:3]
	s_or_b64 s[8:9], vcc, s[8:9]
	v_cmp_eq_u32_e32 vcc, 3, v30
	v_cndmask_b32_e32 v35, v35, v5, vcc
	v_cmp_eq_u32_e32 vcc, 4, v30
	v_cndmask_b32_e32 v35, v35, v6, vcc
	;; [unrolled: 2-line block ×20, first 2 shown]
	v_cmp_eq_u32_e32 vcc, 23, v30
	ds_read_b32 v34, v33
	v_cndmask_b32_e32 v35, v35, v25, vcc
	v_cmp_eq_u32_e32 vcc, 24, v30
	v_cndmask_b32_e32 v35, v35, v26, vcc
	v_cmp_eq_u32_e32 vcc, 25, v30
	;; [unrolled: 2-line block ×4, first 2 shown]
	v_cndmask_b32_e32 v35, v35, v29, vcc
	v_add_u32_e32 v33, 4, v33
	s_waitcnt lgkmcnt(0)
	v_fmac_f32_e32 v32, v35, v34
	s_andn2_b64 exec, exec, s[8:9]
	s_cbranch_execnz .LBB91_657
; %bb.658:
	s_or_b64 exec, exec, s[8:9]
.LBB91_659:
	s_or_b64 exec, exec, s[6:7]
	v_mov_b32_e32 v26, 0
	ds_read_b32 v26, v26 offset:96
	s_waitcnt lgkmcnt(0)
	v_mul_f32_e32 v26, v32, v26
.LBB91_660:
	s_or_b64 exec, exec, s[4:5]
	v_cmp_gt_u32_e32 vcc, 25, v0
	ds_write_b32 v122, v27
	s_waitcnt lgkmcnt(0)
	; wave barrier
	s_and_saveexec_b64 s[4:5], vcc
	s_cbranch_execz .LBB91_670
; %bb.661:
	s_and_b64 vcc, exec, s[0:1]
	s_cbranch_vccnz .LBB91_663
; %bb.662:
	v_cmp_eq_u32_e32 vcc, 1, v0
	v_cndmask_b32_e32 v30, v2, v3, vcc
	v_cmp_eq_u32_e32 vcc, 2, v0
	v_cndmask_b32_e32 v30, v30, v4, vcc
	;; [unrolled: 2-line block ×23, first 2 shown]
	v_cmp_eq_u32_e32 vcc, 24, v0
	ds_read_b32 v31, v122
	v_cndmask_b32_e32 v30, v30, v26, vcc
	v_cmp_eq_u32_e32 vcc, 25, v0
	v_cndmask_b32_e32 v30, v30, v27, vcc
	v_cmp_eq_u32_e32 vcc, 26, v0
	;; [unrolled: 2-line block ×3, first 2 shown]
	v_cndmask_b32_e32 v30, v30, v29, vcc
	s_waitcnt lgkmcnt(0)
	v_mul_f32_e32 v32, v30, v31
	s_cbranch_execz .LBB91_664
	s_branch .LBB91_665
.LBB91_663:
                                        ; implicit-def: $vgpr32
.LBB91_664:
	ds_read_b32 v32, v122
.LBB91_665:
	v_cmp_ne_u32_e32 vcc, 24, v0
	s_and_saveexec_b64 s[6:7], vcc
	s_cbranch_execz .LBB91_669
; %bb.666:
	v_mov_b32_e32 v30, 0x74
	v_lshl_add_u32 v33, v0, 2, v30
	v_mov_b32_e32 v31, v1
	s_mov_b64 s[8:9], 0
	v_mov_b32_e32 v30, v0
.LBB91_667:                             ; =>This Inner Loop Header: Depth=1
	v_add_co_u32_e32 v30, vcc, 1, v30
	v_addc_co_u32_e32 v31, vcc, 0, v31, vcc
	v_cmp_eq_u32_e32 vcc, 1, v30
	v_cndmask_b32_e32 v35, v2, v3, vcc
	v_cmp_lt_u32_e32 vcc, 23, v30
	v_cmp_eq_u32_e64 s[2:3], 2, v30
	v_cndmask_b32_e64 v35, v35, v4, s[2:3]
	s_or_b64 s[8:9], vcc, s[8:9]
	v_cmp_eq_u32_e32 vcc, 3, v30
	v_cndmask_b32_e32 v35, v35, v5, vcc
	v_cmp_eq_u32_e32 vcc, 4, v30
	v_cndmask_b32_e32 v35, v35, v6, vcc
	;; [unrolled: 2-line block ×20, first 2 shown]
	v_cmp_eq_u32_e32 vcc, 23, v30
	ds_read_b32 v34, v33
	v_cndmask_b32_e32 v35, v35, v25, vcc
	v_cmp_eq_u32_e32 vcc, 24, v30
	v_cndmask_b32_e32 v35, v35, v26, vcc
	v_cmp_eq_u32_e32 vcc, 25, v30
	;; [unrolled: 2-line block ×4, first 2 shown]
	v_cndmask_b32_e32 v35, v35, v29, vcc
	v_add_u32_e32 v33, 4, v33
	s_waitcnt lgkmcnt(0)
	v_fmac_f32_e32 v32, v35, v34
	s_andn2_b64 exec, exec, s[8:9]
	s_cbranch_execnz .LBB91_667
; %bb.668:
	s_or_b64 exec, exec, s[8:9]
.LBB91_669:
	s_or_b64 exec, exec, s[6:7]
	v_mov_b32_e32 v27, 0
	ds_read_b32 v27, v27 offset:100
	s_waitcnt lgkmcnt(0)
	v_mul_f32_e32 v27, v32, v27
.LBB91_670:
	s_or_b64 exec, exec, s[4:5]
	v_cmp_gt_u32_e64 s[2:3], 26, v0
	ds_write_b32 v122, v28
	s_waitcnt lgkmcnt(0)
	; wave barrier
	s_and_saveexec_b64 s[6:7], s[2:3]
	s_cbranch_execz .LBB91_680
; %bb.671:
	s_and_b64 vcc, exec, s[0:1]
	s_cbranch_vccnz .LBB91_673
; %bb.672:
	v_cmp_eq_u32_e32 vcc, 1, v0
	v_cndmask_b32_e32 v30, v2, v3, vcc
	v_cmp_eq_u32_e32 vcc, 2, v0
	v_cndmask_b32_e32 v30, v30, v4, vcc
	;; [unrolled: 2-line block ×23, first 2 shown]
	v_cmp_eq_u32_e32 vcc, 24, v0
	ds_read_b32 v31, v122
	v_cndmask_b32_e32 v30, v30, v26, vcc
	v_cmp_eq_u32_e32 vcc, 25, v0
	v_cndmask_b32_e32 v30, v30, v27, vcc
	v_cmp_eq_u32_e32 vcc, 26, v0
	;; [unrolled: 2-line block ×3, first 2 shown]
	v_cndmask_b32_e32 v30, v30, v29, vcc
	s_waitcnt lgkmcnt(0)
	v_mul_f32_e32 v32, v30, v31
	s_cbranch_execz .LBB91_674
	s_branch .LBB91_675
.LBB91_673:
                                        ; implicit-def: $vgpr32
.LBB91_674:
	ds_read_b32 v32, v122
.LBB91_675:
	v_cmp_ne_u32_e32 vcc, 25, v0
	s_and_saveexec_b64 s[8:9], vcc
	s_cbranch_execz .LBB91_679
; %bb.676:
	v_mov_b32_e32 v30, 0x74
	v_lshl_add_u32 v33, v0, 2, v30
	v_mov_b32_e32 v31, v1
	s_mov_b64 s[10:11], 0
	v_mov_b32_e32 v30, v0
.LBB91_677:                             ; =>This Inner Loop Header: Depth=1
	v_add_co_u32_e32 v30, vcc, 1, v30
	v_addc_co_u32_e32 v31, vcc, 0, v31, vcc
	v_cmp_eq_u32_e32 vcc, 1, v30
	v_cndmask_b32_e32 v35, v2, v3, vcc
	v_cmp_lt_u32_e32 vcc, 24, v30
	v_cmp_eq_u32_e64 s[4:5], 2, v30
	v_cndmask_b32_e64 v35, v35, v4, s[4:5]
	s_or_b64 s[10:11], vcc, s[10:11]
	v_cmp_eq_u32_e32 vcc, 3, v30
	v_cndmask_b32_e32 v35, v35, v5, vcc
	v_cmp_eq_u32_e32 vcc, 4, v30
	v_cndmask_b32_e32 v35, v35, v6, vcc
	;; [unrolled: 2-line block ×20, first 2 shown]
	v_cmp_eq_u32_e32 vcc, 23, v30
	ds_read_b32 v34, v33
	v_cndmask_b32_e32 v35, v35, v25, vcc
	v_cmp_eq_u32_e32 vcc, 24, v30
	v_cndmask_b32_e32 v35, v35, v26, vcc
	v_cmp_eq_u32_e32 vcc, 25, v30
	;; [unrolled: 2-line block ×4, first 2 shown]
	v_cndmask_b32_e32 v35, v35, v29, vcc
	v_add_u32_e32 v33, 4, v33
	s_waitcnt lgkmcnt(0)
	v_fmac_f32_e32 v32, v35, v34
	s_andn2_b64 exec, exec, s[10:11]
	s_cbranch_execnz .LBB91_677
; %bb.678:
	s_or_b64 exec, exec, s[10:11]
.LBB91_679:
	s_or_b64 exec, exec, s[8:9]
	v_mov_b32_e32 v28, 0
	ds_read_b32 v28, v28 offset:104
	s_waitcnt lgkmcnt(0)
	v_mul_f32_e32 v28, v32, v28
.LBB91_680:
	s_or_b64 exec, exec, s[6:7]
	v_cmp_ne_u32_e32 vcc, 27, v0
	ds_write_b32 v122, v29
	s_waitcnt lgkmcnt(0)
	; wave barrier
	s_and_saveexec_b64 s[4:5], vcc
	s_cbranch_execz .LBB91_690
; %bb.681:
	s_and_b64 vcc, exec, s[0:1]
	s_cbranch_vccnz .LBB91_683
; %bb.682:
	v_cmp_eq_u32_e32 vcc, 1, v0
	v_cndmask_b32_e32 v30, v2, v3, vcc
	v_cmp_eq_u32_e32 vcc, 2, v0
	v_cndmask_b32_e32 v30, v30, v4, vcc
	;; [unrolled: 2-line block ×23, first 2 shown]
	v_cmp_eq_u32_e32 vcc, 24, v0
	ds_read_b32 v31, v122
	v_cndmask_b32_e32 v30, v30, v26, vcc
	v_cmp_eq_u32_e32 vcc, 25, v0
	v_cndmask_b32_e32 v30, v30, v27, vcc
	v_cmp_eq_u32_e32 vcc, 26, v0
	;; [unrolled: 2-line block ×3, first 2 shown]
	v_cndmask_b32_e32 v30, v30, v29, vcc
	s_waitcnt lgkmcnt(0)
	v_mul_f32_e32 v30, v30, v31
	s_cbranch_execz .LBB91_684
	s_branch .LBB91_685
.LBB91_683:
                                        ; implicit-def: $vgpr30
.LBB91_684:
	ds_read_b32 v30, v122
.LBB91_685:
	s_and_saveexec_b64 s[6:7], s[2:3]
	s_cbranch_execz .LBB91_689
; %bb.686:
	v_mov_b32_e32 v31, 0x74
	v_lshl_add_u32 v31, v0, 2, v31
	s_mov_b64 s[2:3], 0
.LBB91_687:                             ; =>This Inner Loop Header: Depth=1
	v_add_co_u32_e32 v0, vcc, 1, v0
	v_addc_co_u32_e32 v1, vcc, 0, v1, vcc
	v_cmp_eq_u32_e32 vcc, 1, v0
	v_cndmask_b32_e32 v33, v2, v3, vcc
	v_cmp_lt_u32_e32 vcc, 25, v0
	v_cmp_eq_u32_e64 s[0:1], 2, v0
	v_cndmask_b32_e64 v33, v33, v4, s[0:1]
	s_or_b64 s[2:3], vcc, s[2:3]
	v_cmp_eq_u32_e32 vcc, 3, v0
	v_cndmask_b32_e32 v33, v33, v5, vcc
	v_cmp_eq_u32_e32 vcc, 4, v0
	v_cndmask_b32_e32 v33, v33, v6, vcc
	;; [unrolled: 2-line block ×20, first 2 shown]
	v_cmp_eq_u32_e32 vcc, 23, v0
	ds_read_b32 v32, v31
	v_cndmask_b32_e32 v33, v33, v25, vcc
	v_cmp_eq_u32_e32 vcc, 24, v0
	v_cndmask_b32_e32 v33, v33, v26, vcc
	v_cmp_eq_u32_e32 vcc, 25, v0
	;; [unrolled: 2-line block ×4, first 2 shown]
	v_cndmask_b32_e32 v33, v33, v29, vcc
	v_add_u32_e32 v31, 4, v31
	s_waitcnt lgkmcnt(0)
	v_fmac_f32_e32 v30, v33, v32
	s_andn2_b64 exec, exec, s[2:3]
	s_cbranch_execnz .LBB91_687
; %bb.688:
	s_or_b64 exec, exec, s[2:3]
.LBB91_689:
	s_or_b64 exec, exec, s[6:7]
	v_mov_b32_e32 v0, 0
	ds_read_b32 v0, v0 offset:108
	s_waitcnt lgkmcnt(0)
	v_mul_f32_e32 v29, v30, v0
.LBB91_690:
	s_or_b64 exec, exec, s[4:5]
	v_mov_b32_e32 v65, v33
	v_mov_b32_e32 v64, v32
	;; [unrolled: 1-line block ×32, first 2 shown]
.LBB91_691:
	flat_store_dword v[118:119], v34
	flat_store_dword v[120:121], v35
	;; [unrolled: 1-line block ×28, first 2 shown]
.LBB91_692:
	s_endpgm
	.section	.rodata,"a",@progbits
	.p2align	6, 0x0
	.amdhsa_kernel _ZN9rocsolver6v33100L18trti2_kernel_smallILi28EfPKPfEEv13rocblas_fill_17rocblas_diagonal_T1_iil
		.amdhsa_group_segment_fixed_size 224
		.amdhsa_private_segment_fixed_size 0
		.amdhsa_kernarg_size 32
		.amdhsa_user_sgpr_count 6
		.amdhsa_user_sgpr_private_segment_buffer 1
		.amdhsa_user_sgpr_dispatch_ptr 0
		.amdhsa_user_sgpr_queue_ptr 0
		.amdhsa_user_sgpr_kernarg_segment_ptr 1
		.amdhsa_user_sgpr_dispatch_id 0
		.amdhsa_user_sgpr_flat_scratch_init 0
		.amdhsa_user_sgpr_private_segment_size 0
		.amdhsa_uses_dynamic_stack 0
		.amdhsa_system_sgpr_private_segment_wavefront_offset 0
		.amdhsa_system_sgpr_workgroup_id_x 1
		.amdhsa_system_sgpr_workgroup_id_y 0
		.amdhsa_system_sgpr_workgroup_id_z 0
		.amdhsa_system_sgpr_workgroup_info 0
		.amdhsa_system_vgpr_workitem_id 0
		.amdhsa_next_free_vgpr 140
		.amdhsa_next_free_sgpr 64
		.amdhsa_reserve_vcc 1
		.amdhsa_reserve_flat_scratch 0
		.amdhsa_float_round_mode_32 0
		.amdhsa_float_round_mode_16_64 0
		.amdhsa_float_denorm_mode_32 3
		.amdhsa_float_denorm_mode_16_64 3
		.amdhsa_dx10_clamp 1
		.amdhsa_ieee_mode 1
		.amdhsa_fp16_overflow 0
		.amdhsa_exception_fp_ieee_invalid_op 0
		.amdhsa_exception_fp_denorm_src 0
		.amdhsa_exception_fp_ieee_div_zero 0
		.amdhsa_exception_fp_ieee_overflow 0
		.amdhsa_exception_fp_ieee_underflow 0
		.amdhsa_exception_fp_ieee_inexact 0
		.amdhsa_exception_int_div_zero 0
	.end_amdhsa_kernel
	.section	.text._ZN9rocsolver6v33100L18trti2_kernel_smallILi28EfPKPfEEv13rocblas_fill_17rocblas_diagonal_T1_iil,"axG",@progbits,_ZN9rocsolver6v33100L18trti2_kernel_smallILi28EfPKPfEEv13rocblas_fill_17rocblas_diagonal_T1_iil,comdat
.Lfunc_end91:
	.size	_ZN9rocsolver6v33100L18trti2_kernel_smallILi28EfPKPfEEv13rocblas_fill_17rocblas_diagonal_T1_iil, .Lfunc_end91-_ZN9rocsolver6v33100L18trti2_kernel_smallILi28EfPKPfEEv13rocblas_fill_17rocblas_diagonal_T1_iil
                                        ; -- End function
	.set _ZN9rocsolver6v33100L18trti2_kernel_smallILi28EfPKPfEEv13rocblas_fill_17rocblas_diagonal_T1_iil.num_vgpr, 140
	.set _ZN9rocsolver6v33100L18trti2_kernel_smallILi28EfPKPfEEv13rocblas_fill_17rocblas_diagonal_T1_iil.num_agpr, 0
	.set _ZN9rocsolver6v33100L18trti2_kernel_smallILi28EfPKPfEEv13rocblas_fill_17rocblas_diagonal_T1_iil.numbered_sgpr, 64
	.set _ZN9rocsolver6v33100L18trti2_kernel_smallILi28EfPKPfEEv13rocblas_fill_17rocblas_diagonal_T1_iil.num_named_barrier, 0
	.set _ZN9rocsolver6v33100L18trti2_kernel_smallILi28EfPKPfEEv13rocblas_fill_17rocblas_diagonal_T1_iil.private_seg_size, 0
	.set _ZN9rocsolver6v33100L18trti2_kernel_smallILi28EfPKPfEEv13rocblas_fill_17rocblas_diagonal_T1_iil.uses_vcc, 1
	.set _ZN9rocsolver6v33100L18trti2_kernel_smallILi28EfPKPfEEv13rocblas_fill_17rocblas_diagonal_T1_iil.uses_flat_scratch, 0
	.set _ZN9rocsolver6v33100L18trti2_kernel_smallILi28EfPKPfEEv13rocblas_fill_17rocblas_diagonal_T1_iil.has_dyn_sized_stack, 0
	.set _ZN9rocsolver6v33100L18trti2_kernel_smallILi28EfPKPfEEv13rocblas_fill_17rocblas_diagonal_T1_iil.has_recursion, 0
	.set _ZN9rocsolver6v33100L18trti2_kernel_smallILi28EfPKPfEEv13rocblas_fill_17rocblas_diagonal_T1_iil.has_indirect_call, 0
	.section	.AMDGPU.csdata,"",@progbits
; Kernel info:
; codeLenInByte = 43992
; TotalNumSgprs: 68
; NumVgprs: 140
; ScratchSize: 0
; MemoryBound: 0
; FloatMode: 240
; IeeeMode: 1
; LDSByteSize: 224 bytes/workgroup (compile time only)
; SGPRBlocks: 8
; VGPRBlocks: 34
; NumSGPRsForWavesPerEU: 68
; NumVGPRsForWavesPerEU: 140
; Occupancy: 1
; WaveLimiterHint : 1
; COMPUTE_PGM_RSRC2:SCRATCH_EN: 0
; COMPUTE_PGM_RSRC2:USER_SGPR: 6
; COMPUTE_PGM_RSRC2:TRAP_HANDLER: 0
; COMPUTE_PGM_RSRC2:TGID_X_EN: 1
; COMPUTE_PGM_RSRC2:TGID_Y_EN: 0
; COMPUTE_PGM_RSRC2:TGID_Z_EN: 0
; COMPUTE_PGM_RSRC2:TIDIG_COMP_CNT: 0
	.section	.text._ZN9rocsolver6v33100L18trti2_kernel_smallILi29EfPKPfEEv13rocblas_fill_17rocblas_diagonal_T1_iil,"axG",@progbits,_ZN9rocsolver6v33100L18trti2_kernel_smallILi29EfPKPfEEv13rocblas_fill_17rocblas_diagonal_T1_iil,comdat
	.globl	_ZN9rocsolver6v33100L18trti2_kernel_smallILi29EfPKPfEEv13rocblas_fill_17rocblas_diagonal_T1_iil ; -- Begin function _ZN9rocsolver6v33100L18trti2_kernel_smallILi29EfPKPfEEv13rocblas_fill_17rocblas_diagonal_T1_iil
	.p2align	8
	.type	_ZN9rocsolver6v33100L18trti2_kernel_smallILi29EfPKPfEEv13rocblas_fill_17rocblas_diagonal_T1_iil,@function
_ZN9rocsolver6v33100L18trti2_kernel_smallILi29EfPKPfEEv13rocblas_fill_17rocblas_diagonal_T1_iil: ; @_ZN9rocsolver6v33100L18trti2_kernel_smallILi29EfPKPfEEv13rocblas_fill_17rocblas_diagonal_T1_iil
; %bb.0:
	v_cmp_gt_u32_e32 vcc, 29, v0
	s_and_saveexec_b64 s[0:1], vcc
	s_cbranch_execz .LBB92_718
; %bb.1:
	s_load_dwordx2 s[0:1], s[4:5], 0x10
	s_load_dwordx4 s[60:63], s[4:5], 0x0
	s_ashr_i32 s7, s6, 31
	s_lshl_b64 s[2:3], s[6:7], 3
	v_lshlrev_b32_e32 v34, 2, v0
	s_waitcnt lgkmcnt(0)
	s_ashr_i32 s5, s0, 31
	s_add_u32 s2, s62, s2
	s_addc_u32 s3, s63, s3
	s_load_dwordx2 s[2:3], s[2:3], 0x0
	s_mov_b32 s4, s0
	s_lshl_b64 s[4:5], s[4:5], 2
	v_mov_b32_e32 v35, -1.0
	s_waitcnt lgkmcnt(0)
	s_add_u32 s0, s2, s4
	s_addc_u32 s2, s3, s5
	s_add_i32 s3, s1, s1
	v_add_u32_e32 v1, s3, v0
	v_ashrrev_i32_e32 v2, 31, v1
	v_lshlrev_b64 v[2:3], 2, v[1:2]
	v_add_u32_e32 v1, s1, v1
	v_mov_b32_e32 v4, s2
	v_add_co_u32_e32 v66, vcc, s0, v2
	v_ashrrev_i32_e32 v2, 31, v1
	v_addc_co_u32_e32 v67, vcc, v4, v3, vcc
	v_lshlrev_b64 v[2:3], 2, v[1:2]
	v_add_u32_e32 v1, s1, v1
	v_add_co_u32_e32 v68, vcc, s0, v2
	v_ashrrev_i32_e32 v2, 31, v1
	v_addc_co_u32_e32 v69, vcc, v4, v3, vcc
	v_lshlrev_b64 v[2:3], 2, v[1:2]
	v_add_u32_e32 v1, s1, v1
	;; [unrolled: 5-line block ×25, first 2 shown]
	v_add_co_u32_e32 v116, vcc, s0, v2
	v_ashrrev_i32_e32 v2, 31, v1
	v_lshlrev_b64 v[1:2], 2, v[1:2]
	v_addc_co_u32_e32 v117, vcc, v4, v3, vcc
	v_mov_b32_e32 v3, s2
	v_add_co_u32_e32 v118, vcc, s0, v1
	v_addc_co_u32_e32 v119, vcc, v3, v2, vcc
	v_mov_b32_e32 v1, s2
	v_add_co_u32_e32 v120, vcc, s0, v34
	s_ashr_i32 s3, s1, 31
	s_mov_b32 s2, s1
	v_addc_co_u32_e32 v121, vcc, 0, v1, vcc
	s_lshl_b64 s[0:1], s[2:3], 2
	v_mov_b32_e32 v1, s1
	v_add_co_u32_e32 v122, vcc, s0, v120
	v_addc_co_u32_e32 v123, vcc, v121, v1, vcc
	flat_load_dword v2, v[120:121]
	flat_load_dword v3, v[122:123]
	;; [unrolled: 1-line block ×29, first 2 shown]
	s_cmpk_lg_i32 s61, 0x84
	v_mov_b32_e32 v1, 0
	s_cselect_b64 s[62:63], -1, 0
	s_cmpk_eq_i32 s61, 0x84
	v_cmp_eq_u32_e64 s[0:1], 0, v0
	s_cbranch_scc1 .LBB92_3
; %bb.2:
	v_cmp_eq_u32_e64 s[2:3], 1, v0
	s_waitcnt vmcnt(0) lgkmcnt(0)
	v_cndmask_b32_e64 v31, v2, v3, s[2:3]
	v_cmp_eq_u32_e64 s[4:5], 2, v0
	v_cndmask_b32_e64 v31, v31, v4, s[4:5]
	v_cmp_eq_u32_e64 s[6:7], 3, v0
	;; [unrolled: 2-line block ×27, first 2 shown]
	v_cndmask_b32_e64 v31, v31, v30, s[58:59]
	v_div_scale_f32 v32, s[64:65], v31, v31, 1.0
	v_div_scale_f32 v33, vcc, 1.0, v31, 1.0
	v_rcp_f32_e32 v35, v32
	v_fma_f32 v36, -v32, v35, 1.0
	v_fmac_f32_e32 v35, v36, v35
	v_mul_f32_e32 v36, v33, v35
	v_fma_f32 v37, -v32, v36, v33
	v_fmac_f32_e32 v36, v37, v35
	v_fma_f32 v32, -v32, v36, v33
	v_div_fmas_f32 v32, v32, v35, v36
	v_div_fixup_f32 v31, v32, v31, 1.0
	v_cndmask_b32_e64 v30, v30, v31, s[58:59]
	v_cndmask_b32_e64 v29, v29, v31, s[56:57]
	;; [unrolled: 1-line block ×29, first 2 shown]
	v_xor_b32_e32 v35, 0x80000000, v31
.LBB92_3:
	s_cmpk_eq_i32 s60, 0x79
	v_add_u32_e32 v124, 0x80, v34
	ds_write_b32 v34, v35
	s_cbranch_scc1 .LBB92_7
; %bb.4:
	s_waitcnt vmcnt(0) lgkmcnt(0)
	v_mov_b32_e32 v65, v33
	v_mov_b32_e32 v64, v32
	;; [unrolled: 1-line block ×32, first 2 shown]
	v_cmp_eq_u32_e64 s[2:3], 28, v0
	ds_write_b32 v124, v29
	s_waitcnt lgkmcnt(0)
	; wave barrier
	s_and_saveexec_b64 s[0:1], s[2:3]
	s_cbranch_execz .LBB92_11
; %bb.5:
	s_and_b64 vcc, exec, s[62:63]
	s_cbranch_vccz .LBB92_8
; %bb.6:
	v_cmp_eq_u32_e32 vcc, 1, v0
	v_cndmask_b32_e32 v34, v2, v3, vcc
	v_cmp_eq_u32_e32 vcc, 2, v0
	v_cndmask_b32_e32 v34, v34, v4, vcc
	;; [unrolled: 2-line block ×24, first 2 shown]
	v_cmp_eq_u32_e32 vcc, 25, v0
	ds_read_b32 v35, v124
	v_cndmask_b32_e32 v34, v34, v27, vcc
	v_cmp_eq_u32_e32 vcc, 26, v0
	v_cndmask_b32_e32 v34, v34, v28, vcc
	v_cmp_eq_u32_e32 vcc, 27, v0
	;; [unrolled: 2-line block ×3, first 2 shown]
	v_cndmask_b32_e32 v34, v34, v30, vcc
	s_waitcnt lgkmcnt(0)
	v_mul_f32_e32 v38, v34, v35
	s_cbranch_execz .LBB92_9
	s_branch .LBB92_10
.LBB92_7:
                                        ; implicit-def: $vgpr34_vgpr35_vgpr36_vgpr37_vgpr38_vgpr39_vgpr40_vgpr41_vgpr42_vgpr43_vgpr44_vgpr45_vgpr46_vgpr47_vgpr48_vgpr49_vgpr50_vgpr51_vgpr52_vgpr53_vgpr54_vgpr55_vgpr56_vgpr57_vgpr58_vgpr59_vgpr60_vgpr61_vgpr62_vgpr63_vgpr64_vgpr65
	s_cbranch_execnz .LBB92_434
	s_branch .LBB92_717
.LBB92_8:
                                        ; implicit-def: $vgpr38
.LBB92_9:
	ds_read_b32 v38, v124
.LBB92_10:
	v_mov_b32_e32 v34, 0
	ds_read_b32 v39, v34 offset:108
	v_mov_b32_e32 v34, v2
	v_mov_b32_e32 v35, v3
	;; [unrolled: 1-line block ×4, first 2 shown]
	s_waitcnt lgkmcnt(0)
	v_mul_f32_e32 v61, v38, v39
	v_mov_b32_e32 v38, v6
	v_mov_b32_e32 v39, v7
	;; [unrolled: 1-line block ×24, first 2 shown]
.LBB92_11:
	s_or_b64 exec, exec, s[0:1]
	v_cmp_lt_u32_e64 s[0:1], 26, v0
	ds_write_b32 v124, v60
	s_waitcnt lgkmcnt(0)
	; wave barrier
	s_and_saveexec_b64 s[4:5], s[0:1]
	s_cbranch_execz .LBB92_17
; %bb.12:
	s_andn2_b64 vcc, exec, s[62:63]
	s_cbranch_vccnz .LBB92_14
; %bb.13:
	v_cmp_eq_u32_e32 vcc, 1, v0
	v_cndmask_b32_e32 v63, v34, v35, vcc
	v_cmp_eq_u32_e32 vcc, 2, v0
	v_cndmask_b32_e32 v63, v63, v36, vcc
	;; [unrolled: 2-line block ×26, first 2 shown]
	ds_read_b32 v63, v124
	v_cmp_eq_u32_e32 vcc, 27, v0
	v_cndmask_b32_e32 v60, v60, v61, vcc
	v_cmp_eq_u32_e32 vcc, 28, v0
	v_cndmask_b32_e32 v60, v60, v62, vcc
	s_waitcnt lgkmcnt(0)
	v_mul_f32_e32 v60, v60, v63
	s_cbranch_execz .LBB92_15
	s_branch .LBB92_16
.LBB92_14:
                                        ; implicit-def: $vgpr60
.LBB92_15:
	ds_read_b32 v60, v124
.LBB92_16:
	v_mov_b32_e32 v63, 0
	ds_read2_b32 v[63:64], v63 offset0:26 offset1:59
	s_waitcnt lgkmcnt(0)
	v_fma_f32 v64, v61, v64, v60
	v_cndmask_b32_e64 v60, v60, v64, s[2:3]
	v_mul_f32_e32 v60, v60, v63
.LBB92_17:
	s_or_b64 exec, exec, s[4:5]
	v_cmp_lt_u32_e64 s[2:3], 25, v0
	ds_write_b32 v124, v59
	s_waitcnt lgkmcnt(0)
	; wave barrier
	s_and_saveexec_b64 s[4:5], s[2:3]
	s_cbranch_execz .LBB92_33
; %bb.18:
	s_andn2_b64 vcc, exec, s[62:63]
	s_cbranch_vccnz .LBB92_20
; %bb.19:
	v_cmp_eq_u32_e32 vcc, 1, v0
	v_cndmask_b32_e32 v125, v34, v35, vcc
	v_cmp_eq_u32_e32 vcc, 2, v0
	v_cndmask_b32_e32 v125, v125, v36, vcc
	;; [unrolled: 2-line block ×24, first 2 shown]
	v_cmp_eq_u32_e32 vcc, 25, v0
	ds_read_b32 v126, v124
	v_cndmask_b32_e32 v125, v125, v59, vcc
	v_cmp_eq_u32_e32 vcc, 26, v0
	v_cndmask_b32_e32 v125, v125, v60, vcc
	v_cmp_eq_u32_e32 vcc, 27, v0
	;; [unrolled: 2-line block ×3, first 2 shown]
	v_cndmask_b32_e32 v125, v125, v62, vcc
	s_waitcnt lgkmcnt(0)
	v_mul_f32_e32 v125, v125, v126
	s_cbranch_execz .LBB92_21
	s_branch .LBB92_22
.LBB92_20:
                                        ; implicit-def: $vgpr125
.LBB92_21:
	ds_read_b32 v125, v124
.LBB92_22:
	s_and_saveexec_b64 s[6:7], s[0:1]
	s_cbranch_execz .LBB92_32
; %bb.23:
	v_subrev_u32_e32 v128, 27, v0
	v_mov_b32_e32 v126, 26
	v_subrev_u32_e32 v127, 26, v0
	v_cmp_lt_u32_e32 vcc, 6, v128
	s_and_saveexec_b64 s[0:1], vcc
	s_cbranch_execz .LBB92_27
; %bb.24:
	v_and_b32_e32 v126, -8, v127
	v_sub_u32_e32 v128, 0, v126
	s_mov_b64 s[8:9], 33
	s_movk_i32 s12, 0xe8
	s_mov_b64 s[10:11], 0
.LBB92_25:                              ; =>This Inner Loop Header: Depth=1
	s_add_i32 s13, s8, -7
	v_mov_b32_e32 v126, s12
	s_add_i32 s14, s8, -6
	s_set_gpr_idx_on s13, gpr_idx(SRC0)
	v_mov_b32_e32 v137, v34
	s_set_gpr_idx_off
	ds_read2_b64 v[129:132], v126 offset1:1
	s_add_i32 s15, s8, -5
	s_set_gpr_idx_on s14, gpr_idx(SRC0)
	v_mov_b32_e32 v138, v34
	s_set_gpr_idx_off
	s_add_i32 s16, s8, -4
	s_set_gpr_idx_on s15, gpr_idx(SRC0)
	v_mov_b32_e32 v139, v34
	s_set_gpr_idx_off
	;; [unrolled: 4-line block ×4, first 2 shown]
	ds_read2_b64 v[133:136], v126 offset0:2 offset1:3
	s_add_i32 s19, s8, -1
	s_waitcnt lgkmcnt(1)
	v_fmac_f32_e32 v125, v137, v129
	s_set_gpr_idx_on s18, gpr_idx(SRC0)
	v_mov_b32_e32 v129, v34
	s_set_gpr_idx_off
	v_fmac_f32_e32 v125, v138, v130
	s_set_gpr_idx_on s19, gpr_idx(SRC0)
	v_mov_b32_e32 v130, v34
	s_set_gpr_idx_off
	;; [unrolled: 4-line block ×3, first 2 shown]
	v_fmac_f32_e32 v125, v140, v132
	s_add_u32 s8, s8, 8
	s_waitcnt lgkmcnt(0)
	v_fmac_f32_e32 v125, v141, v133
	v_add_u32_e32 v126, s8, v128
	v_fmac_f32_e32 v125, v129, v134
	s_addc_u32 s9, s9, 0
	s_add_i32 s12, s12, 32
	s_add_i32 s13, s8, -7
	v_cmp_eq_u32_e32 vcc, 33, v126
	v_fmac_f32_e32 v125, v130, v135
	v_mov_b32_e32 v126, s13
	s_or_b64 s[10:11], vcc, s[10:11]
	v_fmac_f32_e32 v125, v131, v136
	s_andn2_b64 exec, exec, s[10:11]
	s_cbranch_execnz .LBB92_25
; %bb.26:
	s_or_b64 exec, exec, s[10:11]
.LBB92_27:
	s_or_b64 exec, exec, s[0:1]
	v_and_b32_e32 v63, 7, v127
	v_cmp_ne_u32_e32 vcc, 0, v63
	s_and_saveexec_b64 s[8:9], vcc
	s_cbranch_execz .LBB92_31
; %bb.28:
	v_mov_b32_e32 v64, 0x80
	v_lshl_add_u32 v64, v126, 2, v64
	v_mov_b32_e32 v65, 0
	s_mov_b64 s[10:11], 0
.LBB92_29:                              ; =>This Inner Loop Header: Depth=1
	v_cmp_eq_u32_e32 vcc, 1, v126
	v_cndmask_b32_e32 v127, v34, v35, vcc
	v_add_u32_e32 v63, -1, v63
	v_cmp_eq_u32_e32 vcc, 2, v126
	v_cndmask_b32_e32 v127, v127, v36, vcc
	v_cmp_eq_u32_e32 vcc, 0, v63
	v_cmp_eq_u32_e64 s[0:1], 3, v126
	v_cndmask_b32_e64 v127, v127, v37, s[0:1]
	s_or_b64 s[10:11], vcc, s[10:11]
	v_cmp_eq_u32_e32 vcc, 4, v126
	v_cndmask_b32_e32 v127, v127, v38, vcc
	v_cmp_eq_u32_e32 vcc, 5, v126
	v_cndmask_b32_e32 v127, v127, v39, vcc
	;; [unrolled: 2-line block ×20, first 2 shown]
	v_cmp_eq_u32_e32 vcc, 24, v126
	ds_read_b32 v128, v64
	v_cndmask_b32_e32 v127, v127, v58, vcc
	v_cmp_eq_u32_e32 vcc, 25, v126
	v_cndmask_b32_e32 v127, v127, v59, vcc
	v_cmp_eq_u32_e32 vcc, 26, v126
	v_cndmask_b32_e32 v127, v127, v60, vcc
	v_cmp_eq_u32_e32 vcc, 27, v126
	v_cndmask_b32_e32 v127, v127, v61, vcc
	v_cmp_eq_u32_e32 vcc, 28, v126
	v_add_co_u32_e64 v126, s[0:1], 1, v126
	v_cndmask_b32_e32 v127, v127, v62, vcc
	v_add_u32_e32 v64, 4, v64
	v_addc_co_u32_e64 v65, s[0:1], 0, v65, s[0:1]
	s_waitcnt lgkmcnt(0)
	v_fmac_f32_e32 v125, v127, v128
	s_andn2_b64 exec, exec, s[10:11]
	s_cbranch_execnz .LBB92_29
; %bb.30:
	s_or_b64 exec, exec, s[10:11]
.LBB92_31:
	s_or_b64 exec, exec, s[8:9]
.LBB92_32:
	s_or_b64 exec, exec, s[6:7]
	v_mov_b32_e32 v59, 0
	ds_read_b32 v59, v59 offset:100
	s_waitcnt lgkmcnt(0)
	v_mul_f32_e32 v59, v125, v59
.LBB92_33:
	s_or_b64 exec, exec, s[4:5]
	v_cmp_lt_u32_e64 s[0:1], 24, v0
	ds_write_b32 v124, v58
	s_waitcnt lgkmcnt(0)
	; wave barrier
	s_and_saveexec_b64 s[4:5], s[0:1]
	s_cbranch_execz .LBB92_49
; %bb.34:
	s_andn2_b64 vcc, exec, s[62:63]
	s_cbranch_vccnz .LBB92_36
; %bb.35:
	v_cmp_eq_u32_e32 vcc, 1, v0
	v_cndmask_b32_e32 v125, v34, v35, vcc
	v_cmp_eq_u32_e32 vcc, 2, v0
	v_cndmask_b32_e32 v125, v125, v36, vcc
	;; [unrolled: 2-line block ×24, first 2 shown]
	v_cmp_eq_u32_e32 vcc, 25, v0
	ds_read_b32 v126, v124
	v_cndmask_b32_e32 v125, v125, v59, vcc
	v_cmp_eq_u32_e32 vcc, 26, v0
	v_cndmask_b32_e32 v125, v125, v60, vcc
	v_cmp_eq_u32_e32 vcc, 27, v0
	;; [unrolled: 2-line block ×3, first 2 shown]
	v_cndmask_b32_e32 v125, v125, v62, vcc
	s_waitcnt lgkmcnt(0)
	v_mul_f32_e32 v125, v125, v126
	s_cbranch_execz .LBB92_37
	s_branch .LBB92_38
.LBB92_36:
                                        ; implicit-def: $vgpr125
.LBB92_37:
	ds_read_b32 v125, v124
.LBB92_38:
	s_and_saveexec_b64 s[6:7], s[2:3]
	s_cbranch_execz .LBB92_48
; %bb.39:
	v_subrev_u32_e32 v128, 26, v0
	v_mov_b32_e32 v126, 25
	v_subrev_u32_e32 v127, 25, v0
	v_cmp_lt_u32_e32 vcc, 6, v128
	s_and_saveexec_b64 s[2:3], vcc
	s_cbranch_execz .LBB92_43
; %bb.40:
	v_and_b32_e32 v126, -8, v127
	v_sub_u32_e32 v128, 0, v126
	s_mov_b64 s[8:9], 32
	s_movk_i32 s12, 0xe4
	s_mov_b64 s[10:11], 0
.LBB92_41:                              ; =>This Inner Loop Header: Depth=1
	s_add_i32 s13, s8, -7
	v_mov_b32_e32 v126, s12
	s_add_i32 s14, s8, -6
	s_set_gpr_idx_on s13, gpr_idx(SRC0)
	v_mov_b32_e32 v135, v34
	s_set_gpr_idx_off
	ds_read2_b32 v[129:130], v126 offset1:1
	s_add_i32 s15, s8, -5
	s_set_gpr_idx_on s14, gpr_idx(SRC0)
	v_mov_b32_e32 v136, v34
	s_set_gpr_idx_off
	s_add_i32 s16, s8, -4
	s_set_gpr_idx_on s15, gpr_idx(SRC0)
	v_mov_b32_e32 v137, v34
	s_set_gpr_idx_off
	ds_read2_b32 v[131:132], v126 offset0:2 offset1:3
	s_add_i32 s17, s8, -3
	s_set_gpr_idx_on s16, gpr_idx(SRC0)
	v_mov_b32_e32 v138, v34
	s_set_gpr_idx_off
	s_add_i32 s18, s8, -2
	s_set_gpr_idx_on s17, gpr_idx(SRC0)
	v_mov_b32_e32 v139, v34
	s_set_gpr_idx_off
	ds_read2_b32 v[133:134], v126 offset0:4 offset1:5
	s_add_i32 s19, s8, -1
	s_waitcnt lgkmcnt(2)
	v_fmac_f32_e32 v125, v135, v129
	s_set_gpr_idx_on s18, gpr_idx(SRC0)
	v_mov_b32_e32 v135, v34
	s_set_gpr_idx_off
	v_fmac_f32_e32 v125, v136, v130
	s_set_gpr_idx_on s19, gpr_idx(SRC0)
	v_mov_b32_e32 v136, v34
	s_set_gpr_idx_off
	ds_read2_b32 v[129:130], v126 offset0:6 offset1:7
	s_waitcnt lgkmcnt(2)
	v_fmac_f32_e32 v125, v137, v131
	s_set_gpr_idx_on s8, gpr_idx(SRC0)
	v_mov_b32_e32 v131, v34
	s_set_gpr_idx_off
	v_fmac_f32_e32 v125, v138, v132
	s_add_u32 s8, s8, 8
	s_waitcnt lgkmcnt(1)
	v_fmac_f32_e32 v125, v139, v133
	v_add_u32_e32 v126, s8, v128
	v_fmac_f32_e32 v125, v135, v134
	s_addc_u32 s9, s9, 0
	s_add_i32 s12, s12, 32
	s_add_i32 s13, s8, -7
	v_cmp_eq_u32_e32 vcc, 32, v126
	s_waitcnt lgkmcnt(0)
	v_fmac_f32_e32 v125, v136, v129
	v_mov_b32_e32 v126, s13
	s_or_b64 s[10:11], vcc, s[10:11]
	v_fmac_f32_e32 v125, v131, v130
	s_andn2_b64 exec, exec, s[10:11]
	s_cbranch_execnz .LBB92_41
; %bb.42:
	s_or_b64 exec, exec, s[10:11]
.LBB92_43:
	s_or_b64 exec, exec, s[2:3]
	v_and_b32_e32 v63, 7, v127
	v_cmp_ne_u32_e32 vcc, 0, v63
	s_and_saveexec_b64 s[8:9], vcc
	s_cbranch_execz .LBB92_47
; %bb.44:
	v_mov_b32_e32 v64, 0x80
	v_lshl_add_u32 v64, v126, 2, v64
	v_mov_b32_e32 v65, 0
	s_mov_b64 s[10:11], 0
.LBB92_45:                              ; =>This Inner Loop Header: Depth=1
	v_cmp_eq_u32_e32 vcc, 1, v126
	v_cndmask_b32_e32 v127, v34, v35, vcc
	v_add_u32_e32 v63, -1, v63
	v_cmp_eq_u32_e32 vcc, 2, v126
	v_cndmask_b32_e32 v127, v127, v36, vcc
	v_cmp_eq_u32_e32 vcc, 0, v63
	v_cmp_eq_u32_e64 s[2:3], 3, v126
	v_cndmask_b32_e64 v127, v127, v37, s[2:3]
	s_or_b64 s[10:11], vcc, s[10:11]
	v_cmp_eq_u32_e32 vcc, 4, v126
	v_cndmask_b32_e32 v127, v127, v38, vcc
	v_cmp_eq_u32_e32 vcc, 5, v126
	v_cndmask_b32_e32 v127, v127, v39, vcc
	;; [unrolled: 2-line block ×20, first 2 shown]
	v_cmp_eq_u32_e32 vcc, 24, v126
	ds_read_b32 v128, v64
	v_cndmask_b32_e32 v127, v127, v58, vcc
	v_cmp_eq_u32_e32 vcc, 25, v126
	v_cndmask_b32_e32 v127, v127, v59, vcc
	v_cmp_eq_u32_e32 vcc, 26, v126
	;; [unrolled: 2-line block ×4, first 2 shown]
	v_add_co_u32_e64 v126, s[2:3], 1, v126
	v_cndmask_b32_e32 v127, v127, v62, vcc
	v_add_u32_e32 v64, 4, v64
	v_addc_co_u32_e64 v65, s[2:3], 0, v65, s[2:3]
	s_waitcnt lgkmcnt(0)
	v_fmac_f32_e32 v125, v127, v128
	s_andn2_b64 exec, exec, s[10:11]
	s_cbranch_execnz .LBB92_45
; %bb.46:
	s_or_b64 exec, exec, s[10:11]
.LBB92_47:
	s_or_b64 exec, exec, s[8:9]
.LBB92_48:
	s_or_b64 exec, exec, s[6:7]
	v_mov_b32_e32 v58, 0
	ds_read_b32 v58, v58 offset:96
	s_waitcnt lgkmcnt(0)
	v_mul_f32_e32 v58, v125, v58
.LBB92_49:
	s_or_b64 exec, exec, s[4:5]
	v_cmp_lt_u32_e64 s[2:3], 23, v0
	ds_write_b32 v124, v57
	s_waitcnt lgkmcnt(0)
	; wave barrier
	s_and_saveexec_b64 s[4:5], s[2:3]
	s_cbranch_execz .LBB92_65
; %bb.50:
	s_andn2_b64 vcc, exec, s[62:63]
	s_cbranch_vccnz .LBB92_52
; %bb.51:
	v_cmp_eq_u32_e32 vcc, 1, v0
	v_cndmask_b32_e32 v125, v34, v35, vcc
	v_cmp_eq_u32_e32 vcc, 2, v0
	v_cndmask_b32_e32 v125, v125, v36, vcc
	;; [unrolled: 2-line block ×24, first 2 shown]
	v_cmp_eq_u32_e32 vcc, 25, v0
	ds_read_b32 v126, v124
	v_cndmask_b32_e32 v125, v125, v59, vcc
	v_cmp_eq_u32_e32 vcc, 26, v0
	v_cndmask_b32_e32 v125, v125, v60, vcc
	v_cmp_eq_u32_e32 vcc, 27, v0
	;; [unrolled: 2-line block ×3, first 2 shown]
	v_cndmask_b32_e32 v125, v125, v62, vcc
	s_waitcnt lgkmcnt(0)
	v_mul_f32_e32 v125, v125, v126
	s_cbranch_execz .LBB92_53
	s_branch .LBB92_54
.LBB92_52:
                                        ; implicit-def: $vgpr125
.LBB92_53:
	ds_read_b32 v125, v124
.LBB92_54:
	s_and_saveexec_b64 s[6:7], s[0:1]
	s_cbranch_execz .LBB92_64
; %bb.55:
	v_subrev_u32_e32 v126, 25, v0
	v_cmp_lt_u32_e32 vcc, 6, v126
	v_mov_b32_e32 v126, 24
	s_and_saveexec_b64 s[0:1], vcc
	s_cbranch_execz .LBB92_59
; %bb.56:
	v_and_b32_e32 v126, 24, v0
	v_sub_u32_e32 v127, 0, v126
	s_mov_b64 s[8:9], 31
	s_movk_i32 s12, 0xe0
	s_mov_b64 s[10:11], 0
.LBB92_57:                              ; =>This Inner Loop Header: Depth=1
	s_add_i32 s13, s8, -7
	v_mov_b32_e32 v126, s12
	s_add_i32 s14, s8, -6
	s_set_gpr_idx_on s13, gpr_idx(SRC0)
	v_mov_b32_e32 v136, v34
	s_set_gpr_idx_off
	s_add_i32 s15, s8, -5
	ds_read_b128 v[128:131], v126
	ds_read_b128 v[132:135], v126 offset:16
	s_set_gpr_idx_on s14, gpr_idx(SRC0)
	v_mov_b32_e32 v126, v34
	s_set_gpr_idx_off
	s_add_i32 s16, s8, -4
	s_set_gpr_idx_on s15, gpr_idx(SRC0)
	v_mov_b32_e32 v137, v34
	s_set_gpr_idx_off
	s_add_i32 s17, s8, -3
	;; [unrolled: 4-line block ×4, first 2 shown]
	s_waitcnt lgkmcnt(1)
	v_fmac_f32_e32 v125, v136, v128
	s_set_gpr_idx_on s18, gpr_idx(SRC0)
	v_mov_b32_e32 v128, v34
	s_set_gpr_idx_off
	v_fmac_f32_e32 v125, v126, v129
	s_set_gpr_idx_on s19, gpr_idx(SRC0)
	v_mov_b32_e32 v129, v34
	s_set_gpr_idx_off
	;; [unrolled: 4-line block ×3, first 2 shown]
	v_fmac_f32_e32 v125, v138, v131
	s_add_u32 s8, s8, 8
	s_waitcnt lgkmcnt(0)
	v_fmac_f32_e32 v125, v139, v132
	v_add_u32_e32 v126, s8, v127
	v_fmac_f32_e32 v125, v128, v133
	s_addc_u32 s9, s9, 0
	s_add_i32 s12, s12, 32
	s_add_i32 s13, s8, -7
	v_cmp_eq_u32_e32 vcc, 7, v126
	v_fmac_f32_e32 v125, v129, v134
	v_mov_b32_e32 v126, s13
	s_or_b64 s[10:11], vcc, s[10:11]
	v_fmac_f32_e32 v125, v130, v135
	s_andn2_b64 exec, exec, s[10:11]
	s_cbranch_execnz .LBB92_57
; %bb.58:
	s_or_b64 exec, exec, s[10:11]
.LBB92_59:
	s_or_b64 exec, exec, s[0:1]
	v_and_b32_e32 v63, 7, v0
	v_cmp_ne_u32_e32 vcc, 0, v63
	s_and_saveexec_b64 s[8:9], vcc
	s_cbranch_execz .LBB92_63
; %bb.60:
	v_mov_b32_e32 v64, 0x80
	v_lshl_add_u32 v64, v126, 2, v64
	v_mov_b32_e32 v65, 0
	s_mov_b64 s[10:11], 0
.LBB92_61:                              ; =>This Inner Loop Header: Depth=1
	v_cmp_eq_u32_e32 vcc, 1, v126
	v_cndmask_b32_e32 v127, v34, v35, vcc
	v_add_u32_e32 v63, -1, v63
	v_cmp_eq_u32_e32 vcc, 2, v126
	v_cndmask_b32_e32 v127, v127, v36, vcc
	v_cmp_eq_u32_e32 vcc, 0, v63
	v_cmp_eq_u32_e64 s[0:1], 3, v126
	v_cndmask_b32_e64 v127, v127, v37, s[0:1]
	s_or_b64 s[10:11], vcc, s[10:11]
	v_cmp_eq_u32_e32 vcc, 4, v126
	v_cndmask_b32_e32 v127, v127, v38, vcc
	v_cmp_eq_u32_e32 vcc, 5, v126
	v_cndmask_b32_e32 v127, v127, v39, vcc
	;; [unrolled: 2-line block ×20, first 2 shown]
	v_cmp_eq_u32_e32 vcc, 24, v126
	ds_read_b32 v128, v64
	v_cndmask_b32_e32 v127, v127, v58, vcc
	v_cmp_eq_u32_e32 vcc, 25, v126
	v_cndmask_b32_e32 v127, v127, v59, vcc
	v_cmp_eq_u32_e32 vcc, 26, v126
	;; [unrolled: 2-line block ×4, first 2 shown]
	v_add_co_u32_e64 v126, s[0:1], 1, v126
	v_cndmask_b32_e32 v127, v127, v62, vcc
	v_add_u32_e32 v64, 4, v64
	v_addc_co_u32_e64 v65, s[0:1], 0, v65, s[0:1]
	s_waitcnt lgkmcnt(0)
	v_fmac_f32_e32 v125, v127, v128
	s_andn2_b64 exec, exec, s[10:11]
	s_cbranch_execnz .LBB92_61
; %bb.62:
	s_or_b64 exec, exec, s[10:11]
.LBB92_63:
	s_or_b64 exec, exec, s[8:9]
.LBB92_64:
	s_or_b64 exec, exec, s[6:7]
	v_mov_b32_e32 v57, 0
	ds_read_b32 v57, v57 offset:92
	s_waitcnt lgkmcnt(0)
	v_mul_f32_e32 v57, v125, v57
.LBB92_65:
	s_or_b64 exec, exec, s[4:5]
	v_cmp_lt_u32_e64 s[0:1], 22, v0
	ds_write_b32 v124, v56
	s_waitcnt lgkmcnt(0)
	; wave barrier
	s_and_saveexec_b64 s[4:5], s[0:1]
	s_cbranch_execz .LBB92_81
; %bb.66:
	s_andn2_b64 vcc, exec, s[62:63]
	s_cbranch_vccnz .LBB92_68
; %bb.67:
	v_cmp_eq_u32_e32 vcc, 1, v0
	v_cndmask_b32_e32 v125, v34, v35, vcc
	v_cmp_eq_u32_e32 vcc, 2, v0
	v_cndmask_b32_e32 v125, v125, v36, vcc
	;; [unrolled: 2-line block ×24, first 2 shown]
	v_cmp_eq_u32_e32 vcc, 25, v0
	ds_read_b32 v126, v124
	v_cndmask_b32_e32 v125, v125, v59, vcc
	v_cmp_eq_u32_e32 vcc, 26, v0
	v_cndmask_b32_e32 v125, v125, v60, vcc
	v_cmp_eq_u32_e32 vcc, 27, v0
	;; [unrolled: 2-line block ×3, first 2 shown]
	v_cndmask_b32_e32 v125, v125, v62, vcc
	s_waitcnt lgkmcnt(0)
	v_mul_f32_e32 v125, v125, v126
	s_cbranch_execz .LBB92_69
	s_branch .LBB92_70
.LBB92_68:
                                        ; implicit-def: $vgpr125
.LBB92_69:
	ds_read_b32 v125, v124
.LBB92_70:
	s_and_saveexec_b64 s[6:7], s[2:3]
	s_cbranch_execz .LBB92_80
; %bb.71:
	v_subrev_u32_e32 v128, 24, v0
	v_mov_b32_e32 v126, 23
	v_subrev_u32_e32 v127, 23, v0
	v_cmp_lt_u32_e32 vcc, 6, v128
	s_and_saveexec_b64 s[2:3], vcc
	s_cbranch_execz .LBB92_75
; %bb.72:
	v_and_b32_e32 v126, -8, v127
	v_sub_u32_e32 v128, 0, v126
	s_mov_b64 s[8:9], 30
	s_movk_i32 s12, 0xdc
	s_mov_b64 s[10:11], 0
.LBB92_73:                              ; =>This Inner Loop Header: Depth=1
	s_add_i32 s13, s8, -7
	v_mov_b32_e32 v126, s12
	s_add_i32 s14, s8, -6
	s_set_gpr_idx_on s13, gpr_idx(SRC0)
	v_mov_b32_e32 v135, v34
	s_set_gpr_idx_off
	ds_read2_b32 v[129:130], v126 offset1:1
	s_add_i32 s15, s8, -5
	s_set_gpr_idx_on s14, gpr_idx(SRC0)
	v_mov_b32_e32 v136, v34
	s_set_gpr_idx_off
	s_add_i32 s16, s8, -4
	s_set_gpr_idx_on s15, gpr_idx(SRC0)
	v_mov_b32_e32 v137, v34
	s_set_gpr_idx_off
	ds_read2_b32 v[131:132], v126 offset0:2 offset1:3
	s_add_i32 s17, s8, -3
	s_set_gpr_idx_on s16, gpr_idx(SRC0)
	v_mov_b32_e32 v138, v34
	s_set_gpr_idx_off
	s_add_i32 s18, s8, -2
	s_set_gpr_idx_on s17, gpr_idx(SRC0)
	v_mov_b32_e32 v139, v34
	s_set_gpr_idx_off
	ds_read2_b32 v[133:134], v126 offset0:4 offset1:5
	s_add_i32 s19, s8, -1
	s_waitcnt lgkmcnt(2)
	v_fmac_f32_e32 v125, v135, v129
	s_set_gpr_idx_on s18, gpr_idx(SRC0)
	v_mov_b32_e32 v135, v34
	s_set_gpr_idx_off
	v_fmac_f32_e32 v125, v136, v130
	s_set_gpr_idx_on s19, gpr_idx(SRC0)
	v_mov_b32_e32 v136, v34
	s_set_gpr_idx_off
	ds_read2_b32 v[129:130], v126 offset0:6 offset1:7
	s_waitcnt lgkmcnt(2)
	v_fmac_f32_e32 v125, v137, v131
	s_set_gpr_idx_on s8, gpr_idx(SRC0)
	v_mov_b32_e32 v131, v34
	s_set_gpr_idx_off
	v_fmac_f32_e32 v125, v138, v132
	s_add_u32 s8, s8, 8
	s_waitcnt lgkmcnt(1)
	v_fmac_f32_e32 v125, v139, v133
	v_add_u32_e32 v126, s8, v128
	v_fmac_f32_e32 v125, v135, v134
	s_addc_u32 s9, s9, 0
	s_add_i32 s12, s12, 32
	s_add_i32 s13, s8, -7
	v_cmp_eq_u32_e32 vcc, 30, v126
	s_waitcnt lgkmcnt(0)
	v_fmac_f32_e32 v125, v136, v129
	v_mov_b32_e32 v126, s13
	s_or_b64 s[10:11], vcc, s[10:11]
	v_fmac_f32_e32 v125, v131, v130
	s_andn2_b64 exec, exec, s[10:11]
	s_cbranch_execnz .LBB92_73
; %bb.74:
	s_or_b64 exec, exec, s[10:11]
.LBB92_75:
	s_or_b64 exec, exec, s[2:3]
	v_and_b32_e32 v63, 7, v127
	v_cmp_ne_u32_e32 vcc, 0, v63
	s_and_saveexec_b64 s[8:9], vcc
	s_cbranch_execz .LBB92_79
; %bb.76:
	v_mov_b32_e32 v64, 0x80
	v_lshl_add_u32 v64, v126, 2, v64
	v_mov_b32_e32 v65, 0
	s_mov_b64 s[10:11], 0
.LBB92_77:                              ; =>This Inner Loop Header: Depth=1
	v_cmp_eq_u32_e32 vcc, 1, v126
	v_cndmask_b32_e32 v127, v34, v35, vcc
	v_add_u32_e32 v63, -1, v63
	v_cmp_eq_u32_e32 vcc, 2, v126
	v_cndmask_b32_e32 v127, v127, v36, vcc
	v_cmp_eq_u32_e32 vcc, 0, v63
	v_cmp_eq_u32_e64 s[2:3], 3, v126
	v_cndmask_b32_e64 v127, v127, v37, s[2:3]
	s_or_b64 s[10:11], vcc, s[10:11]
	v_cmp_eq_u32_e32 vcc, 4, v126
	v_cndmask_b32_e32 v127, v127, v38, vcc
	v_cmp_eq_u32_e32 vcc, 5, v126
	v_cndmask_b32_e32 v127, v127, v39, vcc
	v_cmp_eq_u32_e32 vcc, 6, v126
	v_cndmask_b32_e32 v127, v127, v40, vcc
	v_cmp_eq_u32_e32 vcc, 7, v126
	v_cndmask_b32_e32 v127, v127, v41, vcc
	v_cmp_eq_u32_e32 vcc, 8, v126
	v_cndmask_b32_e32 v127, v127, v42, vcc
	v_cmp_eq_u32_e32 vcc, 9, v126
	v_cndmask_b32_e32 v127, v127, v43, vcc
	v_cmp_eq_u32_e32 vcc, 10, v126
	v_cndmask_b32_e32 v127, v127, v44, vcc
	v_cmp_eq_u32_e32 vcc, 11, v126
	v_cndmask_b32_e32 v127, v127, v45, vcc
	v_cmp_eq_u32_e32 vcc, 12, v126
	v_cndmask_b32_e32 v127, v127, v46, vcc
	v_cmp_eq_u32_e32 vcc, 13, v126
	v_cndmask_b32_e32 v127, v127, v47, vcc
	v_cmp_eq_u32_e32 vcc, 14, v126
	v_cndmask_b32_e32 v127, v127, v48, vcc
	v_cmp_eq_u32_e32 vcc, 15, v126
	v_cndmask_b32_e32 v127, v127, v49, vcc
	v_cmp_eq_u32_e32 vcc, 16, v126
	v_cndmask_b32_e32 v127, v127, v50, vcc
	v_cmp_eq_u32_e32 vcc, 17, v126
	v_cndmask_b32_e32 v127, v127, v51, vcc
	v_cmp_eq_u32_e32 vcc, 18, v126
	v_cndmask_b32_e32 v127, v127, v52, vcc
	v_cmp_eq_u32_e32 vcc, 19, v126
	v_cndmask_b32_e32 v127, v127, v53, vcc
	v_cmp_eq_u32_e32 vcc, 20, v126
	v_cndmask_b32_e32 v127, v127, v54, vcc
	v_cmp_eq_u32_e32 vcc, 21, v126
	v_cndmask_b32_e32 v127, v127, v55, vcc
	v_cmp_eq_u32_e32 vcc, 22, v126
	v_cndmask_b32_e32 v127, v127, v56, vcc
	v_cmp_eq_u32_e32 vcc, 23, v126
	v_cndmask_b32_e32 v127, v127, v57, vcc
	v_cmp_eq_u32_e32 vcc, 24, v126
	ds_read_b32 v128, v64
	v_cndmask_b32_e32 v127, v127, v58, vcc
	v_cmp_eq_u32_e32 vcc, 25, v126
	v_cndmask_b32_e32 v127, v127, v59, vcc
	v_cmp_eq_u32_e32 vcc, 26, v126
	;; [unrolled: 2-line block ×4, first 2 shown]
	v_add_co_u32_e64 v126, s[2:3], 1, v126
	v_cndmask_b32_e32 v127, v127, v62, vcc
	v_add_u32_e32 v64, 4, v64
	v_addc_co_u32_e64 v65, s[2:3], 0, v65, s[2:3]
	s_waitcnt lgkmcnt(0)
	v_fmac_f32_e32 v125, v127, v128
	s_andn2_b64 exec, exec, s[10:11]
	s_cbranch_execnz .LBB92_77
; %bb.78:
	s_or_b64 exec, exec, s[10:11]
.LBB92_79:
	s_or_b64 exec, exec, s[8:9]
.LBB92_80:
	s_or_b64 exec, exec, s[6:7]
	v_mov_b32_e32 v56, 0
	ds_read_b32 v56, v56 offset:88
	s_waitcnt lgkmcnt(0)
	v_mul_f32_e32 v56, v125, v56
.LBB92_81:
	s_or_b64 exec, exec, s[4:5]
	v_cmp_lt_u32_e64 s[2:3], 21, v0
	ds_write_b32 v124, v55
	s_waitcnt lgkmcnt(0)
	; wave barrier
	s_and_saveexec_b64 s[4:5], s[2:3]
	s_cbranch_execz .LBB92_97
; %bb.82:
	s_andn2_b64 vcc, exec, s[62:63]
	s_cbranch_vccnz .LBB92_84
; %bb.83:
	v_cmp_eq_u32_e32 vcc, 1, v0
	v_cndmask_b32_e32 v125, v34, v35, vcc
	v_cmp_eq_u32_e32 vcc, 2, v0
	v_cndmask_b32_e32 v125, v125, v36, vcc
	;; [unrolled: 2-line block ×24, first 2 shown]
	v_cmp_eq_u32_e32 vcc, 25, v0
	ds_read_b32 v126, v124
	v_cndmask_b32_e32 v125, v125, v59, vcc
	v_cmp_eq_u32_e32 vcc, 26, v0
	v_cndmask_b32_e32 v125, v125, v60, vcc
	v_cmp_eq_u32_e32 vcc, 27, v0
	;; [unrolled: 2-line block ×3, first 2 shown]
	v_cndmask_b32_e32 v125, v125, v62, vcc
	s_waitcnt lgkmcnt(0)
	v_mul_f32_e32 v125, v125, v126
	s_cbranch_execz .LBB92_85
	s_branch .LBB92_86
.LBB92_84:
                                        ; implicit-def: $vgpr125
.LBB92_85:
	ds_read_b32 v125, v124
.LBB92_86:
	s_and_saveexec_b64 s[6:7], s[0:1]
	s_cbranch_execz .LBB92_96
; %bb.87:
	v_subrev_u32_e32 v128, 23, v0
	v_mov_b32_e32 v126, 22
	v_subrev_u32_e32 v127, 22, v0
	v_cmp_lt_u32_e32 vcc, 6, v128
	s_and_saveexec_b64 s[0:1], vcc
	s_cbranch_execz .LBB92_91
; %bb.88:
	v_and_b32_e32 v126, -8, v127
	v_sub_u32_e32 v128, 0, v126
	s_mov_b64 s[8:9], 29
	s_movk_i32 s12, 0xd8
	s_mov_b64 s[10:11], 0
.LBB92_89:                              ; =>This Inner Loop Header: Depth=1
	s_add_i32 s13, s8, -7
	v_mov_b32_e32 v126, s12
	s_add_i32 s14, s8, -6
	s_set_gpr_idx_on s13, gpr_idx(SRC0)
	v_mov_b32_e32 v137, v34
	s_set_gpr_idx_off
	ds_read2_b64 v[129:132], v126 offset1:1
	s_add_i32 s15, s8, -5
	s_set_gpr_idx_on s14, gpr_idx(SRC0)
	v_mov_b32_e32 v138, v34
	s_set_gpr_idx_off
	s_add_i32 s16, s8, -4
	s_set_gpr_idx_on s15, gpr_idx(SRC0)
	v_mov_b32_e32 v139, v34
	s_set_gpr_idx_off
	;; [unrolled: 4-line block ×4, first 2 shown]
	ds_read2_b64 v[133:136], v126 offset0:2 offset1:3
	s_add_i32 s19, s8, -1
	s_waitcnt lgkmcnt(1)
	v_fmac_f32_e32 v125, v137, v129
	s_set_gpr_idx_on s18, gpr_idx(SRC0)
	v_mov_b32_e32 v129, v34
	s_set_gpr_idx_off
	v_fmac_f32_e32 v125, v138, v130
	s_set_gpr_idx_on s19, gpr_idx(SRC0)
	v_mov_b32_e32 v130, v34
	s_set_gpr_idx_off
	;; [unrolled: 4-line block ×3, first 2 shown]
	v_fmac_f32_e32 v125, v140, v132
	s_add_u32 s8, s8, 8
	s_waitcnt lgkmcnt(0)
	v_fmac_f32_e32 v125, v141, v133
	v_add_u32_e32 v126, s8, v128
	v_fmac_f32_e32 v125, v129, v134
	s_addc_u32 s9, s9, 0
	s_add_i32 s12, s12, 32
	s_add_i32 s13, s8, -7
	v_cmp_eq_u32_e32 vcc, 29, v126
	v_fmac_f32_e32 v125, v130, v135
	v_mov_b32_e32 v126, s13
	s_or_b64 s[10:11], vcc, s[10:11]
	v_fmac_f32_e32 v125, v131, v136
	s_andn2_b64 exec, exec, s[10:11]
	s_cbranch_execnz .LBB92_89
; %bb.90:
	s_or_b64 exec, exec, s[10:11]
.LBB92_91:
	s_or_b64 exec, exec, s[0:1]
	v_and_b32_e32 v63, 7, v127
	v_cmp_ne_u32_e32 vcc, 0, v63
	s_and_saveexec_b64 s[8:9], vcc
	s_cbranch_execz .LBB92_95
; %bb.92:
	v_mov_b32_e32 v64, 0x80
	v_lshl_add_u32 v64, v126, 2, v64
	v_mov_b32_e32 v65, 0
	s_mov_b64 s[10:11], 0
.LBB92_93:                              ; =>This Inner Loop Header: Depth=1
	v_cmp_eq_u32_e32 vcc, 1, v126
	v_cndmask_b32_e32 v127, v34, v35, vcc
	v_add_u32_e32 v63, -1, v63
	v_cmp_eq_u32_e32 vcc, 2, v126
	v_cndmask_b32_e32 v127, v127, v36, vcc
	v_cmp_eq_u32_e32 vcc, 0, v63
	v_cmp_eq_u32_e64 s[0:1], 3, v126
	v_cndmask_b32_e64 v127, v127, v37, s[0:1]
	s_or_b64 s[10:11], vcc, s[10:11]
	v_cmp_eq_u32_e32 vcc, 4, v126
	v_cndmask_b32_e32 v127, v127, v38, vcc
	v_cmp_eq_u32_e32 vcc, 5, v126
	v_cndmask_b32_e32 v127, v127, v39, vcc
	;; [unrolled: 2-line block ×20, first 2 shown]
	v_cmp_eq_u32_e32 vcc, 24, v126
	ds_read_b32 v128, v64
	v_cndmask_b32_e32 v127, v127, v58, vcc
	v_cmp_eq_u32_e32 vcc, 25, v126
	v_cndmask_b32_e32 v127, v127, v59, vcc
	v_cmp_eq_u32_e32 vcc, 26, v126
	;; [unrolled: 2-line block ×4, first 2 shown]
	v_add_co_u32_e64 v126, s[0:1], 1, v126
	v_cndmask_b32_e32 v127, v127, v62, vcc
	v_add_u32_e32 v64, 4, v64
	v_addc_co_u32_e64 v65, s[0:1], 0, v65, s[0:1]
	s_waitcnt lgkmcnt(0)
	v_fmac_f32_e32 v125, v127, v128
	s_andn2_b64 exec, exec, s[10:11]
	s_cbranch_execnz .LBB92_93
; %bb.94:
	s_or_b64 exec, exec, s[10:11]
.LBB92_95:
	s_or_b64 exec, exec, s[8:9]
.LBB92_96:
	s_or_b64 exec, exec, s[6:7]
	v_mov_b32_e32 v55, 0
	ds_read_b32 v55, v55 offset:84
	s_waitcnt lgkmcnt(0)
	v_mul_f32_e32 v55, v125, v55
.LBB92_97:
	s_or_b64 exec, exec, s[4:5]
	v_cmp_lt_u32_e64 s[0:1], 20, v0
	ds_write_b32 v124, v54
	s_waitcnt lgkmcnt(0)
	; wave barrier
	s_and_saveexec_b64 s[4:5], s[0:1]
	s_cbranch_execz .LBB92_113
; %bb.98:
	s_andn2_b64 vcc, exec, s[62:63]
	s_cbranch_vccnz .LBB92_100
; %bb.99:
	v_cmp_eq_u32_e32 vcc, 1, v0
	v_cndmask_b32_e32 v125, v34, v35, vcc
	v_cmp_eq_u32_e32 vcc, 2, v0
	v_cndmask_b32_e32 v125, v125, v36, vcc
	v_cmp_eq_u32_e32 vcc, 3, v0
	v_cndmask_b32_e32 v125, v125, v37, vcc
	v_cmp_eq_u32_e32 vcc, 4, v0
	v_cndmask_b32_e32 v125, v125, v38, vcc
	v_cmp_eq_u32_e32 vcc, 5, v0
	v_cndmask_b32_e32 v125, v125, v39, vcc
	v_cmp_eq_u32_e32 vcc, 6, v0
	v_cndmask_b32_e32 v125, v125, v40, vcc
	v_cmp_eq_u32_e32 vcc, 7, v0
	v_cndmask_b32_e32 v125, v125, v41, vcc
	v_cmp_eq_u32_e32 vcc, 8, v0
	v_cndmask_b32_e32 v125, v125, v42, vcc
	v_cmp_eq_u32_e32 vcc, 9, v0
	v_cndmask_b32_e32 v125, v125, v43, vcc
	v_cmp_eq_u32_e32 vcc, 10, v0
	v_cndmask_b32_e32 v125, v125, v44, vcc
	v_cmp_eq_u32_e32 vcc, 11, v0
	v_cndmask_b32_e32 v125, v125, v45, vcc
	v_cmp_eq_u32_e32 vcc, 12, v0
	v_cndmask_b32_e32 v125, v125, v46, vcc
	v_cmp_eq_u32_e32 vcc, 13, v0
	v_cndmask_b32_e32 v125, v125, v47, vcc
	v_cmp_eq_u32_e32 vcc, 14, v0
	v_cndmask_b32_e32 v125, v125, v48, vcc
	v_cmp_eq_u32_e32 vcc, 15, v0
	v_cndmask_b32_e32 v125, v125, v49, vcc
	v_cmp_eq_u32_e32 vcc, 16, v0
	v_cndmask_b32_e32 v125, v125, v50, vcc
	v_cmp_eq_u32_e32 vcc, 17, v0
	v_cndmask_b32_e32 v125, v125, v51, vcc
	v_cmp_eq_u32_e32 vcc, 18, v0
	v_cndmask_b32_e32 v125, v125, v52, vcc
	v_cmp_eq_u32_e32 vcc, 19, v0
	v_cndmask_b32_e32 v125, v125, v53, vcc
	v_cmp_eq_u32_e32 vcc, 20, v0
	v_cndmask_b32_e32 v125, v125, v54, vcc
	v_cmp_eq_u32_e32 vcc, 21, v0
	v_cndmask_b32_e32 v125, v125, v55, vcc
	v_cmp_eq_u32_e32 vcc, 22, v0
	v_cndmask_b32_e32 v125, v125, v56, vcc
	v_cmp_eq_u32_e32 vcc, 23, v0
	v_cndmask_b32_e32 v125, v125, v57, vcc
	v_cmp_eq_u32_e32 vcc, 24, v0
	v_cndmask_b32_e32 v125, v125, v58, vcc
	v_cmp_eq_u32_e32 vcc, 25, v0
	ds_read_b32 v126, v124
	v_cndmask_b32_e32 v125, v125, v59, vcc
	v_cmp_eq_u32_e32 vcc, 26, v0
	v_cndmask_b32_e32 v125, v125, v60, vcc
	v_cmp_eq_u32_e32 vcc, 27, v0
	v_cndmask_b32_e32 v125, v125, v61, vcc
	v_cmp_eq_u32_e32 vcc, 28, v0
	v_cndmask_b32_e32 v125, v125, v62, vcc
	s_waitcnt lgkmcnt(0)
	v_mul_f32_e32 v125, v125, v126
	s_cbranch_execz .LBB92_101
	s_branch .LBB92_102
.LBB92_100:
                                        ; implicit-def: $vgpr125
.LBB92_101:
	ds_read_b32 v125, v124
.LBB92_102:
	s_and_saveexec_b64 s[6:7], s[2:3]
	s_cbranch_execz .LBB92_112
; %bb.103:
	v_subrev_u32_e32 v128, 22, v0
	v_mov_b32_e32 v126, 21
	v_subrev_u32_e32 v127, 21, v0
	v_cmp_lt_u32_e32 vcc, 6, v128
	s_and_saveexec_b64 s[2:3], vcc
	s_cbranch_execz .LBB92_107
; %bb.104:
	v_and_b32_e32 v126, -8, v127
	v_sub_u32_e32 v128, 0, v126
	s_mov_b64 s[8:9], 28
	s_movk_i32 s12, 0xd4
	s_mov_b64 s[10:11], 0
.LBB92_105:                             ; =>This Inner Loop Header: Depth=1
	s_add_i32 s13, s8, -7
	v_mov_b32_e32 v126, s12
	s_add_i32 s14, s8, -6
	s_set_gpr_idx_on s13, gpr_idx(SRC0)
	v_mov_b32_e32 v135, v34
	s_set_gpr_idx_off
	ds_read2_b32 v[129:130], v126 offset1:1
	s_add_i32 s15, s8, -5
	s_set_gpr_idx_on s14, gpr_idx(SRC0)
	v_mov_b32_e32 v136, v34
	s_set_gpr_idx_off
	s_add_i32 s16, s8, -4
	s_set_gpr_idx_on s15, gpr_idx(SRC0)
	v_mov_b32_e32 v137, v34
	s_set_gpr_idx_off
	ds_read2_b32 v[131:132], v126 offset0:2 offset1:3
	s_add_i32 s17, s8, -3
	s_set_gpr_idx_on s16, gpr_idx(SRC0)
	v_mov_b32_e32 v138, v34
	s_set_gpr_idx_off
	s_add_i32 s18, s8, -2
	s_set_gpr_idx_on s17, gpr_idx(SRC0)
	v_mov_b32_e32 v139, v34
	s_set_gpr_idx_off
	ds_read2_b32 v[133:134], v126 offset0:4 offset1:5
	s_add_i32 s19, s8, -1
	s_waitcnt lgkmcnt(2)
	v_fmac_f32_e32 v125, v135, v129
	s_set_gpr_idx_on s18, gpr_idx(SRC0)
	v_mov_b32_e32 v135, v34
	s_set_gpr_idx_off
	v_fmac_f32_e32 v125, v136, v130
	s_set_gpr_idx_on s19, gpr_idx(SRC0)
	v_mov_b32_e32 v136, v34
	s_set_gpr_idx_off
	ds_read2_b32 v[129:130], v126 offset0:6 offset1:7
	s_waitcnt lgkmcnt(2)
	v_fmac_f32_e32 v125, v137, v131
	s_set_gpr_idx_on s8, gpr_idx(SRC0)
	v_mov_b32_e32 v131, v34
	s_set_gpr_idx_off
	v_fmac_f32_e32 v125, v138, v132
	s_add_u32 s8, s8, 8
	s_waitcnt lgkmcnt(1)
	v_fmac_f32_e32 v125, v139, v133
	v_add_u32_e32 v126, s8, v128
	v_fmac_f32_e32 v125, v135, v134
	s_addc_u32 s9, s9, 0
	s_add_i32 s12, s12, 32
	s_add_i32 s13, s8, -7
	v_cmp_eq_u32_e32 vcc, 28, v126
	s_waitcnt lgkmcnt(0)
	v_fmac_f32_e32 v125, v136, v129
	v_mov_b32_e32 v126, s13
	s_or_b64 s[10:11], vcc, s[10:11]
	v_fmac_f32_e32 v125, v131, v130
	s_andn2_b64 exec, exec, s[10:11]
	s_cbranch_execnz .LBB92_105
; %bb.106:
	s_or_b64 exec, exec, s[10:11]
.LBB92_107:
	s_or_b64 exec, exec, s[2:3]
	v_and_b32_e32 v63, 7, v127
	v_cmp_ne_u32_e32 vcc, 0, v63
	s_and_saveexec_b64 s[8:9], vcc
	s_cbranch_execz .LBB92_111
; %bb.108:
	v_mov_b32_e32 v64, 0x80
	v_lshl_add_u32 v64, v126, 2, v64
	v_mov_b32_e32 v65, 0
	s_mov_b64 s[10:11], 0
.LBB92_109:                             ; =>This Inner Loop Header: Depth=1
	v_cmp_eq_u32_e32 vcc, 1, v126
	v_cndmask_b32_e32 v127, v34, v35, vcc
	v_add_u32_e32 v63, -1, v63
	v_cmp_eq_u32_e32 vcc, 2, v126
	v_cndmask_b32_e32 v127, v127, v36, vcc
	v_cmp_eq_u32_e32 vcc, 0, v63
	v_cmp_eq_u32_e64 s[2:3], 3, v126
	v_cndmask_b32_e64 v127, v127, v37, s[2:3]
	s_or_b64 s[10:11], vcc, s[10:11]
	v_cmp_eq_u32_e32 vcc, 4, v126
	v_cndmask_b32_e32 v127, v127, v38, vcc
	v_cmp_eq_u32_e32 vcc, 5, v126
	v_cndmask_b32_e32 v127, v127, v39, vcc
	;; [unrolled: 2-line block ×20, first 2 shown]
	v_cmp_eq_u32_e32 vcc, 24, v126
	ds_read_b32 v128, v64
	v_cndmask_b32_e32 v127, v127, v58, vcc
	v_cmp_eq_u32_e32 vcc, 25, v126
	v_cndmask_b32_e32 v127, v127, v59, vcc
	v_cmp_eq_u32_e32 vcc, 26, v126
	;; [unrolled: 2-line block ×4, first 2 shown]
	v_add_co_u32_e64 v126, s[2:3], 1, v126
	v_cndmask_b32_e32 v127, v127, v62, vcc
	v_add_u32_e32 v64, 4, v64
	v_addc_co_u32_e64 v65, s[2:3], 0, v65, s[2:3]
	s_waitcnt lgkmcnt(0)
	v_fmac_f32_e32 v125, v127, v128
	s_andn2_b64 exec, exec, s[10:11]
	s_cbranch_execnz .LBB92_109
; %bb.110:
	s_or_b64 exec, exec, s[10:11]
.LBB92_111:
	s_or_b64 exec, exec, s[8:9]
.LBB92_112:
	s_or_b64 exec, exec, s[6:7]
	v_mov_b32_e32 v54, 0
	ds_read_b32 v54, v54 offset:80
	s_waitcnt lgkmcnt(0)
	v_mul_f32_e32 v54, v125, v54
.LBB92_113:
	s_or_b64 exec, exec, s[4:5]
	v_cmp_lt_u32_e64 s[2:3], 19, v0
	ds_write_b32 v124, v53
	s_waitcnt lgkmcnt(0)
	; wave barrier
	s_and_saveexec_b64 s[4:5], s[2:3]
	s_cbranch_execz .LBB92_129
; %bb.114:
	s_andn2_b64 vcc, exec, s[62:63]
	s_cbranch_vccnz .LBB92_116
; %bb.115:
	v_cmp_eq_u32_e32 vcc, 1, v0
	v_cndmask_b32_e32 v125, v34, v35, vcc
	v_cmp_eq_u32_e32 vcc, 2, v0
	v_cndmask_b32_e32 v125, v125, v36, vcc
	;; [unrolled: 2-line block ×24, first 2 shown]
	v_cmp_eq_u32_e32 vcc, 25, v0
	ds_read_b32 v126, v124
	v_cndmask_b32_e32 v125, v125, v59, vcc
	v_cmp_eq_u32_e32 vcc, 26, v0
	v_cndmask_b32_e32 v125, v125, v60, vcc
	v_cmp_eq_u32_e32 vcc, 27, v0
	;; [unrolled: 2-line block ×3, first 2 shown]
	v_cndmask_b32_e32 v125, v125, v62, vcc
	s_waitcnt lgkmcnt(0)
	v_mul_f32_e32 v125, v125, v126
	s_cbranch_execz .LBB92_117
	s_branch .LBB92_118
.LBB92_116:
                                        ; implicit-def: $vgpr125
.LBB92_117:
	ds_read_b32 v125, v124
.LBB92_118:
	s_and_saveexec_b64 s[6:7], s[0:1]
	s_cbranch_execz .LBB92_128
; %bb.119:
	v_subrev_u32_e32 v128, 21, v0
	v_mov_b32_e32 v126, 20
	v_subrev_u32_e32 v127, 20, v0
	v_cmp_lt_u32_e32 vcc, 6, v128
	s_and_saveexec_b64 s[0:1], vcc
	s_cbranch_execz .LBB92_123
; %bb.120:
	v_and_b32_e32 v126, -8, v127
	v_sub_u32_e32 v128, 0, v126
	s_mov_b64 s[8:9], 27
	s_movk_i32 s12, 0xd0
	s_mov_b64 s[10:11], 0
.LBB92_121:                             ; =>This Inner Loop Header: Depth=1
	s_add_i32 s13, s8, -7
	v_mov_b32_e32 v126, s12
	s_add_i32 s14, s8, -6
	s_set_gpr_idx_on s13, gpr_idx(SRC0)
	v_mov_b32_e32 v137, v34
	s_set_gpr_idx_off
	s_add_i32 s15, s8, -5
	ds_read_b128 v[129:132], v126
	ds_read_b128 v[133:136], v126 offset:16
	s_set_gpr_idx_on s14, gpr_idx(SRC0)
	v_mov_b32_e32 v126, v34
	s_set_gpr_idx_off
	s_add_i32 s16, s8, -4
	s_set_gpr_idx_on s15, gpr_idx(SRC0)
	v_mov_b32_e32 v138, v34
	s_set_gpr_idx_off
	s_add_i32 s17, s8, -3
	;; [unrolled: 4-line block ×4, first 2 shown]
	s_waitcnt lgkmcnt(1)
	v_fmac_f32_e32 v125, v137, v129
	s_set_gpr_idx_on s18, gpr_idx(SRC0)
	v_mov_b32_e32 v129, v34
	s_set_gpr_idx_off
	v_fmac_f32_e32 v125, v126, v130
	s_set_gpr_idx_on s19, gpr_idx(SRC0)
	v_mov_b32_e32 v130, v34
	s_set_gpr_idx_off
	;; [unrolled: 4-line block ×3, first 2 shown]
	v_fmac_f32_e32 v125, v139, v132
	s_add_u32 s8, s8, 8
	s_waitcnt lgkmcnt(0)
	v_fmac_f32_e32 v125, v140, v133
	v_add_u32_e32 v126, s8, v128
	v_fmac_f32_e32 v125, v129, v134
	s_addc_u32 s9, s9, 0
	s_add_i32 s12, s12, 32
	s_add_i32 s13, s8, -7
	v_cmp_eq_u32_e32 vcc, 27, v126
	v_fmac_f32_e32 v125, v130, v135
	v_mov_b32_e32 v126, s13
	s_or_b64 s[10:11], vcc, s[10:11]
	v_fmac_f32_e32 v125, v131, v136
	s_andn2_b64 exec, exec, s[10:11]
	s_cbranch_execnz .LBB92_121
; %bb.122:
	s_or_b64 exec, exec, s[10:11]
.LBB92_123:
	s_or_b64 exec, exec, s[0:1]
	v_and_b32_e32 v63, 7, v127
	v_cmp_ne_u32_e32 vcc, 0, v63
	s_and_saveexec_b64 s[8:9], vcc
	s_cbranch_execz .LBB92_127
; %bb.124:
	v_mov_b32_e32 v64, 0x80
	v_lshl_add_u32 v64, v126, 2, v64
	v_mov_b32_e32 v65, 0
	s_mov_b64 s[10:11], 0
.LBB92_125:                             ; =>This Inner Loop Header: Depth=1
	v_cmp_eq_u32_e32 vcc, 1, v126
	v_cndmask_b32_e32 v127, v34, v35, vcc
	v_add_u32_e32 v63, -1, v63
	v_cmp_eq_u32_e32 vcc, 2, v126
	v_cndmask_b32_e32 v127, v127, v36, vcc
	v_cmp_eq_u32_e32 vcc, 0, v63
	v_cmp_eq_u32_e64 s[0:1], 3, v126
	v_cndmask_b32_e64 v127, v127, v37, s[0:1]
	s_or_b64 s[10:11], vcc, s[10:11]
	v_cmp_eq_u32_e32 vcc, 4, v126
	v_cndmask_b32_e32 v127, v127, v38, vcc
	v_cmp_eq_u32_e32 vcc, 5, v126
	v_cndmask_b32_e32 v127, v127, v39, vcc
	;; [unrolled: 2-line block ×20, first 2 shown]
	v_cmp_eq_u32_e32 vcc, 24, v126
	ds_read_b32 v128, v64
	v_cndmask_b32_e32 v127, v127, v58, vcc
	v_cmp_eq_u32_e32 vcc, 25, v126
	v_cndmask_b32_e32 v127, v127, v59, vcc
	v_cmp_eq_u32_e32 vcc, 26, v126
	;; [unrolled: 2-line block ×4, first 2 shown]
	v_add_co_u32_e64 v126, s[0:1], 1, v126
	v_cndmask_b32_e32 v127, v127, v62, vcc
	v_add_u32_e32 v64, 4, v64
	v_addc_co_u32_e64 v65, s[0:1], 0, v65, s[0:1]
	s_waitcnt lgkmcnt(0)
	v_fmac_f32_e32 v125, v127, v128
	s_andn2_b64 exec, exec, s[10:11]
	s_cbranch_execnz .LBB92_125
; %bb.126:
	s_or_b64 exec, exec, s[10:11]
.LBB92_127:
	s_or_b64 exec, exec, s[8:9]
.LBB92_128:
	s_or_b64 exec, exec, s[6:7]
	v_mov_b32_e32 v53, 0
	ds_read_b32 v53, v53 offset:76
	s_waitcnt lgkmcnt(0)
	v_mul_f32_e32 v53, v125, v53
.LBB92_129:
	s_or_b64 exec, exec, s[4:5]
	v_cmp_lt_u32_e64 s[0:1], 18, v0
	ds_write_b32 v124, v52
	s_waitcnt lgkmcnt(0)
	; wave barrier
	s_and_saveexec_b64 s[4:5], s[0:1]
	s_cbranch_execz .LBB92_145
; %bb.130:
	s_andn2_b64 vcc, exec, s[62:63]
	s_cbranch_vccnz .LBB92_132
; %bb.131:
	v_cmp_eq_u32_e32 vcc, 1, v0
	v_cndmask_b32_e32 v125, v34, v35, vcc
	v_cmp_eq_u32_e32 vcc, 2, v0
	v_cndmask_b32_e32 v125, v125, v36, vcc
	;; [unrolled: 2-line block ×24, first 2 shown]
	v_cmp_eq_u32_e32 vcc, 25, v0
	ds_read_b32 v126, v124
	v_cndmask_b32_e32 v125, v125, v59, vcc
	v_cmp_eq_u32_e32 vcc, 26, v0
	v_cndmask_b32_e32 v125, v125, v60, vcc
	v_cmp_eq_u32_e32 vcc, 27, v0
	;; [unrolled: 2-line block ×3, first 2 shown]
	v_cndmask_b32_e32 v125, v125, v62, vcc
	s_waitcnt lgkmcnt(0)
	v_mul_f32_e32 v125, v125, v126
	s_cbranch_execz .LBB92_133
	s_branch .LBB92_134
.LBB92_132:
                                        ; implicit-def: $vgpr125
.LBB92_133:
	ds_read_b32 v125, v124
.LBB92_134:
	s_and_saveexec_b64 s[6:7], s[2:3]
	s_cbranch_execz .LBB92_144
; %bb.135:
	v_subrev_u32_e32 v128, 20, v0
	v_mov_b32_e32 v126, 19
	v_subrev_u32_e32 v127, 19, v0
	v_cmp_lt_u32_e32 vcc, 6, v128
	s_and_saveexec_b64 s[2:3], vcc
	s_cbranch_execz .LBB92_139
; %bb.136:
	v_and_b32_e32 v126, -8, v127
	v_sub_u32_e32 v128, 0, v126
	s_mov_b64 s[8:9], 26
	s_movk_i32 s12, 0xcc
	s_mov_b64 s[10:11], 0
.LBB92_137:                             ; =>This Inner Loop Header: Depth=1
	s_add_i32 s13, s8, -7
	v_mov_b32_e32 v126, s12
	s_add_i32 s14, s8, -6
	s_set_gpr_idx_on s13, gpr_idx(SRC0)
	v_mov_b32_e32 v135, v34
	s_set_gpr_idx_off
	ds_read2_b32 v[129:130], v126 offset1:1
	s_add_i32 s15, s8, -5
	s_set_gpr_idx_on s14, gpr_idx(SRC0)
	v_mov_b32_e32 v136, v34
	s_set_gpr_idx_off
	s_add_i32 s16, s8, -4
	s_set_gpr_idx_on s15, gpr_idx(SRC0)
	v_mov_b32_e32 v137, v34
	s_set_gpr_idx_off
	ds_read2_b32 v[131:132], v126 offset0:2 offset1:3
	s_add_i32 s17, s8, -3
	s_set_gpr_idx_on s16, gpr_idx(SRC0)
	v_mov_b32_e32 v138, v34
	s_set_gpr_idx_off
	s_add_i32 s18, s8, -2
	s_set_gpr_idx_on s17, gpr_idx(SRC0)
	v_mov_b32_e32 v139, v34
	s_set_gpr_idx_off
	ds_read2_b32 v[133:134], v126 offset0:4 offset1:5
	s_add_i32 s19, s8, -1
	s_waitcnt lgkmcnt(2)
	v_fmac_f32_e32 v125, v135, v129
	s_set_gpr_idx_on s18, gpr_idx(SRC0)
	v_mov_b32_e32 v135, v34
	s_set_gpr_idx_off
	v_fmac_f32_e32 v125, v136, v130
	s_set_gpr_idx_on s19, gpr_idx(SRC0)
	v_mov_b32_e32 v136, v34
	s_set_gpr_idx_off
	ds_read2_b32 v[129:130], v126 offset0:6 offset1:7
	s_waitcnt lgkmcnt(2)
	v_fmac_f32_e32 v125, v137, v131
	s_set_gpr_idx_on s8, gpr_idx(SRC0)
	v_mov_b32_e32 v131, v34
	s_set_gpr_idx_off
	v_fmac_f32_e32 v125, v138, v132
	s_add_u32 s8, s8, 8
	s_waitcnt lgkmcnt(1)
	v_fmac_f32_e32 v125, v139, v133
	v_add_u32_e32 v126, s8, v128
	v_fmac_f32_e32 v125, v135, v134
	s_addc_u32 s9, s9, 0
	s_add_i32 s12, s12, 32
	s_add_i32 s13, s8, -7
	v_cmp_eq_u32_e32 vcc, 26, v126
	s_waitcnt lgkmcnt(0)
	v_fmac_f32_e32 v125, v136, v129
	v_mov_b32_e32 v126, s13
	s_or_b64 s[10:11], vcc, s[10:11]
	v_fmac_f32_e32 v125, v131, v130
	s_andn2_b64 exec, exec, s[10:11]
	s_cbranch_execnz .LBB92_137
; %bb.138:
	s_or_b64 exec, exec, s[10:11]
.LBB92_139:
	s_or_b64 exec, exec, s[2:3]
	v_and_b32_e32 v63, 7, v127
	v_cmp_ne_u32_e32 vcc, 0, v63
	s_and_saveexec_b64 s[8:9], vcc
	s_cbranch_execz .LBB92_143
; %bb.140:
	v_mov_b32_e32 v64, 0x80
	v_lshl_add_u32 v64, v126, 2, v64
	v_mov_b32_e32 v65, 0
	s_mov_b64 s[10:11], 0
.LBB92_141:                             ; =>This Inner Loop Header: Depth=1
	v_cmp_eq_u32_e32 vcc, 1, v126
	v_cndmask_b32_e32 v127, v34, v35, vcc
	v_add_u32_e32 v63, -1, v63
	v_cmp_eq_u32_e32 vcc, 2, v126
	v_cndmask_b32_e32 v127, v127, v36, vcc
	v_cmp_eq_u32_e32 vcc, 0, v63
	v_cmp_eq_u32_e64 s[2:3], 3, v126
	v_cndmask_b32_e64 v127, v127, v37, s[2:3]
	s_or_b64 s[10:11], vcc, s[10:11]
	v_cmp_eq_u32_e32 vcc, 4, v126
	v_cndmask_b32_e32 v127, v127, v38, vcc
	v_cmp_eq_u32_e32 vcc, 5, v126
	v_cndmask_b32_e32 v127, v127, v39, vcc
	;; [unrolled: 2-line block ×20, first 2 shown]
	v_cmp_eq_u32_e32 vcc, 24, v126
	ds_read_b32 v128, v64
	v_cndmask_b32_e32 v127, v127, v58, vcc
	v_cmp_eq_u32_e32 vcc, 25, v126
	v_cndmask_b32_e32 v127, v127, v59, vcc
	v_cmp_eq_u32_e32 vcc, 26, v126
	;; [unrolled: 2-line block ×4, first 2 shown]
	v_add_co_u32_e64 v126, s[2:3], 1, v126
	v_cndmask_b32_e32 v127, v127, v62, vcc
	v_add_u32_e32 v64, 4, v64
	v_addc_co_u32_e64 v65, s[2:3], 0, v65, s[2:3]
	s_waitcnt lgkmcnt(0)
	v_fmac_f32_e32 v125, v127, v128
	s_andn2_b64 exec, exec, s[10:11]
	s_cbranch_execnz .LBB92_141
; %bb.142:
	s_or_b64 exec, exec, s[10:11]
.LBB92_143:
	s_or_b64 exec, exec, s[8:9]
.LBB92_144:
	s_or_b64 exec, exec, s[6:7]
	v_mov_b32_e32 v52, 0
	ds_read_b32 v52, v52 offset:72
	s_waitcnt lgkmcnt(0)
	v_mul_f32_e32 v52, v125, v52
.LBB92_145:
	s_or_b64 exec, exec, s[4:5]
	v_cmp_lt_u32_e64 s[2:3], 17, v0
	ds_write_b32 v124, v51
	s_waitcnt lgkmcnt(0)
	; wave barrier
	s_and_saveexec_b64 s[4:5], s[2:3]
	s_cbranch_execz .LBB92_161
; %bb.146:
	s_andn2_b64 vcc, exec, s[62:63]
	s_cbranch_vccnz .LBB92_148
; %bb.147:
	v_cmp_eq_u32_e32 vcc, 1, v0
	v_cndmask_b32_e32 v125, v34, v35, vcc
	v_cmp_eq_u32_e32 vcc, 2, v0
	v_cndmask_b32_e32 v125, v125, v36, vcc
	;; [unrolled: 2-line block ×24, first 2 shown]
	v_cmp_eq_u32_e32 vcc, 25, v0
	ds_read_b32 v126, v124
	v_cndmask_b32_e32 v125, v125, v59, vcc
	v_cmp_eq_u32_e32 vcc, 26, v0
	v_cndmask_b32_e32 v125, v125, v60, vcc
	v_cmp_eq_u32_e32 vcc, 27, v0
	;; [unrolled: 2-line block ×3, first 2 shown]
	v_cndmask_b32_e32 v125, v125, v62, vcc
	s_waitcnt lgkmcnt(0)
	v_mul_f32_e32 v125, v125, v126
	s_cbranch_execz .LBB92_149
	s_branch .LBB92_150
.LBB92_148:
                                        ; implicit-def: $vgpr125
.LBB92_149:
	ds_read_b32 v125, v124
.LBB92_150:
	s_and_saveexec_b64 s[6:7], s[0:1]
	s_cbranch_execz .LBB92_160
; %bb.151:
	v_subrev_u32_e32 v128, 19, v0
	v_mov_b32_e32 v126, 18
	v_subrev_u32_e32 v127, 18, v0
	v_cmp_lt_u32_e32 vcc, 6, v128
	s_and_saveexec_b64 s[0:1], vcc
	s_cbranch_execz .LBB92_155
; %bb.152:
	v_and_b32_e32 v126, -8, v127
	v_sub_u32_e32 v128, 0, v126
	s_mov_b64 s[8:9], 25
	s_movk_i32 s12, 0xc8
	s_mov_b64 s[10:11], 0
.LBB92_153:                             ; =>This Inner Loop Header: Depth=1
	s_add_i32 s13, s8, -7
	v_mov_b32_e32 v126, s12
	s_add_i32 s14, s8, -6
	s_set_gpr_idx_on s13, gpr_idx(SRC0)
	v_mov_b32_e32 v137, v34
	s_set_gpr_idx_off
	ds_read2_b64 v[129:132], v126 offset1:1
	s_add_i32 s15, s8, -5
	s_set_gpr_idx_on s14, gpr_idx(SRC0)
	v_mov_b32_e32 v138, v34
	s_set_gpr_idx_off
	s_add_i32 s16, s8, -4
	s_set_gpr_idx_on s15, gpr_idx(SRC0)
	v_mov_b32_e32 v139, v34
	s_set_gpr_idx_off
	;; [unrolled: 4-line block ×4, first 2 shown]
	ds_read2_b64 v[133:136], v126 offset0:2 offset1:3
	s_add_i32 s19, s8, -1
	s_waitcnt lgkmcnt(1)
	v_fmac_f32_e32 v125, v137, v129
	s_set_gpr_idx_on s18, gpr_idx(SRC0)
	v_mov_b32_e32 v129, v34
	s_set_gpr_idx_off
	v_fmac_f32_e32 v125, v138, v130
	s_set_gpr_idx_on s19, gpr_idx(SRC0)
	v_mov_b32_e32 v130, v34
	s_set_gpr_idx_off
	;; [unrolled: 4-line block ×3, first 2 shown]
	v_fmac_f32_e32 v125, v140, v132
	s_add_u32 s8, s8, 8
	s_waitcnt lgkmcnt(0)
	v_fmac_f32_e32 v125, v141, v133
	v_add_u32_e32 v126, s8, v128
	v_fmac_f32_e32 v125, v129, v134
	s_addc_u32 s9, s9, 0
	s_add_i32 s12, s12, 32
	s_add_i32 s13, s8, -7
	v_cmp_eq_u32_e32 vcc, 25, v126
	v_fmac_f32_e32 v125, v130, v135
	v_mov_b32_e32 v126, s13
	s_or_b64 s[10:11], vcc, s[10:11]
	v_fmac_f32_e32 v125, v131, v136
	s_andn2_b64 exec, exec, s[10:11]
	s_cbranch_execnz .LBB92_153
; %bb.154:
	s_or_b64 exec, exec, s[10:11]
.LBB92_155:
	s_or_b64 exec, exec, s[0:1]
	v_and_b32_e32 v63, 7, v127
	v_cmp_ne_u32_e32 vcc, 0, v63
	s_and_saveexec_b64 s[8:9], vcc
	s_cbranch_execz .LBB92_159
; %bb.156:
	v_mov_b32_e32 v64, 0x80
	v_lshl_add_u32 v64, v126, 2, v64
	v_mov_b32_e32 v65, 0
	s_mov_b64 s[10:11], 0
.LBB92_157:                             ; =>This Inner Loop Header: Depth=1
	v_cmp_eq_u32_e32 vcc, 1, v126
	v_cndmask_b32_e32 v127, v34, v35, vcc
	v_add_u32_e32 v63, -1, v63
	v_cmp_eq_u32_e32 vcc, 2, v126
	v_cndmask_b32_e32 v127, v127, v36, vcc
	v_cmp_eq_u32_e32 vcc, 0, v63
	v_cmp_eq_u32_e64 s[0:1], 3, v126
	v_cndmask_b32_e64 v127, v127, v37, s[0:1]
	s_or_b64 s[10:11], vcc, s[10:11]
	v_cmp_eq_u32_e32 vcc, 4, v126
	v_cndmask_b32_e32 v127, v127, v38, vcc
	v_cmp_eq_u32_e32 vcc, 5, v126
	v_cndmask_b32_e32 v127, v127, v39, vcc
	;; [unrolled: 2-line block ×20, first 2 shown]
	v_cmp_eq_u32_e32 vcc, 24, v126
	ds_read_b32 v128, v64
	v_cndmask_b32_e32 v127, v127, v58, vcc
	v_cmp_eq_u32_e32 vcc, 25, v126
	v_cndmask_b32_e32 v127, v127, v59, vcc
	v_cmp_eq_u32_e32 vcc, 26, v126
	;; [unrolled: 2-line block ×4, first 2 shown]
	v_add_co_u32_e64 v126, s[0:1], 1, v126
	v_cndmask_b32_e32 v127, v127, v62, vcc
	v_add_u32_e32 v64, 4, v64
	v_addc_co_u32_e64 v65, s[0:1], 0, v65, s[0:1]
	s_waitcnt lgkmcnt(0)
	v_fmac_f32_e32 v125, v127, v128
	s_andn2_b64 exec, exec, s[10:11]
	s_cbranch_execnz .LBB92_157
; %bb.158:
	s_or_b64 exec, exec, s[10:11]
.LBB92_159:
	s_or_b64 exec, exec, s[8:9]
.LBB92_160:
	s_or_b64 exec, exec, s[6:7]
	v_mov_b32_e32 v51, 0
	ds_read_b32 v51, v51 offset:68
	s_waitcnt lgkmcnt(0)
	v_mul_f32_e32 v51, v125, v51
.LBB92_161:
	s_or_b64 exec, exec, s[4:5]
	v_cmp_lt_u32_e64 s[0:1], 16, v0
	ds_write_b32 v124, v50
	s_waitcnt lgkmcnt(0)
	; wave barrier
	s_and_saveexec_b64 s[4:5], s[0:1]
	s_cbranch_execz .LBB92_177
; %bb.162:
	s_andn2_b64 vcc, exec, s[62:63]
	s_cbranch_vccnz .LBB92_164
; %bb.163:
	v_cmp_eq_u32_e32 vcc, 1, v0
	v_cndmask_b32_e32 v125, v34, v35, vcc
	v_cmp_eq_u32_e32 vcc, 2, v0
	v_cndmask_b32_e32 v125, v125, v36, vcc
	;; [unrolled: 2-line block ×24, first 2 shown]
	v_cmp_eq_u32_e32 vcc, 25, v0
	ds_read_b32 v126, v124
	v_cndmask_b32_e32 v125, v125, v59, vcc
	v_cmp_eq_u32_e32 vcc, 26, v0
	v_cndmask_b32_e32 v125, v125, v60, vcc
	v_cmp_eq_u32_e32 vcc, 27, v0
	;; [unrolled: 2-line block ×3, first 2 shown]
	v_cndmask_b32_e32 v125, v125, v62, vcc
	s_waitcnt lgkmcnt(0)
	v_mul_f32_e32 v125, v125, v126
	s_cbranch_execz .LBB92_165
	s_branch .LBB92_166
.LBB92_164:
                                        ; implicit-def: $vgpr125
.LBB92_165:
	ds_read_b32 v125, v124
.LBB92_166:
	s_and_saveexec_b64 s[6:7], s[2:3]
	s_cbranch_execz .LBB92_176
; %bb.167:
	v_subrev_u32_e32 v128, 18, v0
	v_mov_b32_e32 v126, 17
	v_subrev_u32_e32 v127, 17, v0
	v_cmp_lt_u32_e32 vcc, 6, v128
	s_and_saveexec_b64 s[2:3], vcc
	s_cbranch_execz .LBB92_171
; %bb.168:
	v_and_b32_e32 v126, -8, v127
	v_sub_u32_e32 v128, 0, v126
	s_mov_b64 s[8:9], 24
	s_movk_i32 s12, 0xc4
	s_mov_b64 s[10:11], 0
.LBB92_169:                             ; =>This Inner Loop Header: Depth=1
	s_add_i32 s13, s8, -7
	v_mov_b32_e32 v126, s12
	s_add_i32 s14, s8, -6
	s_set_gpr_idx_on s13, gpr_idx(SRC0)
	v_mov_b32_e32 v135, v34
	s_set_gpr_idx_off
	ds_read2_b32 v[129:130], v126 offset1:1
	s_add_i32 s15, s8, -5
	s_set_gpr_idx_on s14, gpr_idx(SRC0)
	v_mov_b32_e32 v136, v34
	s_set_gpr_idx_off
	s_add_i32 s16, s8, -4
	s_set_gpr_idx_on s15, gpr_idx(SRC0)
	v_mov_b32_e32 v137, v34
	s_set_gpr_idx_off
	ds_read2_b32 v[131:132], v126 offset0:2 offset1:3
	s_add_i32 s17, s8, -3
	s_set_gpr_idx_on s16, gpr_idx(SRC0)
	v_mov_b32_e32 v138, v34
	s_set_gpr_idx_off
	s_add_i32 s18, s8, -2
	s_set_gpr_idx_on s17, gpr_idx(SRC0)
	v_mov_b32_e32 v139, v34
	s_set_gpr_idx_off
	ds_read2_b32 v[133:134], v126 offset0:4 offset1:5
	s_add_i32 s19, s8, -1
	s_waitcnt lgkmcnt(2)
	v_fmac_f32_e32 v125, v135, v129
	s_set_gpr_idx_on s18, gpr_idx(SRC0)
	v_mov_b32_e32 v135, v34
	s_set_gpr_idx_off
	v_fmac_f32_e32 v125, v136, v130
	s_set_gpr_idx_on s19, gpr_idx(SRC0)
	v_mov_b32_e32 v136, v34
	s_set_gpr_idx_off
	ds_read2_b32 v[129:130], v126 offset0:6 offset1:7
	s_waitcnt lgkmcnt(2)
	v_fmac_f32_e32 v125, v137, v131
	s_set_gpr_idx_on s8, gpr_idx(SRC0)
	v_mov_b32_e32 v131, v34
	s_set_gpr_idx_off
	v_fmac_f32_e32 v125, v138, v132
	s_add_u32 s8, s8, 8
	s_waitcnt lgkmcnt(1)
	v_fmac_f32_e32 v125, v139, v133
	v_add_u32_e32 v126, s8, v128
	v_fmac_f32_e32 v125, v135, v134
	s_addc_u32 s9, s9, 0
	s_add_i32 s12, s12, 32
	s_add_i32 s13, s8, -7
	v_cmp_eq_u32_e32 vcc, 24, v126
	s_waitcnt lgkmcnt(0)
	v_fmac_f32_e32 v125, v136, v129
	v_mov_b32_e32 v126, s13
	s_or_b64 s[10:11], vcc, s[10:11]
	v_fmac_f32_e32 v125, v131, v130
	s_andn2_b64 exec, exec, s[10:11]
	s_cbranch_execnz .LBB92_169
; %bb.170:
	s_or_b64 exec, exec, s[10:11]
.LBB92_171:
	s_or_b64 exec, exec, s[2:3]
	v_and_b32_e32 v63, 7, v127
	v_cmp_ne_u32_e32 vcc, 0, v63
	s_and_saveexec_b64 s[8:9], vcc
	s_cbranch_execz .LBB92_175
; %bb.172:
	v_mov_b32_e32 v64, 0x80
	v_lshl_add_u32 v64, v126, 2, v64
	v_mov_b32_e32 v65, 0
	s_mov_b64 s[10:11], 0
.LBB92_173:                             ; =>This Inner Loop Header: Depth=1
	v_cmp_eq_u32_e32 vcc, 1, v126
	v_cndmask_b32_e32 v127, v34, v35, vcc
	v_add_u32_e32 v63, -1, v63
	v_cmp_eq_u32_e32 vcc, 2, v126
	v_cndmask_b32_e32 v127, v127, v36, vcc
	v_cmp_eq_u32_e32 vcc, 0, v63
	v_cmp_eq_u32_e64 s[2:3], 3, v126
	v_cndmask_b32_e64 v127, v127, v37, s[2:3]
	s_or_b64 s[10:11], vcc, s[10:11]
	v_cmp_eq_u32_e32 vcc, 4, v126
	v_cndmask_b32_e32 v127, v127, v38, vcc
	v_cmp_eq_u32_e32 vcc, 5, v126
	v_cndmask_b32_e32 v127, v127, v39, vcc
	;; [unrolled: 2-line block ×20, first 2 shown]
	v_cmp_eq_u32_e32 vcc, 24, v126
	ds_read_b32 v128, v64
	v_cndmask_b32_e32 v127, v127, v58, vcc
	v_cmp_eq_u32_e32 vcc, 25, v126
	v_cndmask_b32_e32 v127, v127, v59, vcc
	v_cmp_eq_u32_e32 vcc, 26, v126
	;; [unrolled: 2-line block ×4, first 2 shown]
	v_add_co_u32_e64 v126, s[2:3], 1, v126
	v_cndmask_b32_e32 v127, v127, v62, vcc
	v_add_u32_e32 v64, 4, v64
	v_addc_co_u32_e64 v65, s[2:3], 0, v65, s[2:3]
	s_waitcnt lgkmcnt(0)
	v_fmac_f32_e32 v125, v127, v128
	s_andn2_b64 exec, exec, s[10:11]
	s_cbranch_execnz .LBB92_173
; %bb.174:
	s_or_b64 exec, exec, s[10:11]
.LBB92_175:
	s_or_b64 exec, exec, s[8:9]
.LBB92_176:
	s_or_b64 exec, exec, s[6:7]
	v_mov_b32_e32 v50, 0
	ds_read_b32 v50, v50 offset:64
	s_waitcnt lgkmcnt(0)
	v_mul_f32_e32 v50, v125, v50
.LBB92_177:
	s_or_b64 exec, exec, s[4:5]
	v_cmp_lt_u32_e64 s[2:3], 15, v0
	ds_write_b32 v124, v49
	s_waitcnt lgkmcnt(0)
	; wave barrier
	s_and_saveexec_b64 s[4:5], s[2:3]
	s_cbranch_execz .LBB92_193
; %bb.178:
	s_andn2_b64 vcc, exec, s[62:63]
	s_cbranch_vccnz .LBB92_180
; %bb.179:
	v_cmp_eq_u32_e32 vcc, 1, v0
	v_cndmask_b32_e32 v125, v34, v35, vcc
	v_cmp_eq_u32_e32 vcc, 2, v0
	v_cndmask_b32_e32 v125, v125, v36, vcc
	;; [unrolled: 2-line block ×24, first 2 shown]
	v_cmp_eq_u32_e32 vcc, 25, v0
	ds_read_b32 v126, v124
	v_cndmask_b32_e32 v125, v125, v59, vcc
	v_cmp_eq_u32_e32 vcc, 26, v0
	v_cndmask_b32_e32 v125, v125, v60, vcc
	v_cmp_eq_u32_e32 vcc, 27, v0
	;; [unrolled: 2-line block ×3, first 2 shown]
	v_cndmask_b32_e32 v125, v125, v62, vcc
	s_waitcnt lgkmcnt(0)
	v_mul_f32_e32 v125, v125, v126
	s_cbranch_execz .LBB92_181
	s_branch .LBB92_182
.LBB92_180:
                                        ; implicit-def: $vgpr125
.LBB92_181:
	ds_read_b32 v125, v124
.LBB92_182:
	s_and_saveexec_b64 s[6:7], s[0:1]
	s_cbranch_execz .LBB92_192
; %bb.183:
	v_subrev_u32_e32 v126, 17, v0
	v_cmp_lt_u32_e32 vcc, 6, v126
	v_mov_b32_e32 v126, 16
	s_and_saveexec_b64 s[0:1], vcc
	s_cbranch_execz .LBB92_187
; %bb.184:
	v_and_b32_e32 v126, 24, v0
	v_sub_u32_e32 v127, 0, v126
	s_mov_b64 s[8:9], 23
	s_movk_i32 s12, 0xc0
	s_mov_b64 s[10:11], 0
.LBB92_185:                             ; =>This Inner Loop Header: Depth=1
	s_add_i32 s13, s8, -7
	v_mov_b32_e32 v126, s12
	s_add_i32 s14, s8, -6
	s_set_gpr_idx_on s13, gpr_idx(SRC0)
	v_mov_b32_e32 v136, v34
	s_set_gpr_idx_off
	s_add_i32 s15, s8, -5
	ds_read_b128 v[128:131], v126
	ds_read_b128 v[132:135], v126 offset:16
	s_set_gpr_idx_on s14, gpr_idx(SRC0)
	v_mov_b32_e32 v126, v34
	s_set_gpr_idx_off
	s_add_i32 s16, s8, -4
	s_set_gpr_idx_on s15, gpr_idx(SRC0)
	v_mov_b32_e32 v137, v34
	s_set_gpr_idx_off
	s_add_i32 s17, s8, -3
	;; [unrolled: 4-line block ×4, first 2 shown]
	s_waitcnt lgkmcnt(1)
	v_fmac_f32_e32 v125, v136, v128
	s_set_gpr_idx_on s18, gpr_idx(SRC0)
	v_mov_b32_e32 v128, v34
	s_set_gpr_idx_off
	v_fmac_f32_e32 v125, v126, v129
	s_set_gpr_idx_on s19, gpr_idx(SRC0)
	v_mov_b32_e32 v129, v34
	s_set_gpr_idx_off
	;; [unrolled: 4-line block ×3, first 2 shown]
	v_fmac_f32_e32 v125, v138, v131
	s_add_u32 s8, s8, 8
	s_waitcnt lgkmcnt(0)
	v_fmac_f32_e32 v125, v139, v132
	v_add_u32_e32 v126, s8, v127
	v_fmac_f32_e32 v125, v128, v133
	s_addc_u32 s9, s9, 0
	s_add_i32 s12, s12, 32
	s_add_i32 s13, s8, -7
	v_cmp_eq_u32_e32 vcc, 7, v126
	v_fmac_f32_e32 v125, v129, v134
	v_mov_b32_e32 v126, s13
	s_or_b64 s[10:11], vcc, s[10:11]
	v_fmac_f32_e32 v125, v130, v135
	s_andn2_b64 exec, exec, s[10:11]
	s_cbranch_execnz .LBB92_185
; %bb.186:
	s_or_b64 exec, exec, s[10:11]
.LBB92_187:
	s_or_b64 exec, exec, s[0:1]
	v_and_b32_e32 v63, 7, v0
	v_cmp_ne_u32_e32 vcc, 0, v63
	s_and_saveexec_b64 s[8:9], vcc
	s_cbranch_execz .LBB92_191
; %bb.188:
	v_mov_b32_e32 v64, 0x80
	v_lshl_add_u32 v64, v126, 2, v64
	v_mov_b32_e32 v65, 0
	s_mov_b64 s[10:11], 0
.LBB92_189:                             ; =>This Inner Loop Header: Depth=1
	v_cmp_eq_u32_e32 vcc, 1, v126
	v_cndmask_b32_e32 v127, v34, v35, vcc
	v_add_u32_e32 v63, -1, v63
	v_cmp_eq_u32_e32 vcc, 2, v126
	v_cndmask_b32_e32 v127, v127, v36, vcc
	v_cmp_eq_u32_e32 vcc, 0, v63
	v_cmp_eq_u32_e64 s[0:1], 3, v126
	v_cndmask_b32_e64 v127, v127, v37, s[0:1]
	s_or_b64 s[10:11], vcc, s[10:11]
	v_cmp_eq_u32_e32 vcc, 4, v126
	v_cndmask_b32_e32 v127, v127, v38, vcc
	v_cmp_eq_u32_e32 vcc, 5, v126
	v_cndmask_b32_e32 v127, v127, v39, vcc
	;; [unrolled: 2-line block ×20, first 2 shown]
	v_cmp_eq_u32_e32 vcc, 24, v126
	ds_read_b32 v128, v64
	v_cndmask_b32_e32 v127, v127, v58, vcc
	v_cmp_eq_u32_e32 vcc, 25, v126
	v_cndmask_b32_e32 v127, v127, v59, vcc
	v_cmp_eq_u32_e32 vcc, 26, v126
	;; [unrolled: 2-line block ×4, first 2 shown]
	v_add_co_u32_e64 v126, s[0:1], 1, v126
	v_cndmask_b32_e32 v127, v127, v62, vcc
	v_add_u32_e32 v64, 4, v64
	v_addc_co_u32_e64 v65, s[0:1], 0, v65, s[0:1]
	s_waitcnt lgkmcnt(0)
	v_fmac_f32_e32 v125, v127, v128
	s_andn2_b64 exec, exec, s[10:11]
	s_cbranch_execnz .LBB92_189
; %bb.190:
	s_or_b64 exec, exec, s[10:11]
.LBB92_191:
	s_or_b64 exec, exec, s[8:9]
.LBB92_192:
	s_or_b64 exec, exec, s[6:7]
	v_mov_b32_e32 v49, 0
	ds_read_b32 v49, v49 offset:60
	s_waitcnt lgkmcnt(0)
	v_mul_f32_e32 v49, v125, v49
.LBB92_193:
	s_or_b64 exec, exec, s[4:5]
	v_cmp_lt_u32_e64 s[0:1], 14, v0
	ds_write_b32 v124, v48
	s_waitcnt lgkmcnt(0)
	; wave barrier
	s_and_saveexec_b64 s[4:5], s[0:1]
	s_cbranch_execz .LBB92_209
; %bb.194:
	s_andn2_b64 vcc, exec, s[62:63]
	s_cbranch_vccnz .LBB92_196
; %bb.195:
	v_cmp_eq_u32_e32 vcc, 1, v0
	v_cndmask_b32_e32 v125, v34, v35, vcc
	v_cmp_eq_u32_e32 vcc, 2, v0
	v_cndmask_b32_e32 v125, v125, v36, vcc
	;; [unrolled: 2-line block ×24, first 2 shown]
	v_cmp_eq_u32_e32 vcc, 25, v0
	ds_read_b32 v126, v124
	v_cndmask_b32_e32 v125, v125, v59, vcc
	v_cmp_eq_u32_e32 vcc, 26, v0
	v_cndmask_b32_e32 v125, v125, v60, vcc
	v_cmp_eq_u32_e32 vcc, 27, v0
	;; [unrolled: 2-line block ×3, first 2 shown]
	v_cndmask_b32_e32 v125, v125, v62, vcc
	s_waitcnt lgkmcnt(0)
	v_mul_f32_e32 v125, v125, v126
	s_cbranch_execz .LBB92_197
	s_branch .LBB92_198
.LBB92_196:
                                        ; implicit-def: $vgpr125
.LBB92_197:
	ds_read_b32 v125, v124
.LBB92_198:
	s_and_saveexec_b64 s[6:7], s[2:3]
	s_cbranch_execz .LBB92_208
; %bb.199:
	v_add_u32_e32 v126, -16, v0
	v_add_u32_e32 v127, -15, v0
	v_cmp_lt_u32_e32 vcc, 6, v126
	v_mov_b32_e32 v126, 15
	s_and_saveexec_b64 s[2:3], vcc
	s_cbranch_execz .LBB92_203
; %bb.200:
	v_and_b32_e32 v126, -8, v127
	v_sub_u32_e32 v128, 0, v126
	s_mov_b64 s[8:9], 22
	s_movk_i32 s12, 0xbc
	s_mov_b64 s[10:11], 0
.LBB92_201:                             ; =>This Inner Loop Header: Depth=1
	s_add_i32 s13, s8, -7
	v_mov_b32_e32 v126, s12
	s_add_i32 s14, s8, -6
	s_set_gpr_idx_on s13, gpr_idx(SRC0)
	v_mov_b32_e32 v135, v34
	s_set_gpr_idx_off
	ds_read2_b32 v[129:130], v126 offset1:1
	s_add_i32 s15, s8, -5
	s_set_gpr_idx_on s14, gpr_idx(SRC0)
	v_mov_b32_e32 v136, v34
	s_set_gpr_idx_off
	s_add_i32 s16, s8, -4
	s_set_gpr_idx_on s15, gpr_idx(SRC0)
	v_mov_b32_e32 v137, v34
	s_set_gpr_idx_off
	ds_read2_b32 v[131:132], v126 offset0:2 offset1:3
	s_add_i32 s17, s8, -3
	s_set_gpr_idx_on s16, gpr_idx(SRC0)
	v_mov_b32_e32 v138, v34
	s_set_gpr_idx_off
	s_add_i32 s18, s8, -2
	s_set_gpr_idx_on s17, gpr_idx(SRC0)
	v_mov_b32_e32 v139, v34
	s_set_gpr_idx_off
	ds_read2_b32 v[133:134], v126 offset0:4 offset1:5
	s_add_i32 s19, s8, -1
	s_waitcnt lgkmcnt(2)
	v_fmac_f32_e32 v125, v135, v129
	s_set_gpr_idx_on s18, gpr_idx(SRC0)
	v_mov_b32_e32 v135, v34
	s_set_gpr_idx_off
	v_fmac_f32_e32 v125, v136, v130
	s_set_gpr_idx_on s19, gpr_idx(SRC0)
	v_mov_b32_e32 v136, v34
	s_set_gpr_idx_off
	ds_read2_b32 v[129:130], v126 offset0:6 offset1:7
	s_waitcnt lgkmcnt(2)
	v_fmac_f32_e32 v125, v137, v131
	s_set_gpr_idx_on s8, gpr_idx(SRC0)
	v_mov_b32_e32 v131, v34
	s_set_gpr_idx_off
	v_fmac_f32_e32 v125, v138, v132
	s_add_u32 s8, s8, 8
	s_waitcnt lgkmcnt(1)
	v_fmac_f32_e32 v125, v139, v133
	v_add_u32_e32 v126, s8, v128
	v_fmac_f32_e32 v125, v135, v134
	s_addc_u32 s9, s9, 0
	s_add_i32 s12, s12, 32
	s_add_i32 s13, s8, -7
	v_cmp_eq_u32_e32 vcc, 22, v126
	s_waitcnt lgkmcnt(0)
	v_fmac_f32_e32 v125, v136, v129
	v_mov_b32_e32 v126, s13
	s_or_b64 s[10:11], vcc, s[10:11]
	v_fmac_f32_e32 v125, v131, v130
	s_andn2_b64 exec, exec, s[10:11]
	s_cbranch_execnz .LBB92_201
; %bb.202:
	s_or_b64 exec, exec, s[10:11]
.LBB92_203:
	s_or_b64 exec, exec, s[2:3]
	v_and_b32_e32 v63, 7, v127
	v_cmp_ne_u32_e32 vcc, 0, v63
	s_and_saveexec_b64 s[8:9], vcc
	s_cbranch_execz .LBB92_207
; %bb.204:
	v_mov_b32_e32 v64, 0x80
	v_lshl_add_u32 v64, v126, 2, v64
	v_mov_b32_e32 v65, 0
	s_mov_b64 s[10:11], 0
.LBB92_205:                             ; =>This Inner Loop Header: Depth=1
	v_cmp_eq_u32_e32 vcc, 1, v126
	v_cndmask_b32_e32 v127, v34, v35, vcc
	v_add_u32_e32 v63, -1, v63
	v_cmp_eq_u32_e32 vcc, 2, v126
	v_cndmask_b32_e32 v127, v127, v36, vcc
	v_cmp_eq_u32_e32 vcc, 0, v63
	v_cmp_eq_u32_e64 s[2:3], 3, v126
	v_cndmask_b32_e64 v127, v127, v37, s[2:3]
	s_or_b64 s[10:11], vcc, s[10:11]
	v_cmp_eq_u32_e32 vcc, 4, v126
	v_cndmask_b32_e32 v127, v127, v38, vcc
	v_cmp_eq_u32_e32 vcc, 5, v126
	v_cndmask_b32_e32 v127, v127, v39, vcc
	;; [unrolled: 2-line block ×20, first 2 shown]
	v_cmp_eq_u32_e32 vcc, 24, v126
	ds_read_b32 v128, v64
	v_cndmask_b32_e32 v127, v127, v58, vcc
	v_cmp_eq_u32_e32 vcc, 25, v126
	v_cndmask_b32_e32 v127, v127, v59, vcc
	v_cmp_eq_u32_e32 vcc, 26, v126
	;; [unrolled: 2-line block ×4, first 2 shown]
	v_add_co_u32_e64 v126, s[2:3], 1, v126
	v_cndmask_b32_e32 v127, v127, v62, vcc
	v_add_u32_e32 v64, 4, v64
	v_addc_co_u32_e64 v65, s[2:3], 0, v65, s[2:3]
	s_waitcnt lgkmcnt(0)
	v_fmac_f32_e32 v125, v127, v128
	s_andn2_b64 exec, exec, s[10:11]
	s_cbranch_execnz .LBB92_205
; %bb.206:
	s_or_b64 exec, exec, s[10:11]
.LBB92_207:
	s_or_b64 exec, exec, s[8:9]
.LBB92_208:
	s_or_b64 exec, exec, s[6:7]
	v_mov_b32_e32 v48, 0
	ds_read_b32 v48, v48 offset:56
	s_waitcnt lgkmcnt(0)
	v_mul_f32_e32 v48, v125, v48
.LBB92_209:
	s_or_b64 exec, exec, s[4:5]
	v_cmp_lt_u32_e64 s[2:3], 13, v0
	ds_write_b32 v124, v47
	s_waitcnt lgkmcnt(0)
	; wave barrier
	s_and_saveexec_b64 s[4:5], s[2:3]
	s_cbranch_execz .LBB92_225
; %bb.210:
	s_andn2_b64 vcc, exec, s[62:63]
	s_cbranch_vccnz .LBB92_212
; %bb.211:
	v_cmp_eq_u32_e32 vcc, 1, v0
	v_cndmask_b32_e32 v125, v34, v35, vcc
	v_cmp_eq_u32_e32 vcc, 2, v0
	v_cndmask_b32_e32 v125, v125, v36, vcc
	v_cmp_eq_u32_e32 vcc, 3, v0
	v_cndmask_b32_e32 v125, v125, v37, vcc
	v_cmp_eq_u32_e32 vcc, 4, v0
	v_cndmask_b32_e32 v125, v125, v38, vcc
	v_cmp_eq_u32_e32 vcc, 5, v0
	v_cndmask_b32_e32 v125, v125, v39, vcc
	v_cmp_eq_u32_e32 vcc, 6, v0
	v_cndmask_b32_e32 v125, v125, v40, vcc
	v_cmp_eq_u32_e32 vcc, 7, v0
	v_cndmask_b32_e32 v125, v125, v41, vcc
	v_cmp_eq_u32_e32 vcc, 8, v0
	v_cndmask_b32_e32 v125, v125, v42, vcc
	v_cmp_eq_u32_e32 vcc, 9, v0
	v_cndmask_b32_e32 v125, v125, v43, vcc
	v_cmp_eq_u32_e32 vcc, 10, v0
	v_cndmask_b32_e32 v125, v125, v44, vcc
	v_cmp_eq_u32_e32 vcc, 11, v0
	v_cndmask_b32_e32 v125, v125, v45, vcc
	v_cmp_eq_u32_e32 vcc, 12, v0
	v_cndmask_b32_e32 v125, v125, v46, vcc
	v_cmp_eq_u32_e32 vcc, 13, v0
	v_cndmask_b32_e32 v125, v125, v47, vcc
	v_cmp_eq_u32_e32 vcc, 14, v0
	v_cndmask_b32_e32 v125, v125, v48, vcc
	v_cmp_eq_u32_e32 vcc, 15, v0
	v_cndmask_b32_e32 v125, v125, v49, vcc
	v_cmp_eq_u32_e32 vcc, 16, v0
	v_cndmask_b32_e32 v125, v125, v50, vcc
	v_cmp_eq_u32_e32 vcc, 17, v0
	v_cndmask_b32_e32 v125, v125, v51, vcc
	v_cmp_eq_u32_e32 vcc, 18, v0
	v_cndmask_b32_e32 v125, v125, v52, vcc
	v_cmp_eq_u32_e32 vcc, 19, v0
	v_cndmask_b32_e32 v125, v125, v53, vcc
	v_cmp_eq_u32_e32 vcc, 20, v0
	v_cndmask_b32_e32 v125, v125, v54, vcc
	v_cmp_eq_u32_e32 vcc, 21, v0
	v_cndmask_b32_e32 v125, v125, v55, vcc
	v_cmp_eq_u32_e32 vcc, 22, v0
	v_cndmask_b32_e32 v125, v125, v56, vcc
	v_cmp_eq_u32_e32 vcc, 23, v0
	v_cndmask_b32_e32 v125, v125, v57, vcc
	v_cmp_eq_u32_e32 vcc, 24, v0
	v_cndmask_b32_e32 v125, v125, v58, vcc
	v_cmp_eq_u32_e32 vcc, 25, v0
	ds_read_b32 v126, v124
	v_cndmask_b32_e32 v125, v125, v59, vcc
	v_cmp_eq_u32_e32 vcc, 26, v0
	v_cndmask_b32_e32 v125, v125, v60, vcc
	v_cmp_eq_u32_e32 vcc, 27, v0
	;; [unrolled: 2-line block ×3, first 2 shown]
	v_cndmask_b32_e32 v125, v125, v62, vcc
	s_waitcnt lgkmcnt(0)
	v_mul_f32_e32 v125, v125, v126
	s_cbranch_execz .LBB92_213
	s_branch .LBB92_214
.LBB92_212:
                                        ; implicit-def: $vgpr125
.LBB92_213:
	ds_read_b32 v125, v124
.LBB92_214:
	s_and_saveexec_b64 s[6:7], s[0:1]
	s_cbranch_execz .LBB92_224
; %bb.215:
	v_add_u32_e32 v126, -15, v0
	v_add_u32_e32 v127, -14, v0
	v_cmp_lt_u32_e32 vcc, 6, v126
	v_mov_b32_e32 v126, 14
	s_and_saveexec_b64 s[0:1], vcc
	s_cbranch_execz .LBB92_219
; %bb.216:
	v_and_b32_e32 v126, -8, v127
	v_sub_u32_e32 v128, 0, v126
	s_mov_b64 s[8:9], 21
	s_movk_i32 s12, 0xb8
	s_mov_b64 s[10:11], 0
.LBB92_217:                             ; =>This Inner Loop Header: Depth=1
	s_add_i32 s13, s8, -7
	v_mov_b32_e32 v126, s12
	s_add_i32 s14, s8, -6
	s_set_gpr_idx_on s13, gpr_idx(SRC0)
	v_mov_b32_e32 v137, v34
	s_set_gpr_idx_off
	ds_read2_b64 v[129:132], v126 offset1:1
	s_add_i32 s15, s8, -5
	s_set_gpr_idx_on s14, gpr_idx(SRC0)
	v_mov_b32_e32 v138, v34
	s_set_gpr_idx_off
	s_add_i32 s16, s8, -4
	s_set_gpr_idx_on s15, gpr_idx(SRC0)
	v_mov_b32_e32 v139, v34
	s_set_gpr_idx_off
	;; [unrolled: 4-line block ×4, first 2 shown]
	ds_read2_b64 v[133:136], v126 offset0:2 offset1:3
	s_add_i32 s19, s8, -1
	s_waitcnt lgkmcnt(1)
	v_fmac_f32_e32 v125, v137, v129
	s_set_gpr_idx_on s18, gpr_idx(SRC0)
	v_mov_b32_e32 v129, v34
	s_set_gpr_idx_off
	v_fmac_f32_e32 v125, v138, v130
	s_set_gpr_idx_on s19, gpr_idx(SRC0)
	v_mov_b32_e32 v130, v34
	s_set_gpr_idx_off
	;; [unrolled: 4-line block ×3, first 2 shown]
	v_fmac_f32_e32 v125, v140, v132
	s_add_u32 s8, s8, 8
	s_waitcnt lgkmcnt(0)
	v_fmac_f32_e32 v125, v141, v133
	v_add_u32_e32 v126, s8, v128
	v_fmac_f32_e32 v125, v129, v134
	s_addc_u32 s9, s9, 0
	s_add_i32 s12, s12, 32
	s_add_i32 s13, s8, -7
	v_cmp_eq_u32_e32 vcc, 21, v126
	v_fmac_f32_e32 v125, v130, v135
	v_mov_b32_e32 v126, s13
	s_or_b64 s[10:11], vcc, s[10:11]
	v_fmac_f32_e32 v125, v131, v136
	s_andn2_b64 exec, exec, s[10:11]
	s_cbranch_execnz .LBB92_217
; %bb.218:
	s_or_b64 exec, exec, s[10:11]
.LBB92_219:
	s_or_b64 exec, exec, s[0:1]
	v_and_b32_e32 v63, 7, v127
	v_cmp_ne_u32_e32 vcc, 0, v63
	s_and_saveexec_b64 s[8:9], vcc
	s_cbranch_execz .LBB92_223
; %bb.220:
	v_mov_b32_e32 v64, 0x80
	v_lshl_add_u32 v64, v126, 2, v64
	v_mov_b32_e32 v65, 0
	s_mov_b64 s[10:11], 0
.LBB92_221:                             ; =>This Inner Loop Header: Depth=1
	v_cmp_eq_u32_e32 vcc, 1, v126
	v_cndmask_b32_e32 v127, v34, v35, vcc
	v_add_u32_e32 v63, -1, v63
	v_cmp_eq_u32_e32 vcc, 2, v126
	v_cndmask_b32_e32 v127, v127, v36, vcc
	v_cmp_eq_u32_e32 vcc, 0, v63
	v_cmp_eq_u32_e64 s[0:1], 3, v126
	v_cndmask_b32_e64 v127, v127, v37, s[0:1]
	s_or_b64 s[10:11], vcc, s[10:11]
	v_cmp_eq_u32_e32 vcc, 4, v126
	v_cndmask_b32_e32 v127, v127, v38, vcc
	v_cmp_eq_u32_e32 vcc, 5, v126
	v_cndmask_b32_e32 v127, v127, v39, vcc
	;; [unrolled: 2-line block ×20, first 2 shown]
	v_cmp_eq_u32_e32 vcc, 24, v126
	ds_read_b32 v128, v64
	v_cndmask_b32_e32 v127, v127, v58, vcc
	v_cmp_eq_u32_e32 vcc, 25, v126
	v_cndmask_b32_e32 v127, v127, v59, vcc
	v_cmp_eq_u32_e32 vcc, 26, v126
	;; [unrolled: 2-line block ×4, first 2 shown]
	v_add_co_u32_e64 v126, s[0:1], 1, v126
	v_cndmask_b32_e32 v127, v127, v62, vcc
	v_add_u32_e32 v64, 4, v64
	v_addc_co_u32_e64 v65, s[0:1], 0, v65, s[0:1]
	s_waitcnt lgkmcnt(0)
	v_fmac_f32_e32 v125, v127, v128
	s_andn2_b64 exec, exec, s[10:11]
	s_cbranch_execnz .LBB92_221
; %bb.222:
	s_or_b64 exec, exec, s[10:11]
.LBB92_223:
	s_or_b64 exec, exec, s[8:9]
.LBB92_224:
	s_or_b64 exec, exec, s[6:7]
	v_mov_b32_e32 v47, 0
	ds_read_b32 v47, v47 offset:52
	s_waitcnt lgkmcnt(0)
	v_mul_f32_e32 v47, v125, v47
.LBB92_225:
	s_or_b64 exec, exec, s[4:5]
	v_cmp_lt_u32_e64 s[0:1], 12, v0
	ds_write_b32 v124, v46
	s_waitcnt lgkmcnt(0)
	; wave barrier
	s_and_saveexec_b64 s[4:5], s[0:1]
	s_cbranch_execz .LBB92_241
; %bb.226:
	s_andn2_b64 vcc, exec, s[62:63]
	s_cbranch_vccnz .LBB92_228
; %bb.227:
	v_cmp_eq_u32_e32 vcc, 1, v0
	v_cndmask_b32_e32 v125, v34, v35, vcc
	v_cmp_eq_u32_e32 vcc, 2, v0
	v_cndmask_b32_e32 v125, v125, v36, vcc
	v_cmp_eq_u32_e32 vcc, 3, v0
	v_cndmask_b32_e32 v125, v125, v37, vcc
	v_cmp_eq_u32_e32 vcc, 4, v0
	v_cndmask_b32_e32 v125, v125, v38, vcc
	v_cmp_eq_u32_e32 vcc, 5, v0
	v_cndmask_b32_e32 v125, v125, v39, vcc
	v_cmp_eq_u32_e32 vcc, 6, v0
	v_cndmask_b32_e32 v125, v125, v40, vcc
	v_cmp_eq_u32_e32 vcc, 7, v0
	v_cndmask_b32_e32 v125, v125, v41, vcc
	v_cmp_eq_u32_e32 vcc, 8, v0
	v_cndmask_b32_e32 v125, v125, v42, vcc
	v_cmp_eq_u32_e32 vcc, 9, v0
	v_cndmask_b32_e32 v125, v125, v43, vcc
	v_cmp_eq_u32_e32 vcc, 10, v0
	v_cndmask_b32_e32 v125, v125, v44, vcc
	v_cmp_eq_u32_e32 vcc, 11, v0
	v_cndmask_b32_e32 v125, v125, v45, vcc
	v_cmp_eq_u32_e32 vcc, 12, v0
	v_cndmask_b32_e32 v125, v125, v46, vcc
	v_cmp_eq_u32_e32 vcc, 13, v0
	v_cndmask_b32_e32 v125, v125, v47, vcc
	v_cmp_eq_u32_e32 vcc, 14, v0
	v_cndmask_b32_e32 v125, v125, v48, vcc
	v_cmp_eq_u32_e32 vcc, 15, v0
	v_cndmask_b32_e32 v125, v125, v49, vcc
	v_cmp_eq_u32_e32 vcc, 16, v0
	v_cndmask_b32_e32 v125, v125, v50, vcc
	v_cmp_eq_u32_e32 vcc, 17, v0
	v_cndmask_b32_e32 v125, v125, v51, vcc
	v_cmp_eq_u32_e32 vcc, 18, v0
	v_cndmask_b32_e32 v125, v125, v52, vcc
	v_cmp_eq_u32_e32 vcc, 19, v0
	v_cndmask_b32_e32 v125, v125, v53, vcc
	v_cmp_eq_u32_e32 vcc, 20, v0
	v_cndmask_b32_e32 v125, v125, v54, vcc
	v_cmp_eq_u32_e32 vcc, 21, v0
	v_cndmask_b32_e32 v125, v125, v55, vcc
	v_cmp_eq_u32_e32 vcc, 22, v0
	v_cndmask_b32_e32 v125, v125, v56, vcc
	v_cmp_eq_u32_e32 vcc, 23, v0
	v_cndmask_b32_e32 v125, v125, v57, vcc
	v_cmp_eq_u32_e32 vcc, 24, v0
	v_cndmask_b32_e32 v125, v125, v58, vcc
	v_cmp_eq_u32_e32 vcc, 25, v0
	ds_read_b32 v126, v124
	v_cndmask_b32_e32 v125, v125, v59, vcc
	v_cmp_eq_u32_e32 vcc, 26, v0
	v_cndmask_b32_e32 v125, v125, v60, vcc
	v_cmp_eq_u32_e32 vcc, 27, v0
	;; [unrolled: 2-line block ×3, first 2 shown]
	v_cndmask_b32_e32 v125, v125, v62, vcc
	s_waitcnt lgkmcnt(0)
	v_mul_f32_e32 v125, v125, v126
	s_cbranch_execz .LBB92_229
	s_branch .LBB92_230
.LBB92_228:
                                        ; implicit-def: $vgpr125
.LBB92_229:
	ds_read_b32 v125, v124
.LBB92_230:
	s_and_saveexec_b64 s[6:7], s[2:3]
	s_cbranch_execz .LBB92_240
; %bb.231:
	v_add_u32_e32 v126, -14, v0
	v_add_u32_e32 v127, -13, v0
	v_cmp_lt_u32_e32 vcc, 6, v126
	v_mov_b32_e32 v126, 13
	s_and_saveexec_b64 s[2:3], vcc
	s_cbranch_execz .LBB92_235
; %bb.232:
	v_and_b32_e32 v126, -8, v127
	v_sub_u32_e32 v128, 0, v126
	s_mov_b64 s[8:9], 20
	s_movk_i32 s12, 0xb4
	s_mov_b64 s[10:11], 0
.LBB92_233:                             ; =>This Inner Loop Header: Depth=1
	s_add_i32 s13, s8, -7
	v_mov_b32_e32 v126, s12
	s_add_i32 s14, s8, -6
	s_set_gpr_idx_on s13, gpr_idx(SRC0)
	v_mov_b32_e32 v135, v34
	s_set_gpr_idx_off
	ds_read2_b32 v[129:130], v126 offset1:1
	s_add_i32 s15, s8, -5
	s_set_gpr_idx_on s14, gpr_idx(SRC0)
	v_mov_b32_e32 v136, v34
	s_set_gpr_idx_off
	s_add_i32 s16, s8, -4
	s_set_gpr_idx_on s15, gpr_idx(SRC0)
	v_mov_b32_e32 v137, v34
	s_set_gpr_idx_off
	ds_read2_b32 v[131:132], v126 offset0:2 offset1:3
	s_add_i32 s17, s8, -3
	s_set_gpr_idx_on s16, gpr_idx(SRC0)
	v_mov_b32_e32 v138, v34
	s_set_gpr_idx_off
	s_add_i32 s18, s8, -2
	s_set_gpr_idx_on s17, gpr_idx(SRC0)
	v_mov_b32_e32 v139, v34
	s_set_gpr_idx_off
	ds_read2_b32 v[133:134], v126 offset0:4 offset1:5
	s_add_i32 s19, s8, -1
	s_waitcnt lgkmcnt(2)
	v_fmac_f32_e32 v125, v135, v129
	s_set_gpr_idx_on s18, gpr_idx(SRC0)
	v_mov_b32_e32 v135, v34
	s_set_gpr_idx_off
	v_fmac_f32_e32 v125, v136, v130
	s_set_gpr_idx_on s19, gpr_idx(SRC0)
	v_mov_b32_e32 v136, v34
	s_set_gpr_idx_off
	ds_read2_b32 v[129:130], v126 offset0:6 offset1:7
	s_waitcnt lgkmcnt(2)
	v_fmac_f32_e32 v125, v137, v131
	s_set_gpr_idx_on s8, gpr_idx(SRC0)
	v_mov_b32_e32 v131, v34
	s_set_gpr_idx_off
	v_fmac_f32_e32 v125, v138, v132
	s_add_u32 s8, s8, 8
	s_waitcnt lgkmcnt(1)
	v_fmac_f32_e32 v125, v139, v133
	v_add_u32_e32 v126, s8, v128
	v_fmac_f32_e32 v125, v135, v134
	s_addc_u32 s9, s9, 0
	s_add_i32 s12, s12, 32
	s_add_i32 s13, s8, -7
	v_cmp_eq_u32_e32 vcc, 20, v126
	s_waitcnt lgkmcnt(0)
	v_fmac_f32_e32 v125, v136, v129
	v_mov_b32_e32 v126, s13
	s_or_b64 s[10:11], vcc, s[10:11]
	v_fmac_f32_e32 v125, v131, v130
	s_andn2_b64 exec, exec, s[10:11]
	s_cbranch_execnz .LBB92_233
; %bb.234:
	s_or_b64 exec, exec, s[10:11]
.LBB92_235:
	s_or_b64 exec, exec, s[2:3]
	v_and_b32_e32 v63, 7, v127
	v_cmp_ne_u32_e32 vcc, 0, v63
	s_and_saveexec_b64 s[8:9], vcc
	s_cbranch_execz .LBB92_239
; %bb.236:
	v_mov_b32_e32 v64, 0x80
	v_lshl_add_u32 v64, v126, 2, v64
	v_mov_b32_e32 v65, 0
	s_mov_b64 s[10:11], 0
.LBB92_237:                             ; =>This Inner Loop Header: Depth=1
	v_cmp_eq_u32_e32 vcc, 1, v126
	v_cndmask_b32_e32 v127, v34, v35, vcc
	v_add_u32_e32 v63, -1, v63
	v_cmp_eq_u32_e32 vcc, 2, v126
	v_cndmask_b32_e32 v127, v127, v36, vcc
	v_cmp_eq_u32_e32 vcc, 0, v63
	v_cmp_eq_u32_e64 s[2:3], 3, v126
	v_cndmask_b32_e64 v127, v127, v37, s[2:3]
	s_or_b64 s[10:11], vcc, s[10:11]
	v_cmp_eq_u32_e32 vcc, 4, v126
	v_cndmask_b32_e32 v127, v127, v38, vcc
	v_cmp_eq_u32_e32 vcc, 5, v126
	v_cndmask_b32_e32 v127, v127, v39, vcc
	;; [unrolled: 2-line block ×20, first 2 shown]
	v_cmp_eq_u32_e32 vcc, 24, v126
	ds_read_b32 v128, v64
	v_cndmask_b32_e32 v127, v127, v58, vcc
	v_cmp_eq_u32_e32 vcc, 25, v126
	v_cndmask_b32_e32 v127, v127, v59, vcc
	v_cmp_eq_u32_e32 vcc, 26, v126
	;; [unrolled: 2-line block ×4, first 2 shown]
	v_add_co_u32_e64 v126, s[2:3], 1, v126
	v_cndmask_b32_e32 v127, v127, v62, vcc
	v_add_u32_e32 v64, 4, v64
	v_addc_co_u32_e64 v65, s[2:3], 0, v65, s[2:3]
	s_waitcnt lgkmcnt(0)
	v_fmac_f32_e32 v125, v127, v128
	s_andn2_b64 exec, exec, s[10:11]
	s_cbranch_execnz .LBB92_237
; %bb.238:
	s_or_b64 exec, exec, s[10:11]
.LBB92_239:
	s_or_b64 exec, exec, s[8:9]
.LBB92_240:
	s_or_b64 exec, exec, s[6:7]
	v_mov_b32_e32 v46, 0
	ds_read_b32 v46, v46 offset:48
	s_waitcnt lgkmcnt(0)
	v_mul_f32_e32 v46, v125, v46
.LBB92_241:
	s_or_b64 exec, exec, s[4:5]
	v_cmp_lt_u32_e64 s[2:3], 11, v0
	ds_write_b32 v124, v45
	s_waitcnt lgkmcnt(0)
	; wave barrier
	s_and_saveexec_b64 s[4:5], s[2:3]
	s_cbranch_execz .LBB92_257
; %bb.242:
	s_andn2_b64 vcc, exec, s[62:63]
	s_cbranch_vccnz .LBB92_244
; %bb.243:
	v_cmp_eq_u32_e32 vcc, 1, v0
	v_cndmask_b32_e32 v125, v34, v35, vcc
	v_cmp_eq_u32_e32 vcc, 2, v0
	v_cndmask_b32_e32 v125, v125, v36, vcc
	;; [unrolled: 2-line block ×24, first 2 shown]
	v_cmp_eq_u32_e32 vcc, 25, v0
	ds_read_b32 v126, v124
	v_cndmask_b32_e32 v125, v125, v59, vcc
	v_cmp_eq_u32_e32 vcc, 26, v0
	v_cndmask_b32_e32 v125, v125, v60, vcc
	v_cmp_eq_u32_e32 vcc, 27, v0
	;; [unrolled: 2-line block ×3, first 2 shown]
	v_cndmask_b32_e32 v125, v125, v62, vcc
	s_waitcnt lgkmcnt(0)
	v_mul_f32_e32 v125, v125, v126
	s_cbranch_execz .LBB92_245
	s_branch .LBB92_246
.LBB92_244:
                                        ; implicit-def: $vgpr125
.LBB92_245:
	ds_read_b32 v125, v124
.LBB92_246:
	s_and_saveexec_b64 s[6:7], s[0:1]
	s_cbranch_execz .LBB92_256
; %bb.247:
	v_add_u32_e32 v126, -13, v0
	v_add_u32_e32 v127, -12, v0
	v_cmp_lt_u32_e32 vcc, 6, v126
	v_mov_b32_e32 v126, 12
	s_and_saveexec_b64 s[0:1], vcc
	s_cbranch_execz .LBB92_251
; %bb.248:
	v_and_b32_e32 v126, -8, v127
	v_sub_u32_e32 v128, 0, v126
	s_mov_b64 s[8:9], 19
	s_movk_i32 s12, 0xb0
	s_mov_b64 s[10:11], 0
.LBB92_249:                             ; =>This Inner Loop Header: Depth=1
	s_add_i32 s13, s8, -7
	v_mov_b32_e32 v126, s12
	s_add_i32 s14, s8, -6
	s_set_gpr_idx_on s13, gpr_idx(SRC0)
	v_mov_b32_e32 v137, v34
	s_set_gpr_idx_off
	s_add_i32 s15, s8, -5
	ds_read_b128 v[129:132], v126
	ds_read_b128 v[133:136], v126 offset:16
	s_set_gpr_idx_on s14, gpr_idx(SRC0)
	v_mov_b32_e32 v126, v34
	s_set_gpr_idx_off
	s_add_i32 s16, s8, -4
	s_set_gpr_idx_on s15, gpr_idx(SRC0)
	v_mov_b32_e32 v138, v34
	s_set_gpr_idx_off
	s_add_i32 s17, s8, -3
	;; [unrolled: 4-line block ×4, first 2 shown]
	s_waitcnt lgkmcnt(1)
	v_fmac_f32_e32 v125, v137, v129
	s_set_gpr_idx_on s18, gpr_idx(SRC0)
	v_mov_b32_e32 v129, v34
	s_set_gpr_idx_off
	v_fmac_f32_e32 v125, v126, v130
	s_set_gpr_idx_on s19, gpr_idx(SRC0)
	v_mov_b32_e32 v130, v34
	s_set_gpr_idx_off
	;; [unrolled: 4-line block ×3, first 2 shown]
	v_fmac_f32_e32 v125, v139, v132
	s_add_u32 s8, s8, 8
	s_waitcnt lgkmcnt(0)
	v_fmac_f32_e32 v125, v140, v133
	v_add_u32_e32 v126, s8, v128
	v_fmac_f32_e32 v125, v129, v134
	s_addc_u32 s9, s9, 0
	s_add_i32 s12, s12, 32
	s_add_i32 s13, s8, -7
	v_cmp_eq_u32_e32 vcc, 19, v126
	v_fmac_f32_e32 v125, v130, v135
	v_mov_b32_e32 v126, s13
	s_or_b64 s[10:11], vcc, s[10:11]
	v_fmac_f32_e32 v125, v131, v136
	s_andn2_b64 exec, exec, s[10:11]
	s_cbranch_execnz .LBB92_249
; %bb.250:
	s_or_b64 exec, exec, s[10:11]
.LBB92_251:
	s_or_b64 exec, exec, s[0:1]
	v_and_b32_e32 v63, 7, v127
	v_cmp_ne_u32_e32 vcc, 0, v63
	s_and_saveexec_b64 s[8:9], vcc
	s_cbranch_execz .LBB92_255
; %bb.252:
	v_mov_b32_e32 v64, 0x80
	v_lshl_add_u32 v64, v126, 2, v64
	v_mov_b32_e32 v65, 0
	s_mov_b64 s[10:11], 0
.LBB92_253:                             ; =>This Inner Loop Header: Depth=1
	v_cmp_eq_u32_e32 vcc, 1, v126
	v_cndmask_b32_e32 v127, v34, v35, vcc
	v_add_u32_e32 v63, -1, v63
	v_cmp_eq_u32_e32 vcc, 2, v126
	v_cndmask_b32_e32 v127, v127, v36, vcc
	v_cmp_eq_u32_e32 vcc, 0, v63
	v_cmp_eq_u32_e64 s[0:1], 3, v126
	v_cndmask_b32_e64 v127, v127, v37, s[0:1]
	s_or_b64 s[10:11], vcc, s[10:11]
	v_cmp_eq_u32_e32 vcc, 4, v126
	v_cndmask_b32_e32 v127, v127, v38, vcc
	v_cmp_eq_u32_e32 vcc, 5, v126
	v_cndmask_b32_e32 v127, v127, v39, vcc
	;; [unrolled: 2-line block ×20, first 2 shown]
	v_cmp_eq_u32_e32 vcc, 24, v126
	ds_read_b32 v128, v64
	v_cndmask_b32_e32 v127, v127, v58, vcc
	v_cmp_eq_u32_e32 vcc, 25, v126
	v_cndmask_b32_e32 v127, v127, v59, vcc
	v_cmp_eq_u32_e32 vcc, 26, v126
	;; [unrolled: 2-line block ×4, first 2 shown]
	v_add_co_u32_e64 v126, s[0:1], 1, v126
	v_cndmask_b32_e32 v127, v127, v62, vcc
	v_add_u32_e32 v64, 4, v64
	v_addc_co_u32_e64 v65, s[0:1], 0, v65, s[0:1]
	s_waitcnt lgkmcnt(0)
	v_fmac_f32_e32 v125, v127, v128
	s_andn2_b64 exec, exec, s[10:11]
	s_cbranch_execnz .LBB92_253
; %bb.254:
	s_or_b64 exec, exec, s[10:11]
.LBB92_255:
	s_or_b64 exec, exec, s[8:9]
.LBB92_256:
	s_or_b64 exec, exec, s[6:7]
	v_mov_b32_e32 v45, 0
	ds_read_b32 v45, v45 offset:44
	s_waitcnt lgkmcnt(0)
	v_mul_f32_e32 v45, v125, v45
.LBB92_257:
	s_or_b64 exec, exec, s[4:5]
	v_cmp_lt_u32_e64 s[0:1], 10, v0
	ds_write_b32 v124, v44
	s_waitcnt lgkmcnt(0)
	; wave barrier
	s_and_saveexec_b64 s[4:5], s[0:1]
	s_cbranch_execz .LBB92_273
; %bb.258:
	s_andn2_b64 vcc, exec, s[62:63]
	s_cbranch_vccnz .LBB92_260
; %bb.259:
	v_cmp_eq_u32_e32 vcc, 1, v0
	v_cndmask_b32_e32 v125, v34, v35, vcc
	v_cmp_eq_u32_e32 vcc, 2, v0
	v_cndmask_b32_e32 v125, v125, v36, vcc
	;; [unrolled: 2-line block ×24, first 2 shown]
	v_cmp_eq_u32_e32 vcc, 25, v0
	ds_read_b32 v126, v124
	v_cndmask_b32_e32 v125, v125, v59, vcc
	v_cmp_eq_u32_e32 vcc, 26, v0
	v_cndmask_b32_e32 v125, v125, v60, vcc
	v_cmp_eq_u32_e32 vcc, 27, v0
	;; [unrolled: 2-line block ×3, first 2 shown]
	v_cndmask_b32_e32 v125, v125, v62, vcc
	s_waitcnt lgkmcnt(0)
	v_mul_f32_e32 v125, v125, v126
	s_cbranch_execz .LBB92_261
	s_branch .LBB92_262
.LBB92_260:
                                        ; implicit-def: $vgpr125
.LBB92_261:
	ds_read_b32 v125, v124
.LBB92_262:
	s_and_saveexec_b64 s[6:7], s[2:3]
	s_cbranch_execz .LBB92_272
; %bb.263:
	v_add_u32_e32 v126, -12, v0
	v_add_u32_e32 v127, -11, v0
	v_cmp_lt_u32_e32 vcc, 6, v126
	v_mov_b32_e32 v126, 11
	s_and_saveexec_b64 s[2:3], vcc
	s_cbranch_execz .LBB92_267
; %bb.264:
	v_and_b32_e32 v126, -8, v127
	v_sub_u32_e32 v128, 0, v126
	s_mov_b64 s[8:9], 18
	s_movk_i32 s12, 0xac
	s_mov_b64 s[10:11], 0
.LBB92_265:                             ; =>This Inner Loop Header: Depth=1
	s_add_i32 s13, s8, -7
	v_mov_b32_e32 v126, s12
	s_add_i32 s14, s8, -6
	s_set_gpr_idx_on s13, gpr_idx(SRC0)
	v_mov_b32_e32 v135, v34
	s_set_gpr_idx_off
	ds_read2_b32 v[129:130], v126 offset1:1
	s_add_i32 s15, s8, -5
	s_set_gpr_idx_on s14, gpr_idx(SRC0)
	v_mov_b32_e32 v136, v34
	s_set_gpr_idx_off
	s_add_i32 s16, s8, -4
	s_set_gpr_idx_on s15, gpr_idx(SRC0)
	v_mov_b32_e32 v137, v34
	s_set_gpr_idx_off
	ds_read2_b32 v[131:132], v126 offset0:2 offset1:3
	s_add_i32 s17, s8, -3
	s_set_gpr_idx_on s16, gpr_idx(SRC0)
	v_mov_b32_e32 v138, v34
	s_set_gpr_idx_off
	s_add_i32 s18, s8, -2
	s_set_gpr_idx_on s17, gpr_idx(SRC0)
	v_mov_b32_e32 v139, v34
	s_set_gpr_idx_off
	ds_read2_b32 v[133:134], v126 offset0:4 offset1:5
	s_add_i32 s19, s8, -1
	s_waitcnt lgkmcnt(2)
	v_fmac_f32_e32 v125, v135, v129
	s_set_gpr_idx_on s18, gpr_idx(SRC0)
	v_mov_b32_e32 v135, v34
	s_set_gpr_idx_off
	v_fmac_f32_e32 v125, v136, v130
	s_set_gpr_idx_on s19, gpr_idx(SRC0)
	v_mov_b32_e32 v136, v34
	s_set_gpr_idx_off
	ds_read2_b32 v[129:130], v126 offset0:6 offset1:7
	s_waitcnt lgkmcnt(2)
	v_fmac_f32_e32 v125, v137, v131
	s_set_gpr_idx_on s8, gpr_idx(SRC0)
	v_mov_b32_e32 v131, v34
	s_set_gpr_idx_off
	v_fmac_f32_e32 v125, v138, v132
	s_add_u32 s8, s8, 8
	s_waitcnt lgkmcnt(1)
	v_fmac_f32_e32 v125, v139, v133
	v_add_u32_e32 v126, s8, v128
	v_fmac_f32_e32 v125, v135, v134
	s_addc_u32 s9, s9, 0
	s_add_i32 s12, s12, 32
	s_add_i32 s13, s8, -7
	v_cmp_eq_u32_e32 vcc, 18, v126
	s_waitcnt lgkmcnt(0)
	v_fmac_f32_e32 v125, v136, v129
	v_mov_b32_e32 v126, s13
	s_or_b64 s[10:11], vcc, s[10:11]
	v_fmac_f32_e32 v125, v131, v130
	s_andn2_b64 exec, exec, s[10:11]
	s_cbranch_execnz .LBB92_265
; %bb.266:
	s_or_b64 exec, exec, s[10:11]
.LBB92_267:
	s_or_b64 exec, exec, s[2:3]
	v_and_b32_e32 v63, 7, v127
	v_cmp_ne_u32_e32 vcc, 0, v63
	s_and_saveexec_b64 s[8:9], vcc
	s_cbranch_execz .LBB92_271
; %bb.268:
	v_mov_b32_e32 v64, 0x80
	v_lshl_add_u32 v64, v126, 2, v64
	v_mov_b32_e32 v65, 0
	s_mov_b64 s[10:11], 0
.LBB92_269:                             ; =>This Inner Loop Header: Depth=1
	v_cmp_eq_u32_e32 vcc, 1, v126
	v_cndmask_b32_e32 v127, v34, v35, vcc
	v_add_u32_e32 v63, -1, v63
	v_cmp_eq_u32_e32 vcc, 2, v126
	v_cndmask_b32_e32 v127, v127, v36, vcc
	v_cmp_eq_u32_e32 vcc, 0, v63
	v_cmp_eq_u32_e64 s[2:3], 3, v126
	v_cndmask_b32_e64 v127, v127, v37, s[2:3]
	s_or_b64 s[10:11], vcc, s[10:11]
	v_cmp_eq_u32_e32 vcc, 4, v126
	v_cndmask_b32_e32 v127, v127, v38, vcc
	v_cmp_eq_u32_e32 vcc, 5, v126
	v_cndmask_b32_e32 v127, v127, v39, vcc
	v_cmp_eq_u32_e32 vcc, 6, v126
	v_cndmask_b32_e32 v127, v127, v40, vcc
	v_cmp_eq_u32_e32 vcc, 7, v126
	v_cndmask_b32_e32 v127, v127, v41, vcc
	v_cmp_eq_u32_e32 vcc, 8, v126
	v_cndmask_b32_e32 v127, v127, v42, vcc
	v_cmp_eq_u32_e32 vcc, 9, v126
	v_cndmask_b32_e32 v127, v127, v43, vcc
	v_cmp_eq_u32_e32 vcc, 10, v126
	v_cndmask_b32_e32 v127, v127, v44, vcc
	v_cmp_eq_u32_e32 vcc, 11, v126
	v_cndmask_b32_e32 v127, v127, v45, vcc
	v_cmp_eq_u32_e32 vcc, 12, v126
	v_cndmask_b32_e32 v127, v127, v46, vcc
	v_cmp_eq_u32_e32 vcc, 13, v126
	v_cndmask_b32_e32 v127, v127, v47, vcc
	v_cmp_eq_u32_e32 vcc, 14, v126
	v_cndmask_b32_e32 v127, v127, v48, vcc
	v_cmp_eq_u32_e32 vcc, 15, v126
	v_cndmask_b32_e32 v127, v127, v49, vcc
	v_cmp_eq_u32_e32 vcc, 16, v126
	v_cndmask_b32_e32 v127, v127, v50, vcc
	v_cmp_eq_u32_e32 vcc, 17, v126
	v_cndmask_b32_e32 v127, v127, v51, vcc
	v_cmp_eq_u32_e32 vcc, 18, v126
	v_cndmask_b32_e32 v127, v127, v52, vcc
	v_cmp_eq_u32_e32 vcc, 19, v126
	v_cndmask_b32_e32 v127, v127, v53, vcc
	v_cmp_eq_u32_e32 vcc, 20, v126
	v_cndmask_b32_e32 v127, v127, v54, vcc
	v_cmp_eq_u32_e32 vcc, 21, v126
	v_cndmask_b32_e32 v127, v127, v55, vcc
	v_cmp_eq_u32_e32 vcc, 22, v126
	v_cndmask_b32_e32 v127, v127, v56, vcc
	v_cmp_eq_u32_e32 vcc, 23, v126
	v_cndmask_b32_e32 v127, v127, v57, vcc
	v_cmp_eq_u32_e32 vcc, 24, v126
	ds_read_b32 v128, v64
	v_cndmask_b32_e32 v127, v127, v58, vcc
	v_cmp_eq_u32_e32 vcc, 25, v126
	v_cndmask_b32_e32 v127, v127, v59, vcc
	v_cmp_eq_u32_e32 vcc, 26, v126
	;; [unrolled: 2-line block ×4, first 2 shown]
	v_add_co_u32_e64 v126, s[2:3], 1, v126
	v_cndmask_b32_e32 v127, v127, v62, vcc
	v_add_u32_e32 v64, 4, v64
	v_addc_co_u32_e64 v65, s[2:3], 0, v65, s[2:3]
	s_waitcnt lgkmcnt(0)
	v_fmac_f32_e32 v125, v127, v128
	s_andn2_b64 exec, exec, s[10:11]
	s_cbranch_execnz .LBB92_269
; %bb.270:
	s_or_b64 exec, exec, s[10:11]
.LBB92_271:
	s_or_b64 exec, exec, s[8:9]
.LBB92_272:
	s_or_b64 exec, exec, s[6:7]
	v_mov_b32_e32 v44, 0
	ds_read_b32 v44, v44 offset:40
	s_waitcnt lgkmcnt(0)
	v_mul_f32_e32 v44, v125, v44
.LBB92_273:
	s_or_b64 exec, exec, s[4:5]
	v_cmp_lt_u32_e64 s[2:3], 9, v0
	ds_write_b32 v124, v43
	s_waitcnt lgkmcnt(0)
	; wave barrier
	s_and_saveexec_b64 s[4:5], s[2:3]
	s_cbranch_execz .LBB92_289
; %bb.274:
	s_andn2_b64 vcc, exec, s[62:63]
	s_cbranch_vccnz .LBB92_276
; %bb.275:
	v_cmp_eq_u32_e32 vcc, 1, v0
	v_cndmask_b32_e32 v125, v34, v35, vcc
	v_cmp_eq_u32_e32 vcc, 2, v0
	v_cndmask_b32_e32 v125, v125, v36, vcc
	;; [unrolled: 2-line block ×24, first 2 shown]
	v_cmp_eq_u32_e32 vcc, 25, v0
	ds_read_b32 v126, v124
	v_cndmask_b32_e32 v125, v125, v59, vcc
	v_cmp_eq_u32_e32 vcc, 26, v0
	v_cndmask_b32_e32 v125, v125, v60, vcc
	v_cmp_eq_u32_e32 vcc, 27, v0
	;; [unrolled: 2-line block ×3, first 2 shown]
	v_cndmask_b32_e32 v125, v125, v62, vcc
	s_waitcnt lgkmcnt(0)
	v_mul_f32_e32 v125, v125, v126
	s_cbranch_execz .LBB92_277
	s_branch .LBB92_278
.LBB92_276:
                                        ; implicit-def: $vgpr125
.LBB92_277:
	ds_read_b32 v125, v124
.LBB92_278:
	s_and_saveexec_b64 s[6:7], s[0:1]
	s_cbranch_execz .LBB92_288
; %bb.279:
	v_add_u32_e32 v126, -11, v0
	v_add_u32_e32 v127, -10, v0
	v_cmp_lt_u32_e32 vcc, 6, v126
	v_mov_b32_e32 v126, 10
	s_and_saveexec_b64 s[0:1], vcc
	s_cbranch_execz .LBB92_283
; %bb.280:
	v_and_b32_e32 v126, -8, v127
	v_sub_u32_e32 v128, 0, v126
	s_mov_b64 s[8:9], 17
	s_movk_i32 s12, 0xa8
	s_mov_b64 s[10:11], 0
.LBB92_281:                             ; =>This Inner Loop Header: Depth=1
	s_add_i32 s13, s8, -7
	v_mov_b32_e32 v126, s12
	s_add_i32 s14, s8, -6
	s_set_gpr_idx_on s13, gpr_idx(SRC0)
	v_mov_b32_e32 v137, v34
	s_set_gpr_idx_off
	ds_read2_b64 v[129:132], v126 offset1:1
	s_add_i32 s15, s8, -5
	s_set_gpr_idx_on s14, gpr_idx(SRC0)
	v_mov_b32_e32 v138, v34
	s_set_gpr_idx_off
	s_add_i32 s16, s8, -4
	s_set_gpr_idx_on s15, gpr_idx(SRC0)
	v_mov_b32_e32 v139, v34
	s_set_gpr_idx_off
	;; [unrolled: 4-line block ×4, first 2 shown]
	ds_read2_b64 v[133:136], v126 offset0:2 offset1:3
	s_add_i32 s19, s8, -1
	s_waitcnt lgkmcnt(1)
	v_fmac_f32_e32 v125, v137, v129
	s_set_gpr_idx_on s18, gpr_idx(SRC0)
	v_mov_b32_e32 v129, v34
	s_set_gpr_idx_off
	v_fmac_f32_e32 v125, v138, v130
	s_set_gpr_idx_on s19, gpr_idx(SRC0)
	v_mov_b32_e32 v130, v34
	s_set_gpr_idx_off
	;; [unrolled: 4-line block ×3, first 2 shown]
	v_fmac_f32_e32 v125, v140, v132
	s_add_u32 s8, s8, 8
	s_waitcnt lgkmcnt(0)
	v_fmac_f32_e32 v125, v141, v133
	v_add_u32_e32 v126, s8, v128
	v_fmac_f32_e32 v125, v129, v134
	s_addc_u32 s9, s9, 0
	s_add_i32 s12, s12, 32
	s_add_i32 s13, s8, -7
	v_cmp_eq_u32_e32 vcc, 17, v126
	v_fmac_f32_e32 v125, v130, v135
	v_mov_b32_e32 v126, s13
	s_or_b64 s[10:11], vcc, s[10:11]
	v_fmac_f32_e32 v125, v131, v136
	s_andn2_b64 exec, exec, s[10:11]
	s_cbranch_execnz .LBB92_281
; %bb.282:
	s_or_b64 exec, exec, s[10:11]
.LBB92_283:
	s_or_b64 exec, exec, s[0:1]
	v_and_b32_e32 v63, 7, v127
	v_cmp_ne_u32_e32 vcc, 0, v63
	s_and_saveexec_b64 s[8:9], vcc
	s_cbranch_execz .LBB92_287
; %bb.284:
	v_mov_b32_e32 v64, 0x80
	v_lshl_add_u32 v64, v126, 2, v64
	v_mov_b32_e32 v65, 0
	s_mov_b64 s[10:11], 0
.LBB92_285:                             ; =>This Inner Loop Header: Depth=1
	v_cmp_eq_u32_e32 vcc, 1, v126
	v_cndmask_b32_e32 v127, v34, v35, vcc
	v_add_u32_e32 v63, -1, v63
	v_cmp_eq_u32_e32 vcc, 2, v126
	v_cndmask_b32_e32 v127, v127, v36, vcc
	v_cmp_eq_u32_e32 vcc, 0, v63
	v_cmp_eq_u32_e64 s[0:1], 3, v126
	v_cndmask_b32_e64 v127, v127, v37, s[0:1]
	s_or_b64 s[10:11], vcc, s[10:11]
	v_cmp_eq_u32_e32 vcc, 4, v126
	v_cndmask_b32_e32 v127, v127, v38, vcc
	v_cmp_eq_u32_e32 vcc, 5, v126
	v_cndmask_b32_e32 v127, v127, v39, vcc
	;; [unrolled: 2-line block ×20, first 2 shown]
	v_cmp_eq_u32_e32 vcc, 24, v126
	ds_read_b32 v128, v64
	v_cndmask_b32_e32 v127, v127, v58, vcc
	v_cmp_eq_u32_e32 vcc, 25, v126
	v_cndmask_b32_e32 v127, v127, v59, vcc
	v_cmp_eq_u32_e32 vcc, 26, v126
	;; [unrolled: 2-line block ×4, first 2 shown]
	v_add_co_u32_e64 v126, s[0:1], 1, v126
	v_cndmask_b32_e32 v127, v127, v62, vcc
	v_add_u32_e32 v64, 4, v64
	v_addc_co_u32_e64 v65, s[0:1], 0, v65, s[0:1]
	s_waitcnt lgkmcnt(0)
	v_fmac_f32_e32 v125, v127, v128
	s_andn2_b64 exec, exec, s[10:11]
	s_cbranch_execnz .LBB92_285
; %bb.286:
	s_or_b64 exec, exec, s[10:11]
.LBB92_287:
	s_or_b64 exec, exec, s[8:9]
.LBB92_288:
	s_or_b64 exec, exec, s[6:7]
	v_mov_b32_e32 v43, 0
	ds_read_b32 v43, v43 offset:36
	s_waitcnt lgkmcnt(0)
	v_mul_f32_e32 v43, v125, v43
.LBB92_289:
	s_or_b64 exec, exec, s[4:5]
	v_cmp_lt_u32_e64 s[0:1], 8, v0
	ds_write_b32 v124, v42
	s_waitcnt lgkmcnt(0)
	; wave barrier
	s_and_saveexec_b64 s[4:5], s[0:1]
	s_cbranch_execz .LBB92_305
; %bb.290:
	s_andn2_b64 vcc, exec, s[62:63]
	s_cbranch_vccnz .LBB92_292
; %bb.291:
	v_cmp_eq_u32_e32 vcc, 1, v0
	v_cndmask_b32_e32 v125, v34, v35, vcc
	v_cmp_eq_u32_e32 vcc, 2, v0
	v_cndmask_b32_e32 v125, v125, v36, vcc
	;; [unrolled: 2-line block ×24, first 2 shown]
	v_cmp_eq_u32_e32 vcc, 25, v0
	ds_read_b32 v126, v124
	v_cndmask_b32_e32 v125, v125, v59, vcc
	v_cmp_eq_u32_e32 vcc, 26, v0
	v_cndmask_b32_e32 v125, v125, v60, vcc
	v_cmp_eq_u32_e32 vcc, 27, v0
	;; [unrolled: 2-line block ×3, first 2 shown]
	v_cndmask_b32_e32 v125, v125, v62, vcc
	s_waitcnt lgkmcnt(0)
	v_mul_f32_e32 v125, v125, v126
	s_cbranch_execz .LBB92_293
	s_branch .LBB92_294
.LBB92_292:
                                        ; implicit-def: $vgpr125
.LBB92_293:
	ds_read_b32 v125, v124
.LBB92_294:
	s_and_saveexec_b64 s[6:7], s[2:3]
	s_cbranch_execz .LBB92_304
; %bb.295:
	v_add_u32_e32 v126, -10, v0
	v_add_u32_e32 v127, -9, v0
	v_cmp_lt_u32_e32 vcc, 6, v126
	v_mov_b32_e32 v126, 9
	s_and_saveexec_b64 s[2:3], vcc
	s_cbranch_execz .LBB92_299
; %bb.296:
	v_and_b32_e32 v126, -8, v127
	v_sub_u32_e32 v128, 0, v126
	s_mov_b64 s[8:9], 16
	s_movk_i32 s12, 0xa4
	s_mov_b64 s[10:11], 0
.LBB92_297:                             ; =>This Inner Loop Header: Depth=1
	s_add_i32 s13, s8, -7
	v_mov_b32_e32 v126, s12
	s_add_i32 s14, s8, -6
	s_set_gpr_idx_on s13, gpr_idx(SRC0)
	v_mov_b32_e32 v135, v34
	s_set_gpr_idx_off
	ds_read2_b32 v[129:130], v126 offset1:1
	s_add_i32 s15, s8, -5
	s_set_gpr_idx_on s14, gpr_idx(SRC0)
	v_mov_b32_e32 v136, v34
	s_set_gpr_idx_off
	s_add_i32 s16, s8, -4
	s_set_gpr_idx_on s15, gpr_idx(SRC0)
	v_mov_b32_e32 v137, v34
	s_set_gpr_idx_off
	ds_read2_b32 v[131:132], v126 offset0:2 offset1:3
	s_add_i32 s17, s8, -3
	s_set_gpr_idx_on s16, gpr_idx(SRC0)
	v_mov_b32_e32 v138, v34
	s_set_gpr_idx_off
	s_add_i32 s18, s8, -2
	s_set_gpr_idx_on s17, gpr_idx(SRC0)
	v_mov_b32_e32 v139, v34
	s_set_gpr_idx_off
	ds_read2_b32 v[133:134], v126 offset0:4 offset1:5
	s_add_i32 s19, s8, -1
	s_waitcnt lgkmcnt(2)
	v_fmac_f32_e32 v125, v135, v129
	s_set_gpr_idx_on s18, gpr_idx(SRC0)
	v_mov_b32_e32 v135, v34
	s_set_gpr_idx_off
	v_fmac_f32_e32 v125, v136, v130
	s_set_gpr_idx_on s19, gpr_idx(SRC0)
	v_mov_b32_e32 v136, v34
	s_set_gpr_idx_off
	ds_read2_b32 v[129:130], v126 offset0:6 offset1:7
	s_waitcnt lgkmcnt(2)
	v_fmac_f32_e32 v125, v137, v131
	s_set_gpr_idx_on s8, gpr_idx(SRC0)
	v_mov_b32_e32 v131, v34
	s_set_gpr_idx_off
	v_fmac_f32_e32 v125, v138, v132
	s_add_u32 s8, s8, 8
	s_waitcnt lgkmcnt(1)
	v_fmac_f32_e32 v125, v139, v133
	v_add_u32_e32 v126, s8, v128
	v_fmac_f32_e32 v125, v135, v134
	s_addc_u32 s9, s9, 0
	s_add_i32 s12, s12, 32
	s_add_i32 s13, s8, -7
	v_cmp_eq_u32_e32 vcc, 16, v126
	s_waitcnt lgkmcnt(0)
	v_fmac_f32_e32 v125, v136, v129
	v_mov_b32_e32 v126, s13
	s_or_b64 s[10:11], vcc, s[10:11]
	v_fmac_f32_e32 v125, v131, v130
	s_andn2_b64 exec, exec, s[10:11]
	s_cbranch_execnz .LBB92_297
; %bb.298:
	s_or_b64 exec, exec, s[10:11]
.LBB92_299:
	s_or_b64 exec, exec, s[2:3]
	v_and_b32_e32 v63, 7, v127
	v_cmp_ne_u32_e32 vcc, 0, v63
	s_and_saveexec_b64 s[8:9], vcc
	s_cbranch_execz .LBB92_303
; %bb.300:
	v_mov_b32_e32 v64, 0x80
	v_lshl_add_u32 v64, v126, 2, v64
	v_mov_b32_e32 v65, 0
	s_mov_b64 s[10:11], 0
.LBB92_301:                             ; =>This Inner Loop Header: Depth=1
	v_cmp_eq_u32_e32 vcc, 1, v126
	v_cndmask_b32_e32 v127, v34, v35, vcc
	v_add_u32_e32 v63, -1, v63
	v_cmp_eq_u32_e32 vcc, 2, v126
	v_cndmask_b32_e32 v127, v127, v36, vcc
	v_cmp_eq_u32_e32 vcc, 0, v63
	v_cmp_eq_u32_e64 s[2:3], 3, v126
	v_cndmask_b32_e64 v127, v127, v37, s[2:3]
	s_or_b64 s[10:11], vcc, s[10:11]
	v_cmp_eq_u32_e32 vcc, 4, v126
	v_cndmask_b32_e32 v127, v127, v38, vcc
	v_cmp_eq_u32_e32 vcc, 5, v126
	v_cndmask_b32_e32 v127, v127, v39, vcc
	;; [unrolled: 2-line block ×20, first 2 shown]
	v_cmp_eq_u32_e32 vcc, 24, v126
	ds_read_b32 v128, v64
	v_cndmask_b32_e32 v127, v127, v58, vcc
	v_cmp_eq_u32_e32 vcc, 25, v126
	v_cndmask_b32_e32 v127, v127, v59, vcc
	v_cmp_eq_u32_e32 vcc, 26, v126
	;; [unrolled: 2-line block ×4, first 2 shown]
	v_add_co_u32_e64 v126, s[2:3], 1, v126
	v_cndmask_b32_e32 v127, v127, v62, vcc
	v_add_u32_e32 v64, 4, v64
	v_addc_co_u32_e64 v65, s[2:3], 0, v65, s[2:3]
	s_waitcnt lgkmcnt(0)
	v_fmac_f32_e32 v125, v127, v128
	s_andn2_b64 exec, exec, s[10:11]
	s_cbranch_execnz .LBB92_301
; %bb.302:
	s_or_b64 exec, exec, s[10:11]
.LBB92_303:
	s_or_b64 exec, exec, s[8:9]
.LBB92_304:
	s_or_b64 exec, exec, s[6:7]
	v_mov_b32_e32 v42, 0
	ds_read_b32 v42, v42 offset:32
	s_waitcnt lgkmcnt(0)
	v_mul_f32_e32 v42, v125, v42
.LBB92_305:
	s_or_b64 exec, exec, s[4:5]
	v_cmp_lt_u32_e64 s[2:3], 7, v0
	ds_write_b32 v124, v41
	s_waitcnt lgkmcnt(0)
	; wave barrier
	s_and_saveexec_b64 s[4:5], s[2:3]
	s_cbranch_execz .LBB92_321
; %bb.306:
	s_andn2_b64 vcc, exec, s[62:63]
	s_cbranch_vccnz .LBB92_308
; %bb.307:
	v_cmp_eq_u32_e32 vcc, 1, v0
	v_cndmask_b32_e32 v125, v34, v35, vcc
	v_cmp_eq_u32_e32 vcc, 2, v0
	v_cndmask_b32_e32 v125, v125, v36, vcc
	v_cmp_eq_u32_e32 vcc, 3, v0
	v_cndmask_b32_e32 v125, v125, v37, vcc
	v_cmp_eq_u32_e32 vcc, 4, v0
	v_cndmask_b32_e32 v125, v125, v38, vcc
	v_cmp_eq_u32_e32 vcc, 5, v0
	v_cndmask_b32_e32 v125, v125, v39, vcc
	v_cmp_eq_u32_e32 vcc, 6, v0
	v_cndmask_b32_e32 v125, v125, v40, vcc
	v_cmp_eq_u32_e32 vcc, 7, v0
	v_cndmask_b32_e32 v125, v125, v41, vcc
	v_cmp_eq_u32_e32 vcc, 8, v0
	v_cndmask_b32_e32 v125, v125, v42, vcc
	v_cmp_eq_u32_e32 vcc, 9, v0
	v_cndmask_b32_e32 v125, v125, v43, vcc
	v_cmp_eq_u32_e32 vcc, 10, v0
	v_cndmask_b32_e32 v125, v125, v44, vcc
	v_cmp_eq_u32_e32 vcc, 11, v0
	v_cndmask_b32_e32 v125, v125, v45, vcc
	v_cmp_eq_u32_e32 vcc, 12, v0
	v_cndmask_b32_e32 v125, v125, v46, vcc
	v_cmp_eq_u32_e32 vcc, 13, v0
	v_cndmask_b32_e32 v125, v125, v47, vcc
	v_cmp_eq_u32_e32 vcc, 14, v0
	v_cndmask_b32_e32 v125, v125, v48, vcc
	v_cmp_eq_u32_e32 vcc, 15, v0
	v_cndmask_b32_e32 v125, v125, v49, vcc
	v_cmp_eq_u32_e32 vcc, 16, v0
	v_cndmask_b32_e32 v125, v125, v50, vcc
	v_cmp_eq_u32_e32 vcc, 17, v0
	v_cndmask_b32_e32 v125, v125, v51, vcc
	v_cmp_eq_u32_e32 vcc, 18, v0
	v_cndmask_b32_e32 v125, v125, v52, vcc
	v_cmp_eq_u32_e32 vcc, 19, v0
	v_cndmask_b32_e32 v125, v125, v53, vcc
	v_cmp_eq_u32_e32 vcc, 20, v0
	v_cndmask_b32_e32 v125, v125, v54, vcc
	v_cmp_eq_u32_e32 vcc, 21, v0
	v_cndmask_b32_e32 v125, v125, v55, vcc
	v_cmp_eq_u32_e32 vcc, 22, v0
	v_cndmask_b32_e32 v125, v125, v56, vcc
	v_cmp_eq_u32_e32 vcc, 23, v0
	v_cndmask_b32_e32 v125, v125, v57, vcc
	v_cmp_eq_u32_e32 vcc, 24, v0
	v_cndmask_b32_e32 v125, v125, v58, vcc
	v_cmp_eq_u32_e32 vcc, 25, v0
	ds_read_b32 v126, v124
	v_cndmask_b32_e32 v125, v125, v59, vcc
	v_cmp_eq_u32_e32 vcc, 26, v0
	v_cndmask_b32_e32 v125, v125, v60, vcc
	v_cmp_eq_u32_e32 vcc, 27, v0
	v_cndmask_b32_e32 v125, v125, v61, vcc
	v_cmp_eq_u32_e32 vcc, 28, v0
	v_cndmask_b32_e32 v125, v125, v62, vcc
	s_waitcnt lgkmcnt(0)
	v_mul_f32_e32 v125, v125, v126
	s_cbranch_execz .LBB92_309
	s_branch .LBB92_310
.LBB92_308:
                                        ; implicit-def: $vgpr125
.LBB92_309:
	ds_read_b32 v125, v124
.LBB92_310:
	s_and_saveexec_b64 s[6:7], s[0:1]
	s_cbranch_execz .LBB92_320
; %bb.311:
	v_add_u32_e32 v126, -9, v0
	v_cmp_lt_u32_e32 vcc, 6, v126
	v_mov_b32_e32 v126, 8
	s_and_saveexec_b64 s[0:1], vcc
	s_cbranch_execz .LBB92_315
; %bb.312:
	v_and_b32_e32 v126, 24, v0
	v_sub_u32_e32 v127, 0, v126
	s_mov_b64 s[8:9], 15
	s_movk_i32 s12, 0xa0
	s_mov_b64 s[10:11], 0
.LBB92_313:                             ; =>This Inner Loop Header: Depth=1
	s_add_i32 s13, s8, -7
	v_mov_b32_e32 v126, s12
	s_add_i32 s14, s8, -6
	s_set_gpr_idx_on s13, gpr_idx(SRC0)
	v_mov_b32_e32 v136, v34
	s_set_gpr_idx_off
	s_add_i32 s15, s8, -5
	ds_read_b128 v[128:131], v126
	ds_read_b128 v[132:135], v126 offset:16
	s_set_gpr_idx_on s14, gpr_idx(SRC0)
	v_mov_b32_e32 v126, v34
	s_set_gpr_idx_off
	s_add_i32 s16, s8, -4
	s_set_gpr_idx_on s15, gpr_idx(SRC0)
	v_mov_b32_e32 v137, v34
	s_set_gpr_idx_off
	s_add_i32 s17, s8, -3
	;; [unrolled: 4-line block ×4, first 2 shown]
	s_waitcnt lgkmcnt(1)
	v_fmac_f32_e32 v125, v136, v128
	s_set_gpr_idx_on s18, gpr_idx(SRC0)
	v_mov_b32_e32 v128, v34
	s_set_gpr_idx_off
	v_fmac_f32_e32 v125, v126, v129
	s_set_gpr_idx_on s19, gpr_idx(SRC0)
	v_mov_b32_e32 v129, v34
	s_set_gpr_idx_off
	;; [unrolled: 4-line block ×3, first 2 shown]
	v_fmac_f32_e32 v125, v138, v131
	s_add_u32 s8, s8, 8
	s_waitcnt lgkmcnt(0)
	v_fmac_f32_e32 v125, v139, v132
	v_add_u32_e32 v126, s8, v127
	v_fmac_f32_e32 v125, v128, v133
	s_addc_u32 s9, s9, 0
	s_add_i32 s12, s12, 32
	s_add_i32 s13, s8, -7
	v_cmp_eq_u32_e32 vcc, 7, v126
	v_fmac_f32_e32 v125, v129, v134
	v_mov_b32_e32 v126, s13
	s_or_b64 s[10:11], vcc, s[10:11]
	v_fmac_f32_e32 v125, v130, v135
	s_andn2_b64 exec, exec, s[10:11]
	s_cbranch_execnz .LBB92_313
; %bb.314:
	s_or_b64 exec, exec, s[10:11]
.LBB92_315:
	s_or_b64 exec, exec, s[0:1]
	v_and_b32_e32 v63, 7, v0
	v_cmp_ne_u32_e32 vcc, 0, v63
	s_and_saveexec_b64 s[8:9], vcc
	s_cbranch_execz .LBB92_319
; %bb.316:
	v_mov_b32_e32 v64, 0x80
	v_lshl_add_u32 v64, v126, 2, v64
	v_mov_b32_e32 v65, 0
	s_mov_b64 s[10:11], 0
.LBB92_317:                             ; =>This Inner Loop Header: Depth=1
	v_cmp_eq_u32_e32 vcc, 1, v126
	v_cndmask_b32_e32 v127, v34, v35, vcc
	v_add_u32_e32 v63, -1, v63
	v_cmp_eq_u32_e32 vcc, 2, v126
	v_cndmask_b32_e32 v127, v127, v36, vcc
	v_cmp_eq_u32_e32 vcc, 0, v63
	v_cmp_eq_u32_e64 s[0:1], 3, v126
	v_cndmask_b32_e64 v127, v127, v37, s[0:1]
	s_or_b64 s[10:11], vcc, s[10:11]
	v_cmp_eq_u32_e32 vcc, 4, v126
	v_cndmask_b32_e32 v127, v127, v38, vcc
	v_cmp_eq_u32_e32 vcc, 5, v126
	v_cndmask_b32_e32 v127, v127, v39, vcc
	;; [unrolled: 2-line block ×20, first 2 shown]
	v_cmp_eq_u32_e32 vcc, 24, v126
	ds_read_b32 v128, v64
	v_cndmask_b32_e32 v127, v127, v58, vcc
	v_cmp_eq_u32_e32 vcc, 25, v126
	v_cndmask_b32_e32 v127, v127, v59, vcc
	v_cmp_eq_u32_e32 vcc, 26, v126
	;; [unrolled: 2-line block ×4, first 2 shown]
	v_add_co_u32_e64 v126, s[0:1], 1, v126
	v_cndmask_b32_e32 v127, v127, v62, vcc
	v_add_u32_e32 v64, 4, v64
	v_addc_co_u32_e64 v65, s[0:1], 0, v65, s[0:1]
	s_waitcnt lgkmcnt(0)
	v_fmac_f32_e32 v125, v127, v128
	s_andn2_b64 exec, exec, s[10:11]
	s_cbranch_execnz .LBB92_317
; %bb.318:
	s_or_b64 exec, exec, s[10:11]
.LBB92_319:
	s_or_b64 exec, exec, s[8:9]
.LBB92_320:
	s_or_b64 exec, exec, s[6:7]
	v_mov_b32_e32 v41, 0
	ds_read_b32 v41, v41 offset:28
	s_waitcnt lgkmcnt(0)
	v_mul_f32_e32 v41, v125, v41
.LBB92_321:
	s_or_b64 exec, exec, s[4:5]
	v_cmp_lt_u32_e64 s[0:1], 6, v0
	ds_write_b32 v124, v40
	s_waitcnt lgkmcnt(0)
	; wave barrier
	s_and_saveexec_b64 s[4:5], s[0:1]
	s_cbranch_execz .LBB92_337
; %bb.322:
	s_andn2_b64 vcc, exec, s[62:63]
	s_cbranch_vccnz .LBB92_324
; %bb.323:
	v_cmp_eq_u32_e32 vcc, 1, v0
	v_cndmask_b32_e32 v125, v34, v35, vcc
	v_cmp_eq_u32_e32 vcc, 2, v0
	v_cndmask_b32_e32 v125, v125, v36, vcc
	;; [unrolled: 2-line block ×24, first 2 shown]
	v_cmp_eq_u32_e32 vcc, 25, v0
	ds_read_b32 v126, v124
	v_cndmask_b32_e32 v125, v125, v59, vcc
	v_cmp_eq_u32_e32 vcc, 26, v0
	v_cndmask_b32_e32 v125, v125, v60, vcc
	v_cmp_eq_u32_e32 vcc, 27, v0
	;; [unrolled: 2-line block ×3, first 2 shown]
	v_cndmask_b32_e32 v125, v125, v62, vcc
	s_waitcnt lgkmcnt(0)
	v_mul_f32_e32 v125, v125, v126
	s_cbranch_execz .LBB92_325
	s_branch .LBB92_326
.LBB92_324:
                                        ; implicit-def: $vgpr125
.LBB92_325:
	ds_read_b32 v125, v124
.LBB92_326:
	s_and_saveexec_b64 s[6:7], s[2:3]
	s_cbranch_execz .LBB92_336
; %bb.327:
	v_add_u32_e32 v126, -8, v0
	v_add_u32_e32 v127, -7, v0
	v_cmp_lt_u32_e32 vcc, 6, v126
	v_mov_b32_e32 v126, 7
	s_and_saveexec_b64 s[2:3], vcc
	s_cbranch_execz .LBB92_331
; %bb.328:
	v_and_b32_e32 v126, -8, v127
	v_sub_u32_e32 v128, 0, v126
	s_mov_b64 s[8:9], 14
	s_movk_i32 s12, 0x9c
	s_mov_b64 s[10:11], 0
.LBB92_329:                             ; =>This Inner Loop Header: Depth=1
	s_add_i32 s13, s8, -7
	v_mov_b32_e32 v126, s12
	s_add_i32 s14, s8, -6
	s_set_gpr_idx_on s13, gpr_idx(SRC0)
	v_mov_b32_e32 v135, v34
	s_set_gpr_idx_off
	ds_read2_b32 v[129:130], v126 offset1:1
	s_add_i32 s15, s8, -5
	s_set_gpr_idx_on s14, gpr_idx(SRC0)
	v_mov_b32_e32 v136, v34
	s_set_gpr_idx_off
	s_add_i32 s16, s8, -4
	s_set_gpr_idx_on s15, gpr_idx(SRC0)
	v_mov_b32_e32 v137, v34
	s_set_gpr_idx_off
	ds_read2_b32 v[131:132], v126 offset0:2 offset1:3
	s_add_i32 s17, s8, -3
	s_set_gpr_idx_on s16, gpr_idx(SRC0)
	v_mov_b32_e32 v138, v34
	s_set_gpr_idx_off
	s_add_i32 s18, s8, -2
	s_set_gpr_idx_on s17, gpr_idx(SRC0)
	v_mov_b32_e32 v139, v34
	s_set_gpr_idx_off
	ds_read2_b32 v[133:134], v126 offset0:4 offset1:5
	s_add_i32 s19, s8, -1
	s_waitcnt lgkmcnt(2)
	v_fmac_f32_e32 v125, v135, v129
	s_set_gpr_idx_on s18, gpr_idx(SRC0)
	v_mov_b32_e32 v135, v34
	s_set_gpr_idx_off
	v_fmac_f32_e32 v125, v136, v130
	s_set_gpr_idx_on s19, gpr_idx(SRC0)
	v_mov_b32_e32 v136, v34
	s_set_gpr_idx_off
	ds_read2_b32 v[129:130], v126 offset0:6 offset1:7
	s_waitcnt lgkmcnt(2)
	v_fmac_f32_e32 v125, v137, v131
	s_set_gpr_idx_on s8, gpr_idx(SRC0)
	v_mov_b32_e32 v131, v34
	s_set_gpr_idx_off
	v_fmac_f32_e32 v125, v138, v132
	s_add_u32 s8, s8, 8
	s_waitcnt lgkmcnt(1)
	v_fmac_f32_e32 v125, v139, v133
	v_add_u32_e32 v126, s8, v128
	v_fmac_f32_e32 v125, v135, v134
	s_addc_u32 s9, s9, 0
	s_add_i32 s12, s12, 32
	s_add_i32 s13, s8, -7
	v_cmp_eq_u32_e32 vcc, 14, v126
	s_waitcnt lgkmcnt(0)
	v_fmac_f32_e32 v125, v136, v129
	v_mov_b32_e32 v126, s13
	s_or_b64 s[10:11], vcc, s[10:11]
	v_fmac_f32_e32 v125, v131, v130
	s_andn2_b64 exec, exec, s[10:11]
	s_cbranch_execnz .LBB92_329
; %bb.330:
	s_or_b64 exec, exec, s[10:11]
.LBB92_331:
	s_or_b64 exec, exec, s[2:3]
	v_and_b32_e32 v63, 7, v127
	v_cmp_ne_u32_e32 vcc, 0, v63
	s_and_saveexec_b64 s[8:9], vcc
	s_cbranch_execz .LBB92_335
; %bb.332:
	v_mov_b32_e32 v64, 0x80
	v_lshl_add_u32 v64, v126, 2, v64
	v_mov_b32_e32 v65, 0
	s_mov_b64 s[10:11], 0
.LBB92_333:                             ; =>This Inner Loop Header: Depth=1
	v_cmp_eq_u32_e32 vcc, 1, v126
	v_cndmask_b32_e32 v127, v34, v35, vcc
	v_add_u32_e32 v63, -1, v63
	v_cmp_eq_u32_e32 vcc, 2, v126
	v_cndmask_b32_e32 v127, v127, v36, vcc
	v_cmp_eq_u32_e32 vcc, 0, v63
	v_cmp_eq_u32_e64 s[2:3], 3, v126
	v_cndmask_b32_e64 v127, v127, v37, s[2:3]
	s_or_b64 s[10:11], vcc, s[10:11]
	v_cmp_eq_u32_e32 vcc, 4, v126
	v_cndmask_b32_e32 v127, v127, v38, vcc
	v_cmp_eq_u32_e32 vcc, 5, v126
	v_cndmask_b32_e32 v127, v127, v39, vcc
	;; [unrolled: 2-line block ×20, first 2 shown]
	v_cmp_eq_u32_e32 vcc, 24, v126
	ds_read_b32 v128, v64
	v_cndmask_b32_e32 v127, v127, v58, vcc
	v_cmp_eq_u32_e32 vcc, 25, v126
	v_cndmask_b32_e32 v127, v127, v59, vcc
	v_cmp_eq_u32_e32 vcc, 26, v126
	;; [unrolled: 2-line block ×4, first 2 shown]
	v_add_co_u32_e64 v126, s[2:3], 1, v126
	v_cndmask_b32_e32 v127, v127, v62, vcc
	v_add_u32_e32 v64, 4, v64
	v_addc_co_u32_e64 v65, s[2:3], 0, v65, s[2:3]
	s_waitcnt lgkmcnt(0)
	v_fmac_f32_e32 v125, v127, v128
	s_andn2_b64 exec, exec, s[10:11]
	s_cbranch_execnz .LBB92_333
; %bb.334:
	s_or_b64 exec, exec, s[10:11]
.LBB92_335:
	s_or_b64 exec, exec, s[8:9]
.LBB92_336:
	s_or_b64 exec, exec, s[6:7]
	v_mov_b32_e32 v40, 0
	ds_read_b32 v40, v40 offset:24
	s_waitcnt lgkmcnt(0)
	v_mul_f32_e32 v40, v125, v40
.LBB92_337:
	s_or_b64 exec, exec, s[4:5]
	v_cmp_lt_u32_e64 s[2:3], 5, v0
	ds_write_b32 v124, v39
	s_waitcnt lgkmcnt(0)
	; wave barrier
	s_and_saveexec_b64 s[4:5], s[2:3]
	s_cbranch_execz .LBB92_353
; %bb.338:
	s_andn2_b64 vcc, exec, s[62:63]
	s_cbranch_vccnz .LBB92_340
; %bb.339:
	v_cmp_eq_u32_e32 vcc, 1, v0
	v_cndmask_b32_e32 v125, v34, v35, vcc
	v_cmp_eq_u32_e32 vcc, 2, v0
	v_cndmask_b32_e32 v125, v125, v36, vcc
	;; [unrolled: 2-line block ×24, first 2 shown]
	v_cmp_eq_u32_e32 vcc, 25, v0
	ds_read_b32 v126, v124
	v_cndmask_b32_e32 v125, v125, v59, vcc
	v_cmp_eq_u32_e32 vcc, 26, v0
	v_cndmask_b32_e32 v125, v125, v60, vcc
	v_cmp_eq_u32_e32 vcc, 27, v0
	;; [unrolled: 2-line block ×3, first 2 shown]
	v_cndmask_b32_e32 v125, v125, v62, vcc
	s_waitcnt lgkmcnt(0)
	v_mul_f32_e32 v125, v125, v126
	s_cbranch_execz .LBB92_341
	s_branch .LBB92_342
.LBB92_340:
                                        ; implicit-def: $vgpr125
.LBB92_341:
	ds_read_b32 v125, v124
.LBB92_342:
	s_and_saveexec_b64 s[6:7], s[0:1]
	s_cbranch_execz .LBB92_352
; %bb.343:
	v_add_u32_e32 v128, -7, v0
	v_add_u32_e32 v127, -6, v0
	v_mov_b32_e32 v126, 6
	v_cmp_lt_u32_e32 vcc, 6, v128
	s_and_saveexec_b64 s[0:1], vcc
	s_cbranch_execz .LBB92_347
; %bb.344:
	v_and_b32_e32 v126, -8, v127
	v_sub_u32_e32 v128, 0, v126
	s_mov_b64 s[8:9], 13
	s_movk_i32 s12, 0x98
	s_mov_b64 s[10:11], 0
.LBB92_345:                             ; =>This Inner Loop Header: Depth=1
	s_add_i32 s13, s8, -7
	v_mov_b32_e32 v126, s12
	s_add_i32 s14, s8, -6
	s_set_gpr_idx_on s13, gpr_idx(SRC0)
	v_mov_b32_e32 v137, v34
	s_set_gpr_idx_off
	ds_read2_b64 v[129:132], v126 offset1:1
	s_add_i32 s15, s8, -5
	s_set_gpr_idx_on s14, gpr_idx(SRC0)
	v_mov_b32_e32 v138, v34
	s_set_gpr_idx_off
	s_add_i32 s16, s8, -4
	s_set_gpr_idx_on s15, gpr_idx(SRC0)
	v_mov_b32_e32 v139, v34
	s_set_gpr_idx_off
	;; [unrolled: 4-line block ×4, first 2 shown]
	ds_read2_b64 v[133:136], v126 offset0:2 offset1:3
	s_add_i32 s19, s8, -1
	s_waitcnt lgkmcnt(1)
	v_fmac_f32_e32 v125, v137, v129
	s_set_gpr_idx_on s18, gpr_idx(SRC0)
	v_mov_b32_e32 v129, v34
	s_set_gpr_idx_off
	v_fmac_f32_e32 v125, v138, v130
	s_set_gpr_idx_on s19, gpr_idx(SRC0)
	v_mov_b32_e32 v130, v34
	s_set_gpr_idx_off
	;; [unrolled: 4-line block ×3, first 2 shown]
	v_fmac_f32_e32 v125, v140, v132
	s_add_u32 s8, s8, 8
	s_waitcnt lgkmcnt(0)
	v_fmac_f32_e32 v125, v141, v133
	v_add_u32_e32 v126, s8, v128
	v_fmac_f32_e32 v125, v129, v134
	s_addc_u32 s9, s9, 0
	s_add_i32 s12, s12, 32
	s_add_i32 s13, s8, -7
	v_cmp_eq_u32_e32 vcc, 13, v126
	v_fmac_f32_e32 v125, v130, v135
	v_mov_b32_e32 v126, s13
	s_or_b64 s[10:11], vcc, s[10:11]
	v_fmac_f32_e32 v125, v131, v136
	s_andn2_b64 exec, exec, s[10:11]
	s_cbranch_execnz .LBB92_345
; %bb.346:
	s_or_b64 exec, exec, s[10:11]
.LBB92_347:
	s_or_b64 exec, exec, s[0:1]
	v_and_b32_e32 v63, 7, v127
	v_cmp_ne_u32_e32 vcc, 0, v63
	s_and_saveexec_b64 s[8:9], vcc
	s_cbranch_execz .LBB92_351
; %bb.348:
	v_mov_b32_e32 v64, 0x80
	v_lshl_add_u32 v64, v126, 2, v64
	v_mov_b32_e32 v65, 0
	s_mov_b64 s[10:11], 0
.LBB92_349:                             ; =>This Inner Loop Header: Depth=1
	v_cmp_eq_u32_e32 vcc, 1, v126
	v_cndmask_b32_e32 v127, v34, v35, vcc
	v_add_u32_e32 v63, -1, v63
	v_cmp_eq_u32_e32 vcc, 2, v126
	v_cndmask_b32_e32 v127, v127, v36, vcc
	v_cmp_eq_u32_e32 vcc, 0, v63
	v_cmp_eq_u32_e64 s[0:1], 3, v126
	v_cndmask_b32_e64 v127, v127, v37, s[0:1]
	s_or_b64 s[10:11], vcc, s[10:11]
	v_cmp_eq_u32_e32 vcc, 4, v126
	v_cndmask_b32_e32 v127, v127, v38, vcc
	v_cmp_eq_u32_e32 vcc, 5, v126
	v_cndmask_b32_e32 v127, v127, v39, vcc
	;; [unrolled: 2-line block ×20, first 2 shown]
	v_cmp_eq_u32_e32 vcc, 24, v126
	ds_read_b32 v128, v64
	v_cndmask_b32_e32 v127, v127, v58, vcc
	v_cmp_eq_u32_e32 vcc, 25, v126
	v_cndmask_b32_e32 v127, v127, v59, vcc
	v_cmp_eq_u32_e32 vcc, 26, v126
	;; [unrolled: 2-line block ×4, first 2 shown]
	v_add_co_u32_e64 v126, s[0:1], 1, v126
	v_cndmask_b32_e32 v127, v127, v62, vcc
	v_add_u32_e32 v64, 4, v64
	v_addc_co_u32_e64 v65, s[0:1], 0, v65, s[0:1]
	s_waitcnt lgkmcnt(0)
	v_fmac_f32_e32 v125, v127, v128
	s_andn2_b64 exec, exec, s[10:11]
	s_cbranch_execnz .LBB92_349
; %bb.350:
	s_or_b64 exec, exec, s[10:11]
.LBB92_351:
	s_or_b64 exec, exec, s[8:9]
.LBB92_352:
	s_or_b64 exec, exec, s[6:7]
	v_mov_b32_e32 v39, 0
	ds_read_b32 v39, v39 offset:20
	s_waitcnt lgkmcnt(0)
	v_mul_f32_e32 v39, v125, v39
.LBB92_353:
	s_or_b64 exec, exec, s[4:5]
	v_cmp_lt_u32_e64 s[0:1], 4, v0
	ds_write_b32 v124, v38
	s_waitcnt lgkmcnt(0)
	; wave barrier
	s_and_saveexec_b64 s[4:5], s[0:1]
	s_cbranch_execz .LBB92_369
; %bb.354:
	s_andn2_b64 vcc, exec, s[62:63]
	s_cbranch_vccnz .LBB92_356
; %bb.355:
	v_cmp_eq_u32_e32 vcc, 1, v0
	v_cndmask_b32_e32 v125, v34, v35, vcc
	v_cmp_eq_u32_e32 vcc, 2, v0
	v_cndmask_b32_e32 v125, v125, v36, vcc
	;; [unrolled: 2-line block ×24, first 2 shown]
	v_cmp_eq_u32_e32 vcc, 25, v0
	ds_read_b32 v126, v124
	v_cndmask_b32_e32 v125, v125, v59, vcc
	v_cmp_eq_u32_e32 vcc, 26, v0
	v_cndmask_b32_e32 v125, v125, v60, vcc
	v_cmp_eq_u32_e32 vcc, 27, v0
	;; [unrolled: 2-line block ×3, first 2 shown]
	v_cndmask_b32_e32 v125, v125, v62, vcc
	s_waitcnt lgkmcnt(0)
	v_mul_f32_e32 v125, v125, v126
	s_cbranch_execz .LBB92_357
	s_branch .LBB92_358
.LBB92_356:
                                        ; implicit-def: $vgpr125
.LBB92_357:
	ds_read_b32 v125, v124
.LBB92_358:
	s_and_saveexec_b64 s[6:7], s[2:3]
	s_cbranch_execz .LBB92_368
; %bb.359:
	v_add_u32_e32 v126, -6, v0
	v_add_u32_e32 v127, -5, v0
	v_cmp_lt_u32_e32 vcc, 6, v126
	v_mov_b32_e32 v126, 5
	s_and_saveexec_b64 s[2:3], vcc
	s_cbranch_execz .LBB92_363
; %bb.360:
	v_and_b32_e32 v126, -8, v127
	v_sub_u32_e32 v128, 0, v126
	s_mov_b64 s[8:9], 12
	s_movk_i32 s12, 0x94
	s_mov_b64 s[10:11], 0
.LBB92_361:                             ; =>This Inner Loop Header: Depth=1
	s_add_i32 s13, s8, -7
	v_mov_b32_e32 v126, s12
	s_add_i32 s14, s8, -6
	s_set_gpr_idx_on s13, gpr_idx(SRC0)
	v_mov_b32_e32 v135, v34
	s_set_gpr_idx_off
	ds_read2_b32 v[129:130], v126 offset1:1
	s_add_i32 s15, s8, -5
	s_set_gpr_idx_on s14, gpr_idx(SRC0)
	v_mov_b32_e32 v136, v34
	s_set_gpr_idx_off
	s_add_i32 s16, s8, -4
	s_set_gpr_idx_on s15, gpr_idx(SRC0)
	v_mov_b32_e32 v137, v34
	s_set_gpr_idx_off
	ds_read2_b32 v[131:132], v126 offset0:2 offset1:3
	s_add_i32 s17, s8, -3
	s_set_gpr_idx_on s16, gpr_idx(SRC0)
	v_mov_b32_e32 v138, v34
	s_set_gpr_idx_off
	s_add_i32 s18, s8, -2
	s_set_gpr_idx_on s17, gpr_idx(SRC0)
	v_mov_b32_e32 v139, v34
	s_set_gpr_idx_off
	ds_read2_b32 v[133:134], v126 offset0:4 offset1:5
	s_add_i32 s19, s8, -1
	s_waitcnt lgkmcnt(2)
	v_fmac_f32_e32 v125, v135, v129
	s_set_gpr_idx_on s18, gpr_idx(SRC0)
	v_mov_b32_e32 v135, v34
	s_set_gpr_idx_off
	v_fmac_f32_e32 v125, v136, v130
	s_set_gpr_idx_on s19, gpr_idx(SRC0)
	v_mov_b32_e32 v136, v34
	s_set_gpr_idx_off
	ds_read2_b32 v[129:130], v126 offset0:6 offset1:7
	s_waitcnt lgkmcnt(2)
	v_fmac_f32_e32 v125, v137, v131
	s_set_gpr_idx_on s8, gpr_idx(SRC0)
	v_mov_b32_e32 v131, v34
	s_set_gpr_idx_off
	v_fmac_f32_e32 v125, v138, v132
	s_add_u32 s8, s8, 8
	s_waitcnt lgkmcnt(1)
	v_fmac_f32_e32 v125, v139, v133
	v_add_u32_e32 v126, s8, v128
	v_fmac_f32_e32 v125, v135, v134
	s_addc_u32 s9, s9, 0
	s_add_i32 s12, s12, 32
	s_add_i32 s13, s8, -7
	v_cmp_eq_u32_e32 vcc, 12, v126
	s_waitcnt lgkmcnt(0)
	v_fmac_f32_e32 v125, v136, v129
	v_mov_b32_e32 v126, s13
	s_or_b64 s[10:11], vcc, s[10:11]
	v_fmac_f32_e32 v125, v131, v130
	s_andn2_b64 exec, exec, s[10:11]
	s_cbranch_execnz .LBB92_361
; %bb.362:
	s_or_b64 exec, exec, s[10:11]
.LBB92_363:
	s_or_b64 exec, exec, s[2:3]
	v_and_b32_e32 v63, 7, v127
	v_cmp_ne_u32_e32 vcc, 0, v63
	s_and_saveexec_b64 s[8:9], vcc
	s_cbranch_execz .LBB92_367
; %bb.364:
	v_mov_b32_e32 v64, 0x80
	v_lshl_add_u32 v64, v126, 2, v64
	v_mov_b32_e32 v65, 0
	s_mov_b64 s[10:11], 0
.LBB92_365:                             ; =>This Inner Loop Header: Depth=1
	v_cmp_eq_u32_e32 vcc, 1, v126
	v_cndmask_b32_e32 v127, v34, v35, vcc
	v_add_u32_e32 v63, -1, v63
	v_cmp_eq_u32_e32 vcc, 2, v126
	v_cndmask_b32_e32 v127, v127, v36, vcc
	v_cmp_eq_u32_e32 vcc, 0, v63
	v_cmp_eq_u32_e64 s[2:3], 3, v126
	v_cndmask_b32_e64 v127, v127, v37, s[2:3]
	s_or_b64 s[10:11], vcc, s[10:11]
	v_cmp_eq_u32_e32 vcc, 4, v126
	v_cndmask_b32_e32 v127, v127, v38, vcc
	v_cmp_eq_u32_e32 vcc, 5, v126
	v_cndmask_b32_e32 v127, v127, v39, vcc
	;; [unrolled: 2-line block ×20, first 2 shown]
	v_cmp_eq_u32_e32 vcc, 24, v126
	ds_read_b32 v128, v64
	v_cndmask_b32_e32 v127, v127, v58, vcc
	v_cmp_eq_u32_e32 vcc, 25, v126
	v_cndmask_b32_e32 v127, v127, v59, vcc
	v_cmp_eq_u32_e32 vcc, 26, v126
	;; [unrolled: 2-line block ×4, first 2 shown]
	v_add_co_u32_e64 v126, s[2:3], 1, v126
	v_cndmask_b32_e32 v127, v127, v62, vcc
	v_add_u32_e32 v64, 4, v64
	v_addc_co_u32_e64 v65, s[2:3], 0, v65, s[2:3]
	s_waitcnt lgkmcnt(0)
	v_fmac_f32_e32 v125, v127, v128
	s_andn2_b64 exec, exec, s[10:11]
	s_cbranch_execnz .LBB92_365
; %bb.366:
	s_or_b64 exec, exec, s[10:11]
.LBB92_367:
	s_or_b64 exec, exec, s[8:9]
.LBB92_368:
	s_or_b64 exec, exec, s[6:7]
	v_mov_b32_e32 v38, 0
	ds_read_b32 v38, v38 offset:16
	s_waitcnt lgkmcnt(0)
	v_mul_f32_e32 v38, v125, v38
.LBB92_369:
	s_or_b64 exec, exec, s[4:5]
	v_cmp_lt_u32_e64 s[2:3], 3, v0
	ds_write_b32 v124, v37
	s_waitcnt lgkmcnt(0)
	; wave barrier
	s_and_saveexec_b64 s[4:5], s[2:3]
	s_cbranch_execz .LBB92_385
; %bb.370:
	s_andn2_b64 vcc, exec, s[62:63]
	s_cbranch_vccnz .LBB92_372
; %bb.371:
	v_cmp_eq_u32_e32 vcc, 1, v0
	v_cndmask_b32_e32 v125, v34, v35, vcc
	v_cmp_eq_u32_e32 vcc, 2, v0
	v_cndmask_b32_e32 v125, v125, v36, vcc
	;; [unrolled: 2-line block ×24, first 2 shown]
	v_cmp_eq_u32_e32 vcc, 25, v0
	ds_read_b32 v126, v124
	v_cndmask_b32_e32 v125, v125, v59, vcc
	v_cmp_eq_u32_e32 vcc, 26, v0
	v_cndmask_b32_e32 v125, v125, v60, vcc
	v_cmp_eq_u32_e32 vcc, 27, v0
	;; [unrolled: 2-line block ×3, first 2 shown]
	v_cndmask_b32_e32 v125, v125, v62, vcc
	s_waitcnt lgkmcnt(0)
	v_mul_f32_e32 v125, v125, v126
	s_cbranch_execz .LBB92_373
	s_branch .LBB92_374
.LBB92_372:
                                        ; implicit-def: $vgpr125
.LBB92_373:
	ds_read_b32 v125, v124
.LBB92_374:
	s_and_saveexec_b64 s[6:7], s[0:1]
	s_cbranch_execz .LBB92_384
; %bb.375:
	v_add_u32_e32 v126, -5, v0
	v_add_u32_e32 v127, -4, v0
	v_cmp_lt_u32_e32 vcc, 6, v126
	v_mov_b32_e32 v126, 4
	s_and_saveexec_b64 s[0:1], vcc
	s_cbranch_execz .LBB92_379
; %bb.376:
	v_and_b32_e32 v126, -8, v127
	v_sub_u32_e32 v128, 0, v126
	s_mov_b64 s[8:9], 5
	s_movk_i32 s12, 0x90
	s_mov_b64 s[10:11], 0
.LBB92_377:                             ; =>This Inner Loop Header: Depth=1
	s_add_i32 s13, s8, -1
	v_mov_b32_e32 v126, s12
	s_set_gpr_idx_on s13, gpr_idx(SRC0)
	v_mov_b32_e32 v137, v34
	s_set_gpr_idx_off
	s_add_i32 s14, s8, 1
	ds_read_b128 v[129:132], v126
	ds_read_b128 v[133:136], v126 offset:16
	s_set_gpr_idx_on s8, gpr_idx(SRC0)
	v_mov_b32_e32 v138, v34
	s_set_gpr_idx_off
	s_add_i32 s15, s8, 2
	s_set_gpr_idx_on s14, gpr_idx(SRC0)
	v_mov_b32_e32 v139, v34
	s_set_gpr_idx_off
	s_add_i32 s16, s8, 3
	;; [unrolled: 4-line block ×4, first 2 shown]
	s_waitcnt lgkmcnt(1)
	v_fmac_f32_e32 v125, v137, v129
	s_set_gpr_idx_on s17, gpr_idx(SRC0)
	v_mov_b32_e32 v129, v34
	s_set_gpr_idx_off
	s_add_i32 s19, s8, 6
	v_fmac_f32_e32 v125, v138, v130
	s_set_gpr_idx_on s18, gpr_idx(SRC0)
	v_mov_b32_e32 v130, v34
	s_set_gpr_idx_off
	v_fmac_f32_e32 v125, v139, v131
	s_set_gpr_idx_on s19, gpr_idx(SRC0)
	v_mov_b32_e32 v131, v34
	s_set_gpr_idx_off
	v_fmac_f32_e32 v125, v140, v132
	s_add_u32 s8, s8, 8
	s_waitcnt lgkmcnt(0)
	v_fmac_f32_e32 v125, v141, v133
	v_add_u32_e32 v126, s8, v128
	v_fmac_f32_e32 v125, v129, v134
	s_addc_u32 s9, s9, 0
	s_add_i32 s12, s12, 32
	s_add_i32 s13, s8, -1
	v_cmp_eq_u32_e32 vcc, 5, v126
	v_fmac_f32_e32 v125, v130, v135
	v_mov_b32_e32 v126, s13
	s_or_b64 s[10:11], vcc, s[10:11]
	v_fmac_f32_e32 v125, v131, v136
	s_andn2_b64 exec, exec, s[10:11]
	s_cbranch_execnz .LBB92_377
; %bb.378:
	s_or_b64 exec, exec, s[10:11]
.LBB92_379:
	s_or_b64 exec, exec, s[0:1]
	v_and_b32_e32 v63, 7, v127
	v_cmp_ne_u32_e32 vcc, 0, v63
	s_and_saveexec_b64 s[8:9], vcc
	s_cbranch_execz .LBB92_383
; %bb.380:
	v_mov_b32_e32 v64, 0x80
	v_lshl_add_u32 v64, v126, 2, v64
	v_mov_b32_e32 v65, 0
	s_mov_b64 s[10:11], 0
.LBB92_381:                             ; =>This Inner Loop Header: Depth=1
	v_cmp_eq_u32_e32 vcc, 1, v126
	v_cndmask_b32_e32 v127, v34, v35, vcc
	v_add_u32_e32 v63, -1, v63
	v_cmp_eq_u32_e32 vcc, 2, v126
	v_cndmask_b32_e32 v127, v127, v36, vcc
	v_cmp_eq_u32_e32 vcc, 0, v63
	v_cmp_eq_u32_e64 s[0:1], 3, v126
	v_cndmask_b32_e64 v127, v127, v37, s[0:1]
	s_or_b64 s[10:11], vcc, s[10:11]
	v_cmp_eq_u32_e32 vcc, 4, v126
	v_cndmask_b32_e32 v127, v127, v38, vcc
	v_cmp_eq_u32_e32 vcc, 5, v126
	v_cndmask_b32_e32 v127, v127, v39, vcc
	;; [unrolled: 2-line block ×20, first 2 shown]
	v_cmp_eq_u32_e32 vcc, 24, v126
	ds_read_b32 v128, v64
	v_cndmask_b32_e32 v127, v127, v58, vcc
	v_cmp_eq_u32_e32 vcc, 25, v126
	v_cndmask_b32_e32 v127, v127, v59, vcc
	v_cmp_eq_u32_e32 vcc, 26, v126
	;; [unrolled: 2-line block ×4, first 2 shown]
	v_add_co_u32_e64 v126, s[0:1], 1, v126
	v_cndmask_b32_e32 v127, v127, v62, vcc
	v_add_u32_e32 v64, 4, v64
	v_addc_co_u32_e64 v65, s[0:1], 0, v65, s[0:1]
	s_waitcnt lgkmcnt(0)
	v_fmac_f32_e32 v125, v127, v128
	s_andn2_b64 exec, exec, s[10:11]
	s_cbranch_execnz .LBB92_381
; %bb.382:
	s_or_b64 exec, exec, s[10:11]
.LBB92_383:
	s_or_b64 exec, exec, s[8:9]
.LBB92_384:
	s_or_b64 exec, exec, s[6:7]
	v_mov_b32_e32 v37, 0
	ds_read_b32 v37, v37 offset:12
	s_waitcnt lgkmcnt(0)
	v_mul_f32_e32 v37, v125, v37
.LBB92_385:
	s_or_b64 exec, exec, s[4:5]
	v_cmp_lt_u32_e64 s[0:1], 2, v0
	ds_write_b32 v124, v36
	s_waitcnt lgkmcnt(0)
	; wave barrier
	s_and_saveexec_b64 s[4:5], s[0:1]
	s_cbranch_execz .LBB92_401
; %bb.386:
	s_andn2_b64 vcc, exec, s[62:63]
	s_cbranch_vccnz .LBB92_388
; %bb.387:
	v_cmp_eq_u32_e32 vcc, 1, v0
	v_cndmask_b32_e32 v125, v34, v35, vcc
	v_cmp_eq_u32_e32 vcc, 2, v0
	v_cndmask_b32_e32 v125, v125, v36, vcc
	;; [unrolled: 2-line block ×24, first 2 shown]
	v_cmp_eq_u32_e32 vcc, 25, v0
	ds_read_b32 v126, v124
	v_cndmask_b32_e32 v125, v125, v59, vcc
	v_cmp_eq_u32_e32 vcc, 26, v0
	v_cndmask_b32_e32 v125, v125, v60, vcc
	v_cmp_eq_u32_e32 vcc, 27, v0
	;; [unrolled: 2-line block ×3, first 2 shown]
	v_cndmask_b32_e32 v125, v125, v62, vcc
	s_waitcnt lgkmcnt(0)
	v_mul_f32_e32 v125, v125, v126
	s_cbranch_execz .LBB92_389
	s_branch .LBB92_390
.LBB92_388:
                                        ; implicit-def: $vgpr125
.LBB92_389:
	ds_read_b32 v125, v124
.LBB92_390:
	s_and_saveexec_b64 s[6:7], s[2:3]
	s_cbranch_execz .LBB92_400
; %bb.391:
	v_add_u32_e32 v126, -4, v0
	v_add_u32_e32 v127, -3, v0
	v_cmp_lt_u32_e32 vcc, 6, v126
	v_mov_b32_e32 v126, 3
	s_and_saveexec_b64 s[2:3], vcc
	s_cbranch_execz .LBB92_395
; %bb.392:
	v_and_b32_e32 v126, -8, v127
	v_sub_u32_e32 v128, 0, v126
	s_mov_b64 s[8:9], 10
	s_movk_i32 s12, 0x8c
	s_mov_b64 s[10:11], 0
.LBB92_393:                             ; =>This Inner Loop Header: Depth=1
	s_add_i32 s13, s8, -7
	v_mov_b32_e32 v126, s12
	s_add_i32 s14, s8, -6
	s_set_gpr_idx_on s13, gpr_idx(SRC0)
	v_mov_b32_e32 v135, v34
	s_set_gpr_idx_off
	ds_read2_b32 v[129:130], v126 offset1:1
	s_add_i32 s15, s8, -5
	s_set_gpr_idx_on s14, gpr_idx(SRC0)
	v_mov_b32_e32 v136, v34
	s_set_gpr_idx_off
	s_add_i32 s16, s8, -4
	s_set_gpr_idx_on s15, gpr_idx(SRC0)
	v_mov_b32_e32 v137, v34
	s_set_gpr_idx_off
	ds_read2_b32 v[131:132], v126 offset0:2 offset1:3
	s_add_i32 s17, s8, -3
	s_set_gpr_idx_on s16, gpr_idx(SRC0)
	v_mov_b32_e32 v138, v34
	s_set_gpr_idx_off
	s_add_i32 s18, s8, -2
	s_set_gpr_idx_on s17, gpr_idx(SRC0)
	v_mov_b32_e32 v139, v34
	s_set_gpr_idx_off
	ds_read2_b32 v[133:134], v126 offset0:4 offset1:5
	s_add_i32 s19, s8, -1
	s_waitcnt lgkmcnt(2)
	v_fmac_f32_e32 v125, v135, v129
	s_set_gpr_idx_on s18, gpr_idx(SRC0)
	v_mov_b32_e32 v135, v34
	s_set_gpr_idx_off
	v_fmac_f32_e32 v125, v136, v130
	s_set_gpr_idx_on s19, gpr_idx(SRC0)
	v_mov_b32_e32 v136, v34
	s_set_gpr_idx_off
	ds_read2_b32 v[129:130], v126 offset0:6 offset1:7
	s_waitcnt lgkmcnt(2)
	v_fmac_f32_e32 v125, v137, v131
	s_set_gpr_idx_on s8, gpr_idx(SRC0)
	v_mov_b32_e32 v131, v34
	s_set_gpr_idx_off
	v_fmac_f32_e32 v125, v138, v132
	s_add_u32 s8, s8, 8
	s_waitcnt lgkmcnt(1)
	v_fmac_f32_e32 v125, v139, v133
	v_add_u32_e32 v126, s8, v128
	v_fmac_f32_e32 v125, v135, v134
	s_addc_u32 s9, s9, 0
	s_add_i32 s12, s12, 32
	s_add_i32 s13, s8, -7
	v_cmp_eq_u32_e32 vcc, 10, v126
	s_waitcnt lgkmcnt(0)
	v_fmac_f32_e32 v125, v136, v129
	v_mov_b32_e32 v126, s13
	s_or_b64 s[10:11], vcc, s[10:11]
	v_fmac_f32_e32 v125, v131, v130
	s_andn2_b64 exec, exec, s[10:11]
	s_cbranch_execnz .LBB92_393
; %bb.394:
	s_or_b64 exec, exec, s[10:11]
.LBB92_395:
	s_or_b64 exec, exec, s[2:3]
	v_and_b32_e32 v63, 7, v127
	v_cmp_ne_u32_e32 vcc, 0, v63
	s_and_saveexec_b64 s[8:9], vcc
	s_cbranch_execz .LBB92_399
; %bb.396:
	v_mov_b32_e32 v64, 0x80
	v_lshl_add_u32 v64, v126, 2, v64
	v_mov_b32_e32 v65, 0
	s_mov_b64 s[10:11], 0
.LBB92_397:                             ; =>This Inner Loop Header: Depth=1
	v_cmp_eq_u32_e32 vcc, 1, v126
	v_cndmask_b32_e32 v127, v34, v35, vcc
	v_add_u32_e32 v63, -1, v63
	v_cmp_eq_u32_e32 vcc, 2, v126
	v_cndmask_b32_e32 v127, v127, v36, vcc
	v_cmp_eq_u32_e32 vcc, 0, v63
	v_cmp_eq_u32_e64 s[2:3], 3, v126
	v_cndmask_b32_e64 v127, v127, v37, s[2:3]
	s_or_b64 s[10:11], vcc, s[10:11]
	v_cmp_eq_u32_e32 vcc, 4, v126
	v_cndmask_b32_e32 v127, v127, v38, vcc
	v_cmp_eq_u32_e32 vcc, 5, v126
	v_cndmask_b32_e32 v127, v127, v39, vcc
	;; [unrolled: 2-line block ×20, first 2 shown]
	v_cmp_eq_u32_e32 vcc, 24, v126
	ds_read_b32 v128, v64
	v_cndmask_b32_e32 v127, v127, v58, vcc
	v_cmp_eq_u32_e32 vcc, 25, v126
	v_cndmask_b32_e32 v127, v127, v59, vcc
	v_cmp_eq_u32_e32 vcc, 26, v126
	v_cndmask_b32_e32 v127, v127, v60, vcc
	v_cmp_eq_u32_e32 vcc, 27, v126
	v_cndmask_b32_e32 v127, v127, v61, vcc
	v_cmp_eq_u32_e32 vcc, 28, v126
	v_add_co_u32_e64 v126, s[2:3], 1, v126
	v_cndmask_b32_e32 v127, v127, v62, vcc
	v_add_u32_e32 v64, 4, v64
	v_addc_co_u32_e64 v65, s[2:3], 0, v65, s[2:3]
	s_waitcnt lgkmcnt(0)
	v_fmac_f32_e32 v125, v127, v128
	s_andn2_b64 exec, exec, s[10:11]
	s_cbranch_execnz .LBB92_397
; %bb.398:
	s_or_b64 exec, exec, s[10:11]
.LBB92_399:
	s_or_b64 exec, exec, s[8:9]
.LBB92_400:
	s_or_b64 exec, exec, s[6:7]
	v_mov_b32_e32 v36, 0
	ds_read_b32 v36, v36 offset:8
	s_waitcnt lgkmcnt(0)
	v_mul_f32_e32 v36, v125, v36
.LBB92_401:
	s_or_b64 exec, exec, s[4:5]
	v_cmp_lt_u32_e64 s[2:3], 1, v0
	ds_write_b32 v124, v35
	s_waitcnt lgkmcnt(0)
	; wave barrier
	s_and_saveexec_b64 s[4:5], s[2:3]
	s_cbranch_execz .LBB92_417
; %bb.402:
	s_andn2_b64 vcc, exec, s[62:63]
	s_cbranch_vccnz .LBB92_404
; %bb.403:
	v_cmp_eq_u32_e32 vcc, 1, v0
	v_cndmask_b32_e32 v125, v34, v35, vcc
	v_cmp_eq_u32_e32 vcc, 2, v0
	v_cndmask_b32_e32 v125, v125, v36, vcc
	;; [unrolled: 2-line block ×24, first 2 shown]
	v_cmp_eq_u32_e32 vcc, 25, v0
	ds_read_b32 v126, v124
	v_cndmask_b32_e32 v125, v125, v59, vcc
	v_cmp_eq_u32_e32 vcc, 26, v0
	v_cndmask_b32_e32 v125, v125, v60, vcc
	v_cmp_eq_u32_e32 vcc, 27, v0
	;; [unrolled: 2-line block ×3, first 2 shown]
	v_cndmask_b32_e32 v125, v125, v62, vcc
	s_waitcnt lgkmcnt(0)
	v_mul_f32_e32 v125, v125, v126
	s_cbranch_execz .LBB92_405
	s_branch .LBB92_406
.LBB92_404:
                                        ; implicit-def: $vgpr125
.LBB92_405:
	ds_read_b32 v125, v124
.LBB92_406:
	s_and_saveexec_b64 s[6:7], s[0:1]
	s_cbranch_execz .LBB92_416
; %bb.407:
	v_add_u32_e32 v126, -3, v0
	v_add_u32_e32 v127, -2, v0
	v_cmp_lt_u32_e32 vcc, 6, v126
	v_mov_b32_e32 v126, 2
	s_and_saveexec_b64 s[0:1], vcc
	s_cbranch_execz .LBB92_411
; %bb.408:
	v_and_b32_e32 v126, -8, v127
	v_sub_u32_e32 v128, 0, v126
	s_mov_b64 s[8:9], 9
	s_movk_i32 s12, 0x88
	s_mov_b64 s[10:11], 0
.LBB92_409:                             ; =>This Inner Loop Header: Depth=1
	s_add_i32 s13, s8, -7
	v_mov_b32_e32 v126, s12
	s_add_i32 s14, s8, -6
	s_set_gpr_idx_on s13, gpr_idx(SRC0)
	v_mov_b32_e32 v137, v34
	s_set_gpr_idx_off
	ds_read2_b64 v[129:132], v126 offset1:1
	s_add_i32 s15, s8, -5
	s_set_gpr_idx_on s14, gpr_idx(SRC0)
	v_mov_b32_e32 v138, v34
	s_set_gpr_idx_off
	s_add_i32 s16, s8, -4
	s_set_gpr_idx_on s15, gpr_idx(SRC0)
	v_mov_b32_e32 v139, v34
	s_set_gpr_idx_off
	;; [unrolled: 4-line block ×4, first 2 shown]
	ds_read2_b64 v[133:136], v126 offset0:2 offset1:3
	s_add_i32 s19, s8, -1
	s_waitcnt lgkmcnt(1)
	v_fmac_f32_e32 v125, v137, v129
	s_set_gpr_idx_on s18, gpr_idx(SRC0)
	v_mov_b32_e32 v129, v34
	s_set_gpr_idx_off
	v_fmac_f32_e32 v125, v138, v130
	s_set_gpr_idx_on s19, gpr_idx(SRC0)
	v_mov_b32_e32 v130, v34
	s_set_gpr_idx_off
	;; [unrolled: 4-line block ×3, first 2 shown]
	v_fmac_f32_e32 v125, v140, v132
	s_add_u32 s8, s8, 8
	s_waitcnt lgkmcnt(0)
	v_fmac_f32_e32 v125, v141, v133
	v_add_u32_e32 v126, s8, v128
	v_fmac_f32_e32 v125, v129, v134
	s_addc_u32 s9, s9, 0
	s_add_i32 s12, s12, 32
	s_add_i32 s13, s8, -7
	v_cmp_eq_u32_e32 vcc, 9, v126
	v_fmac_f32_e32 v125, v130, v135
	v_mov_b32_e32 v126, s13
	s_or_b64 s[10:11], vcc, s[10:11]
	v_fmac_f32_e32 v125, v131, v136
	s_andn2_b64 exec, exec, s[10:11]
	s_cbranch_execnz .LBB92_409
; %bb.410:
	s_or_b64 exec, exec, s[10:11]
.LBB92_411:
	s_or_b64 exec, exec, s[0:1]
	v_and_b32_e32 v63, 7, v127
	v_cmp_ne_u32_e32 vcc, 0, v63
	s_and_saveexec_b64 s[8:9], vcc
	s_cbranch_execz .LBB92_415
; %bb.412:
	v_mov_b32_e32 v64, 0x80
	v_lshl_add_u32 v64, v126, 2, v64
	v_mov_b32_e32 v65, 0
	s_mov_b64 s[10:11], 0
.LBB92_413:                             ; =>This Inner Loop Header: Depth=1
	v_cmp_eq_u32_e32 vcc, 1, v126
	v_cndmask_b32_e32 v127, v34, v35, vcc
	v_add_u32_e32 v63, -1, v63
	v_cmp_eq_u32_e32 vcc, 2, v126
	v_cndmask_b32_e32 v127, v127, v36, vcc
	v_cmp_eq_u32_e32 vcc, 0, v63
	v_cmp_eq_u32_e64 s[0:1], 3, v126
	v_cndmask_b32_e64 v127, v127, v37, s[0:1]
	s_or_b64 s[10:11], vcc, s[10:11]
	v_cmp_eq_u32_e32 vcc, 4, v126
	v_cndmask_b32_e32 v127, v127, v38, vcc
	v_cmp_eq_u32_e32 vcc, 5, v126
	v_cndmask_b32_e32 v127, v127, v39, vcc
	;; [unrolled: 2-line block ×20, first 2 shown]
	v_cmp_eq_u32_e32 vcc, 24, v126
	ds_read_b32 v128, v64
	v_cndmask_b32_e32 v127, v127, v58, vcc
	v_cmp_eq_u32_e32 vcc, 25, v126
	v_cndmask_b32_e32 v127, v127, v59, vcc
	v_cmp_eq_u32_e32 vcc, 26, v126
	;; [unrolled: 2-line block ×4, first 2 shown]
	v_add_co_u32_e64 v126, s[0:1], 1, v126
	v_cndmask_b32_e32 v127, v127, v62, vcc
	v_add_u32_e32 v64, 4, v64
	v_addc_co_u32_e64 v65, s[0:1], 0, v65, s[0:1]
	s_waitcnt lgkmcnt(0)
	v_fmac_f32_e32 v125, v127, v128
	s_andn2_b64 exec, exec, s[10:11]
	s_cbranch_execnz .LBB92_413
; %bb.414:
	s_or_b64 exec, exec, s[10:11]
.LBB92_415:
	s_or_b64 exec, exec, s[8:9]
.LBB92_416:
	s_or_b64 exec, exec, s[6:7]
	v_mov_b32_e32 v35, 0
	ds_read_b32 v35, v35 offset:4
	s_waitcnt lgkmcnt(0)
	v_mul_f32_e32 v35, v125, v35
.LBB92_417:
	s_or_b64 exec, exec, s[4:5]
	v_cmp_ne_u32_e32 vcc, 0, v0
	ds_write_b32 v124, v34
	s_waitcnt lgkmcnt(0)
	; wave barrier
	s_and_saveexec_b64 s[4:5], vcc
	s_cbranch_execz .LBB92_433
; %bb.418:
	s_andn2_b64 vcc, exec, s[62:63]
	s_cbranch_vccnz .LBB92_420
; %bb.419:
	v_cmp_eq_u32_e32 vcc, 1, v0
	v_cndmask_b32_e32 v125, v34, v35, vcc
	v_cmp_eq_u32_e32 vcc, 2, v0
	v_cndmask_b32_e32 v125, v125, v36, vcc
	;; [unrolled: 2-line block ×24, first 2 shown]
	v_cmp_eq_u32_e32 vcc, 25, v0
	ds_read_b32 v126, v124
	v_cndmask_b32_e32 v125, v125, v59, vcc
	v_cmp_eq_u32_e32 vcc, 26, v0
	v_cndmask_b32_e32 v125, v125, v60, vcc
	v_cmp_eq_u32_e32 vcc, 27, v0
	v_cndmask_b32_e32 v125, v125, v61, vcc
	v_cmp_eq_u32_e32 vcc, 28, v0
	v_cndmask_b32_e32 v125, v125, v62, vcc
	s_waitcnt lgkmcnt(0)
	v_mul_f32_e32 v125, v125, v126
	s_cbranch_execz .LBB92_421
	s_branch .LBB92_422
.LBB92_420:
                                        ; implicit-def: $vgpr125
.LBB92_421:
	ds_read_b32 v125, v124
.LBB92_422:
	s_and_saveexec_b64 s[6:7], s[2:3]
	s_cbranch_execz .LBB92_432
; %bb.423:
	v_add_u32_e32 v126, -2, v0
	v_add_u32_e32 v127, -1, v0
	v_cmp_lt_u32_e32 vcc, 6, v126
	v_mov_b32_e32 v126, 1
	s_and_saveexec_b64 s[0:1], vcc
	s_cbranch_execz .LBB92_427
; %bb.424:
	v_and_b32_e32 v126, -8, v127
	v_sub_u32_e32 v128, 0, v126
	s_mov_b64 s[2:3], 8
	s_movk_i32 s10, 0x84
	s_mov_b64 s[8:9], 0
.LBB92_425:                             ; =>This Inner Loop Header: Depth=1
	s_add_i32 s11, s2, -7
	v_mov_b32_e32 v126, s10
	s_add_i32 s12, s2, -6
	s_set_gpr_idx_on s11, gpr_idx(SRC0)
	v_mov_b32_e32 v135, v34
	s_set_gpr_idx_off
	ds_read2_b32 v[129:130], v126 offset1:1
	s_add_i32 s13, s2, -5
	s_set_gpr_idx_on s12, gpr_idx(SRC0)
	v_mov_b32_e32 v136, v34
	s_set_gpr_idx_off
	s_add_i32 s14, s2, -4
	s_set_gpr_idx_on s13, gpr_idx(SRC0)
	v_mov_b32_e32 v137, v34
	s_set_gpr_idx_off
	ds_read2_b32 v[131:132], v126 offset0:2 offset1:3
	s_add_i32 s15, s2, -3
	s_set_gpr_idx_on s14, gpr_idx(SRC0)
	v_mov_b32_e32 v138, v34
	s_set_gpr_idx_off
	s_add_i32 s16, s2, -2
	s_set_gpr_idx_on s15, gpr_idx(SRC0)
	v_mov_b32_e32 v139, v34
	s_set_gpr_idx_off
	ds_read2_b32 v[133:134], v126 offset0:4 offset1:5
	s_add_i32 s17, s2, -1
	s_waitcnt lgkmcnt(2)
	v_fmac_f32_e32 v125, v135, v129
	s_set_gpr_idx_on s16, gpr_idx(SRC0)
	v_mov_b32_e32 v135, v34
	s_set_gpr_idx_off
	v_fmac_f32_e32 v125, v136, v130
	s_set_gpr_idx_on s17, gpr_idx(SRC0)
	v_mov_b32_e32 v136, v34
	s_set_gpr_idx_off
	ds_read2_b32 v[129:130], v126 offset0:6 offset1:7
	s_waitcnt lgkmcnt(2)
	v_fmac_f32_e32 v125, v137, v131
	s_set_gpr_idx_on s2, gpr_idx(SRC0)
	v_mov_b32_e32 v131, v34
	s_set_gpr_idx_off
	v_fmac_f32_e32 v125, v138, v132
	s_add_u32 s2, s2, 8
	s_waitcnt lgkmcnt(1)
	v_fmac_f32_e32 v125, v139, v133
	v_add_u32_e32 v126, s2, v128
	v_fmac_f32_e32 v125, v135, v134
	s_addc_u32 s3, s3, 0
	s_add_i32 s10, s10, 32
	s_add_i32 s11, s2, -7
	v_cmp_eq_u32_e32 vcc, 8, v126
	s_waitcnt lgkmcnt(0)
	v_fmac_f32_e32 v125, v136, v129
	v_mov_b32_e32 v126, s11
	s_or_b64 s[8:9], vcc, s[8:9]
	v_fmac_f32_e32 v125, v131, v130
	s_andn2_b64 exec, exec, s[8:9]
	s_cbranch_execnz .LBB92_425
; %bb.426:
	s_or_b64 exec, exec, s[8:9]
.LBB92_427:
	s_or_b64 exec, exec, s[0:1]
	v_and_b32_e32 v63, 7, v127
	v_cmp_ne_u32_e32 vcc, 0, v63
	s_and_saveexec_b64 s[2:3], vcc
	s_cbranch_execz .LBB92_431
; %bb.428:
	v_mov_b32_e32 v64, 0x80
	v_lshl_add_u32 v64, v126, 2, v64
	v_mov_b32_e32 v65, 0
	s_mov_b64 s[8:9], 0
.LBB92_429:                             ; =>This Inner Loop Header: Depth=1
	v_cmp_eq_u32_e32 vcc, 1, v126
	v_cndmask_b32_e32 v127, v34, v35, vcc
	v_add_u32_e32 v63, -1, v63
	v_cmp_eq_u32_e32 vcc, 2, v126
	v_cndmask_b32_e32 v127, v127, v36, vcc
	v_cmp_eq_u32_e32 vcc, 0, v63
	v_cmp_eq_u32_e64 s[0:1], 3, v126
	v_cndmask_b32_e64 v127, v127, v37, s[0:1]
	s_or_b64 s[8:9], vcc, s[8:9]
	v_cmp_eq_u32_e32 vcc, 4, v126
	v_cndmask_b32_e32 v127, v127, v38, vcc
	v_cmp_eq_u32_e32 vcc, 5, v126
	v_cndmask_b32_e32 v127, v127, v39, vcc
	;; [unrolled: 2-line block ×20, first 2 shown]
	v_cmp_eq_u32_e32 vcc, 24, v126
	ds_read_b32 v128, v64
	v_cndmask_b32_e32 v127, v127, v58, vcc
	v_cmp_eq_u32_e32 vcc, 25, v126
	v_cndmask_b32_e32 v127, v127, v59, vcc
	v_cmp_eq_u32_e32 vcc, 26, v126
	;; [unrolled: 2-line block ×4, first 2 shown]
	v_add_co_u32_e64 v126, s[0:1], 1, v126
	v_cndmask_b32_e32 v127, v127, v62, vcc
	v_add_u32_e32 v64, 4, v64
	v_addc_co_u32_e64 v65, s[0:1], 0, v65, s[0:1]
	s_waitcnt lgkmcnt(0)
	v_fmac_f32_e32 v125, v127, v128
	s_andn2_b64 exec, exec, s[8:9]
	s_cbranch_execnz .LBB92_429
; %bb.430:
	s_or_b64 exec, exec, s[8:9]
.LBB92_431:
	s_or_b64 exec, exec, s[2:3]
.LBB92_432:
	s_or_b64 exec, exec, s[6:7]
	v_mov_b32_e32 v34, 0
	ds_read_b32 v34, v34
	s_waitcnt lgkmcnt(0)
	v_mul_f32_e32 v34, v125, v34
.LBB92_433:
	s_or_b64 exec, exec, s[4:5]
	s_branch .LBB92_717
.LBB92_434:
	v_cmp_eq_u32_e64 s[2:3], 0, v0
	s_waitcnt vmcnt(0) lgkmcnt(0)
	ds_write_b32 v124, v3
	s_waitcnt lgkmcnt(0)
	; wave barrier
	s_and_saveexec_b64 s[0:1], s[2:3]
	s_cbranch_execz .LBB92_440
; %bb.435:
	s_and_b64 vcc, exec, s[62:63]
	s_cbranch_vccz .LBB92_437
; %bb.436:
	v_cmp_eq_u32_e32 vcc, 1, v0
	v_cndmask_b32_e32 v3, v2, v3, vcc
	v_cmp_eq_u32_e32 vcc, 2, v0
	v_cndmask_b32_e32 v3, v3, v4, vcc
	;; [unrolled: 2-line block ×24, first 2 shown]
	v_cmp_eq_u32_e32 vcc, 25, v0
	ds_read_b32 v31, v124
	v_cndmask_b32_e32 v3, v3, v27, vcc
	v_cmp_eq_u32_e32 vcc, 26, v0
	v_cndmask_b32_e32 v3, v3, v28, vcc
	v_cmp_eq_u32_e32 vcc, 27, v0
	;; [unrolled: 2-line block ×3, first 2 shown]
	v_cndmask_b32_e32 v3, v3, v30, vcc
	s_waitcnt lgkmcnt(0)
	v_mul_f32_e32 v3, v3, v31
	s_cbranch_execz .LBB92_438
	s_branch .LBB92_439
.LBB92_437:
                                        ; implicit-def: $vgpr3
.LBB92_438:
	ds_read_b32 v3, v124
.LBB92_439:
	v_mov_b32_e32 v31, 0
	ds_read_b32 v31, v31 offset:4
	s_waitcnt lgkmcnt(0)
	v_mul_f32_e32 v3, v3, v31
.LBB92_440:
	s_or_b64 exec, exec, s[0:1]
	v_cndmask_b32_e64 v34, 0, 1, s[62:63]
	v_cmp_gt_u32_e32 vcc, 2, v0
	v_cmp_ne_u32_e64 s[0:1], 1, v34
	ds_write_b32 v124, v4
	s_waitcnt lgkmcnt(0)
	; wave barrier
	s_and_saveexec_b64 s[4:5], vcc
	s_cbranch_execz .LBB92_446
; %bb.441:
	s_and_b64 vcc, exec, s[0:1]
	s_cbranch_vccnz .LBB92_443
; %bb.442:
	v_cmp_eq_u32_e32 vcc, 1, v0
	v_cndmask_b32_e32 v31, v2, v3, vcc
	v_cmp_eq_u32_e32 vcc, 2, v0
	v_cndmask_b32_e32 v4, v31, v4, vcc
	;; [unrolled: 2-line block ×24, first 2 shown]
	v_cmp_eq_u32_e32 vcc, 25, v0
	ds_read_b32 v31, v124
	v_cndmask_b32_e32 v4, v4, v27, vcc
	v_cmp_eq_u32_e32 vcc, 26, v0
	v_cndmask_b32_e32 v4, v4, v28, vcc
	v_cmp_eq_u32_e32 vcc, 27, v0
	;; [unrolled: 2-line block ×3, first 2 shown]
	v_cndmask_b32_e32 v4, v4, v30, vcc
	s_waitcnt lgkmcnt(0)
	v_mul_f32_e32 v4, v4, v31
	s_cbranch_execz .LBB92_444
	s_branch .LBB92_445
.LBB92_443:
                                        ; implicit-def: $vgpr4
.LBB92_444:
	ds_read_b32 v4, v124
.LBB92_445:
	v_mov_b32_e32 v31, 0
	ds_read2_b32 v[31:32], v31 offset0:2 offset1:33
	s_waitcnt lgkmcnt(0)
	v_fma_f32 v32, v3, v32, v4
	v_cndmask_b32_e64 v4, v4, v32, s[2:3]
	v_mul_f32_e32 v4, v4, v31
.LBB92_446:
	s_or_b64 exec, exec, s[4:5]
	v_add_u32_e32 v34, 1, v0
	v_cmp_gt_u32_e64 s[4:5], 3, v0
	ds_write_b32 v124, v5
	s_waitcnt lgkmcnt(0)
	; wave barrier
	s_and_saveexec_b64 s[6:7], s[4:5]
	s_cbranch_execz .LBB92_454
; %bb.447:
	s_and_b64 vcc, exec, s[0:1]
	s_cbranch_vccnz .LBB92_449
; %bb.448:
	v_cmp_eq_u32_e32 vcc, 1, v0
	v_cndmask_b32_e32 v31, v2, v3, vcc
	v_cmp_eq_u32_e32 vcc, 2, v0
	v_cndmask_b32_e32 v31, v31, v4, vcc
	v_cmp_eq_u32_e32 vcc, 3, v0
	v_cndmask_b32_e32 v31, v31, v5, vcc
	v_cmp_eq_u32_e32 vcc, 4, v0
	v_cndmask_b32_e32 v31, v31, v6, vcc
	v_cmp_eq_u32_e32 vcc, 5, v0
	v_cndmask_b32_e32 v31, v31, v7, vcc
	v_cmp_eq_u32_e32 vcc, 6, v0
	v_cndmask_b32_e32 v31, v31, v8, vcc
	v_cmp_eq_u32_e32 vcc, 7, v0
	v_cndmask_b32_e32 v31, v31, v9, vcc
	v_cmp_eq_u32_e32 vcc, 8, v0
	v_cndmask_b32_e32 v31, v31, v10, vcc
	v_cmp_eq_u32_e32 vcc, 9, v0
	v_cndmask_b32_e32 v31, v31, v11, vcc
	v_cmp_eq_u32_e32 vcc, 10, v0
	v_cndmask_b32_e32 v31, v31, v12, vcc
	v_cmp_eq_u32_e32 vcc, 11, v0
	v_cndmask_b32_e32 v31, v31, v13, vcc
	v_cmp_eq_u32_e32 vcc, 12, v0
	v_cndmask_b32_e32 v31, v31, v14, vcc
	v_cmp_eq_u32_e32 vcc, 13, v0
	v_cndmask_b32_e32 v31, v31, v15, vcc
	v_cmp_eq_u32_e32 vcc, 14, v0
	v_cndmask_b32_e32 v31, v31, v16, vcc
	v_cmp_eq_u32_e32 vcc, 15, v0
	v_cndmask_b32_e32 v31, v31, v17, vcc
	v_cmp_eq_u32_e32 vcc, 16, v0
	v_cndmask_b32_e32 v31, v31, v18, vcc
	v_cmp_eq_u32_e32 vcc, 17, v0
	v_cndmask_b32_e32 v31, v31, v19, vcc
	v_cmp_eq_u32_e32 vcc, 18, v0
	v_cndmask_b32_e32 v31, v31, v20, vcc
	v_cmp_eq_u32_e32 vcc, 19, v0
	v_cndmask_b32_e32 v31, v31, v21, vcc
	v_cmp_eq_u32_e32 vcc, 20, v0
	v_cndmask_b32_e32 v31, v31, v22, vcc
	v_cmp_eq_u32_e32 vcc, 21, v0
	v_cndmask_b32_e32 v31, v31, v23, vcc
	v_cmp_eq_u32_e32 vcc, 22, v0
	v_cndmask_b32_e32 v31, v31, v24, vcc
	v_cmp_eq_u32_e32 vcc, 23, v0
	v_cndmask_b32_e32 v31, v31, v25, vcc
	v_cmp_eq_u32_e32 vcc, 24, v0
	v_cndmask_b32_e32 v31, v31, v26, vcc
	v_cmp_eq_u32_e32 vcc, 25, v0
	ds_read_b32 v32, v124
	v_cndmask_b32_e32 v31, v31, v27, vcc
	v_cmp_eq_u32_e32 vcc, 26, v0
	v_cndmask_b32_e32 v31, v31, v28, vcc
	v_cmp_eq_u32_e32 vcc, 27, v0
	;; [unrolled: 2-line block ×3, first 2 shown]
	v_cndmask_b32_e32 v31, v31, v30, vcc
	s_waitcnt lgkmcnt(0)
	v_mul_f32_e32 v31, v31, v32
	s_cbranch_execz .LBB92_450
	s_branch .LBB92_451
.LBB92_449:
                                        ; implicit-def: $vgpr31
.LBB92_450:
	ds_read_b32 v31, v124
.LBB92_451:
	v_cmp_ne_u32_e32 vcc, 2, v0
	s_and_saveexec_b64 s[8:9], vcc
	s_cbranch_execz .LBB92_453
; %bb.452:
	v_cmp_eq_u32_e32 vcc, 1, v34
	v_cndmask_b32_e32 v32, v2, v3, vcc
	v_cmp_eq_u32_e32 vcc, 2, v34
	v_cndmask_b32_e32 v32, v32, v4, vcc
	;; [unrolled: 2-line block ×24, first 2 shown]
	v_cmp_eq_u32_e32 vcc, 25, v34
	v_mov_b32_e32 v32, 0
	v_cndmask_b32_e32 v5, v5, v27, vcc
	v_cmp_eq_u32_e32 vcc, 26, v34
	ds_read_b32 v33, v124 offset:4
	ds_read_b32 v32, v32 offset:136
	v_cndmask_b32_e32 v5, v5, v28, vcc
	v_cmp_eq_u32_e32 vcc, 27, v34
	v_cndmask_b32_e32 v5, v5, v29, vcc
	v_cmp_eq_u32_e32 vcc, 28, v34
	v_cndmask_b32_e32 v5, v5, v30, vcc
	s_waitcnt lgkmcnt(1)
	v_fmac_f32_e32 v31, v5, v33
	s_waitcnt lgkmcnt(0)
	v_fma_f32 v5, v4, v32, v31
	v_cndmask_b32_e64 v31, v31, v5, s[2:3]
.LBB92_453:
	s_or_b64 exec, exec, s[8:9]
	v_mov_b32_e32 v5, 0
	ds_read_b32 v5, v5 offset:12
	s_waitcnt lgkmcnt(0)
	v_mul_f32_e32 v5, v31, v5
.LBB92_454:
	s_or_b64 exec, exec, s[6:7]
	v_cmp_gt_u32_e32 vcc, 4, v0
	ds_write_b32 v124, v6
	s_waitcnt lgkmcnt(0)
	; wave barrier
	s_and_saveexec_b64 s[8:9], vcc
	s_cbranch_execz .LBB92_464
; %bb.455:
	s_and_b64 vcc, exec, s[0:1]
	s_cbranch_vccnz .LBB92_457
; %bb.456:
	v_cmp_eq_u32_e32 vcc, 1, v0
	v_cndmask_b32_e32 v31, v2, v3, vcc
	v_cmp_eq_u32_e32 vcc, 2, v0
	v_cndmask_b32_e32 v31, v31, v4, vcc
	;; [unrolled: 2-line block ×24, first 2 shown]
	v_cmp_eq_u32_e32 vcc, 25, v0
	ds_read_b32 v32, v124
	v_cndmask_b32_e32 v31, v31, v27, vcc
	v_cmp_eq_u32_e32 vcc, 26, v0
	v_cndmask_b32_e32 v31, v31, v28, vcc
	v_cmp_eq_u32_e32 vcc, 27, v0
	;; [unrolled: 2-line block ×3, first 2 shown]
	v_cndmask_b32_e32 v31, v31, v30, vcc
	s_waitcnt lgkmcnt(0)
	v_mul_f32_e32 v33, v31, v32
	s_cbranch_execz .LBB92_458
	s_branch .LBB92_459
.LBB92_457:
                                        ; implicit-def: $vgpr33
.LBB92_458:
	ds_read_b32 v33, v124
.LBB92_459:
	v_cmp_ne_u32_e32 vcc, 3, v0
	s_and_saveexec_b64 s[10:11], vcc
	s_cbranch_execz .LBB92_463
; %bb.460:
	v_mov_b32_e32 v31, 0x84
	v_lshl_add_u32 v35, v0, 2, v31
	v_mov_b32_e32 v32, v1
	s_mov_b64 s[12:13], 0
	v_mov_b32_e32 v31, v0
.LBB92_461:                             ; =>This Inner Loop Header: Depth=1
	v_add_co_u32_e32 v31, vcc, 1, v31
	v_addc_co_u32_e32 v32, vcc, 0, v32, vcc
	v_cmp_eq_u32_e32 vcc, 1, v31
	v_cndmask_b32_e32 v37, v2, v3, vcc
	v_cmp_lt_u32_e32 vcc, 2, v31
	v_cmp_eq_u32_e64 s[6:7], 2, v31
	v_cndmask_b32_e64 v37, v37, v4, s[6:7]
	s_or_b64 s[12:13], vcc, s[12:13]
	v_cmp_eq_u32_e32 vcc, 3, v31
	v_cndmask_b32_e32 v37, v37, v5, vcc
	v_cmp_eq_u32_e32 vcc, 4, v31
	v_cndmask_b32_e32 v37, v37, v6, vcc
	;; [unrolled: 2-line block ×21, first 2 shown]
	v_cmp_eq_u32_e32 vcc, 24, v31
	ds_read_b32 v36, v35
	v_cndmask_b32_e32 v37, v37, v26, vcc
	v_cmp_eq_u32_e32 vcc, 25, v31
	v_cndmask_b32_e32 v37, v37, v27, vcc
	v_cmp_eq_u32_e32 vcc, 26, v31
	;; [unrolled: 2-line block ×4, first 2 shown]
	v_cndmask_b32_e32 v37, v37, v30, vcc
	v_add_u32_e32 v35, 4, v35
	s_waitcnt lgkmcnt(0)
	v_fmac_f32_e32 v33, v37, v36
	s_andn2_b64 exec, exec, s[12:13]
	s_cbranch_execnz .LBB92_461
; %bb.462:
	s_or_b64 exec, exec, s[12:13]
.LBB92_463:
	s_or_b64 exec, exec, s[10:11]
	v_mov_b32_e32 v6, 0
	ds_read_b32 v6, v6 offset:16
	s_waitcnt lgkmcnt(0)
	v_mul_f32_e32 v6, v33, v6
.LBB92_464:
	s_or_b64 exec, exec, s[8:9]
	v_cmp_gt_u32_e64 s[6:7], 5, v0
	ds_write_b32 v124, v7
	s_waitcnt lgkmcnt(0)
	; wave barrier
	s_and_saveexec_b64 s[10:11], s[6:7]
	s_cbranch_execz .LBB92_474
; %bb.465:
	s_and_b64 vcc, exec, s[0:1]
	s_cbranch_vccnz .LBB92_467
; %bb.466:
	v_cmp_eq_u32_e32 vcc, 1, v0
	v_cndmask_b32_e32 v31, v2, v3, vcc
	v_cmp_eq_u32_e32 vcc, 2, v0
	v_cndmask_b32_e32 v31, v31, v4, vcc
	;; [unrolled: 2-line block ×24, first 2 shown]
	v_cmp_eq_u32_e32 vcc, 25, v0
	ds_read_b32 v32, v124
	v_cndmask_b32_e32 v31, v31, v27, vcc
	v_cmp_eq_u32_e32 vcc, 26, v0
	v_cndmask_b32_e32 v31, v31, v28, vcc
	v_cmp_eq_u32_e32 vcc, 27, v0
	v_cndmask_b32_e32 v31, v31, v29, vcc
	v_cmp_eq_u32_e32 vcc, 28, v0
	v_cndmask_b32_e32 v31, v31, v30, vcc
	s_waitcnt lgkmcnt(0)
	v_mul_f32_e32 v33, v31, v32
	s_cbranch_execz .LBB92_468
	s_branch .LBB92_469
.LBB92_467:
                                        ; implicit-def: $vgpr33
.LBB92_468:
	ds_read_b32 v33, v124
.LBB92_469:
	v_cmp_ne_u32_e32 vcc, 4, v0
	s_and_saveexec_b64 s[12:13], vcc
	s_cbranch_execz .LBB92_473
; %bb.470:
	v_mov_b32_e32 v31, 0x84
	v_lshl_add_u32 v35, v0, 2, v31
	v_mov_b32_e32 v32, v1
	s_mov_b64 s[14:15], 0
	v_mov_b32_e32 v31, v0
.LBB92_471:                             ; =>This Inner Loop Header: Depth=1
	v_add_co_u32_e32 v31, vcc, 1, v31
	v_addc_co_u32_e32 v32, vcc, 0, v32, vcc
	v_cmp_eq_u32_e32 vcc, 1, v31
	v_cndmask_b32_e32 v37, v2, v3, vcc
	v_cmp_lt_u32_e32 vcc, 3, v31
	v_cmp_eq_u32_e64 s[8:9], 2, v31
	v_cndmask_b32_e64 v37, v37, v4, s[8:9]
	s_or_b64 s[14:15], vcc, s[14:15]
	v_cmp_eq_u32_e32 vcc, 3, v31
	v_cndmask_b32_e32 v37, v37, v5, vcc
	v_cmp_eq_u32_e32 vcc, 4, v31
	v_cndmask_b32_e32 v37, v37, v6, vcc
	;; [unrolled: 2-line block ×21, first 2 shown]
	v_cmp_eq_u32_e32 vcc, 24, v31
	ds_read_b32 v36, v35
	v_cndmask_b32_e32 v37, v37, v26, vcc
	v_cmp_eq_u32_e32 vcc, 25, v31
	v_cndmask_b32_e32 v37, v37, v27, vcc
	v_cmp_eq_u32_e32 vcc, 26, v31
	;; [unrolled: 2-line block ×4, first 2 shown]
	v_cndmask_b32_e32 v37, v37, v30, vcc
	v_add_u32_e32 v35, 4, v35
	s_waitcnt lgkmcnt(0)
	v_fmac_f32_e32 v33, v37, v36
	s_andn2_b64 exec, exec, s[14:15]
	s_cbranch_execnz .LBB92_471
; %bb.472:
	s_or_b64 exec, exec, s[14:15]
.LBB92_473:
	s_or_b64 exec, exec, s[12:13]
	v_mov_b32_e32 v7, 0
	ds_read_b32 v7, v7 offset:20
	s_waitcnt lgkmcnt(0)
	v_mul_f32_e32 v7, v33, v7
.LBB92_474:
	s_or_b64 exec, exec, s[10:11]
	v_cmp_gt_u32_e32 vcc, 6, v0
	ds_write_b32 v124, v8
	s_waitcnt lgkmcnt(0)
	; wave barrier
	s_and_saveexec_b64 s[10:11], vcc
	s_cbranch_execz .LBB92_484
; %bb.475:
	s_and_b64 vcc, exec, s[0:1]
	s_cbranch_vccnz .LBB92_477
; %bb.476:
	v_cmp_eq_u32_e32 vcc, 1, v0
	v_cndmask_b32_e32 v31, v2, v3, vcc
	v_cmp_eq_u32_e32 vcc, 2, v0
	v_cndmask_b32_e32 v31, v31, v4, vcc
	;; [unrolled: 2-line block ×24, first 2 shown]
	v_cmp_eq_u32_e32 vcc, 25, v0
	ds_read_b32 v32, v124
	v_cndmask_b32_e32 v31, v31, v27, vcc
	v_cmp_eq_u32_e32 vcc, 26, v0
	v_cndmask_b32_e32 v31, v31, v28, vcc
	v_cmp_eq_u32_e32 vcc, 27, v0
	;; [unrolled: 2-line block ×3, first 2 shown]
	v_cndmask_b32_e32 v31, v31, v30, vcc
	s_waitcnt lgkmcnt(0)
	v_mul_f32_e32 v33, v31, v32
	s_cbranch_execz .LBB92_478
	s_branch .LBB92_479
.LBB92_477:
                                        ; implicit-def: $vgpr33
.LBB92_478:
	ds_read_b32 v33, v124
.LBB92_479:
	v_cmp_ne_u32_e32 vcc, 5, v0
	s_and_saveexec_b64 s[12:13], vcc
	s_cbranch_execz .LBB92_483
; %bb.480:
	v_mov_b32_e32 v31, 0x84
	v_lshl_add_u32 v35, v0, 2, v31
	v_mov_b32_e32 v32, v1
	s_mov_b64 s[14:15], 0
	v_mov_b32_e32 v31, v0
.LBB92_481:                             ; =>This Inner Loop Header: Depth=1
	v_add_co_u32_e32 v31, vcc, 1, v31
	v_addc_co_u32_e32 v32, vcc, 0, v32, vcc
	v_cmp_eq_u32_e32 vcc, 1, v31
	v_cndmask_b32_e32 v37, v2, v3, vcc
	v_cmp_lt_u32_e32 vcc, 4, v31
	v_cmp_eq_u32_e64 s[8:9], 2, v31
	v_cndmask_b32_e64 v37, v37, v4, s[8:9]
	s_or_b64 s[14:15], vcc, s[14:15]
	v_cmp_eq_u32_e32 vcc, 3, v31
	v_cndmask_b32_e32 v37, v37, v5, vcc
	v_cmp_eq_u32_e32 vcc, 4, v31
	v_cndmask_b32_e32 v37, v37, v6, vcc
	;; [unrolled: 2-line block ×21, first 2 shown]
	v_cmp_eq_u32_e32 vcc, 24, v31
	ds_read_b32 v36, v35
	v_cndmask_b32_e32 v37, v37, v26, vcc
	v_cmp_eq_u32_e32 vcc, 25, v31
	v_cndmask_b32_e32 v37, v37, v27, vcc
	v_cmp_eq_u32_e32 vcc, 26, v31
	;; [unrolled: 2-line block ×4, first 2 shown]
	v_cndmask_b32_e32 v37, v37, v30, vcc
	v_add_u32_e32 v35, 4, v35
	s_waitcnt lgkmcnt(0)
	v_fmac_f32_e32 v33, v37, v36
	s_andn2_b64 exec, exec, s[14:15]
	s_cbranch_execnz .LBB92_481
; %bb.482:
	s_or_b64 exec, exec, s[14:15]
.LBB92_483:
	s_or_b64 exec, exec, s[12:13]
	v_mov_b32_e32 v8, 0
	ds_read_b32 v8, v8 offset:24
	s_waitcnt lgkmcnt(0)
	v_mul_f32_e32 v8, v33, v8
.LBB92_484:
	s_or_b64 exec, exec, s[10:11]
	v_cmp_gt_u32_e64 s[8:9], 7, v0
	ds_write_b32 v124, v9
	s_waitcnt lgkmcnt(0)
	; wave barrier
	s_and_saveexec_b64 s[12:13], s[8:9]
	s_cbranch_execz .LBB92_494
; %bb.485:
	s_and_b64 vcc, exec, s[0:1]
	s_cbranch_vccnz .LBB92_487
; %bb.486:
	v_cmp_eq_u32_e32 vcc, 1, v0
	v_cndmask_b32_e32 v31, v2, v3, vcc
	v_cmp_eq_u32_e32 vcc, 2, v0
	v_cndmask_b32_e32 v31, v31, v4, vcc
	;; [unrolled: 2-line block ×24, first 2 shown]
	v_cmp_eq_u32_e32 vcc, 25, v0
	ds_read_b32 v32, v124
	v_cndmask_b32_e32 v31, v31, v27, vcc
	v_cmp_eq_u32_e32 vcc, 26, v0
	v_cndmask_b32_e32 v31, v31, v28, vcc
	v_cmp_eq_u32_e32 vcc, 27, v0
	;; [unrolled: 2-line block ×3, first 2 shown]
	v_cndmask_b32_e32 v31, v31, v30, vcc
	s_waitcnt lgkmcnt(0)
	v_mul_f32_e32 v33, v31, v32
	s_cbranch_execz .LBB92_488
	s_branch .LBB92_489
.LBB92_487:
                                        ; implicit-def: $vgpr33
.LBB92_488:
	ds_read_b32 v33, v124
.LBB92_489:
	v_cmp_ne_u32_e32 vcc, 6, v0
	s_and_saveexec_b64 s[14:15], vcc
	s_cbranch_execz .LBB92_493
; %bb.490:
	v_mov_b32_e32 v31, 0x84
	v_lshl_add_u32 v35, v0, 2, v31
	v_mov_b32_e32 v32, v1
	s_mov_b64 s[16:17], 0
	v_mov_b32_e32 v31, v0
.LBB92_491:                             ; =>This Inner Loop Header: Depth=1
	v_add_co_u32_e32 v31, vcc, 1, v31
	v_addc_co_u32_e32 v32, vcc, 0, v32, vcc
	v_cmp_eq_u32_e32 vcc, 1, v31
	v_cndmask_b32_e32 v37, v2, v3, vcc
	v_cmp_lt_u32_e32 vcc, 5, v31
	v_cmp_eq_u32_e64 s[10:11], 2, v31
	v_cndmask_b32_e64 v37, v37, v4, s[10:11]
	s_or_b64 s[16:17], vcc, s[16:17]
	v_cmp_eq_u32_e32 vcc, 3, v31
	v_cndmask_b32_e32 v37, v37, v5, vcc
	v_cmp_eq_u32_e32 vcc, 4, v31
	v_cndmask_b32_e32 v37, v37, v6, vcc
	;; [unrolled: 2-line block ×21, first 2 shown]
	v_cmp_eq_u32_e32 vcc, 24, v31
	ds_read_b32 v36, v35
	v_cndmask_b32_e32 v37, v37, v26, vcc
	v_cmp_eq_u32_e32 vcc, 25, v31
	v_cndmask_b32_e32 v37, v37, v27, vcc
	v_cmp_eq_u32_e32 vcc, 26, v31
	;; [unrolled: 2-line block ×4, first 2 shown]
	v_cndmask_b32_e32 v37, v37, v30, vcc
	v_add_u32_e32 v35, 4, v35
	s_waitcnt lgkmcnt(0)
	v_fmac_f32_e32 v33, v37, v36
	s_andn2_b64 exec, exec, s[16:17]
	s_cbranch_execnz .LBB92_491
; %bb.492:
	s_or_b64 exec, exec, s[16:17]
.LBB92_493:
	s_or_b64 exec, exec, s[14:15]
	v_mov_b32_e32 v9, 0
	ds_read_b32 v9, v9 offset:28
	s_waitcnt lgkmcnt(0)
	v_mul_f32_e32 v9, v33, v9
.LBB92_494:
	s_or_b64 exec, exec, s[12:13]
	v_cmp_gt_u32_e32 vcc, 8, v0
	ds_write_b32 v124, v10
	s_waitcnt lgkmcnt(0)
	; wave barrier
	s_and_saveexec_b64 s[12:13], vcc
	s_cbranch_execz .LBB92_504
; %bb.495:
	s_and_b64 vcc, exec, s[0:1]
	s_cbranch_vccnz .LBB92_497
; %bb.496:
	v_cmp_eq_u32_e32 vcc, 1, v0
	v_cndmask_b32_e32 v31, v2, v3, vcc
	v_cmp_eq_u32_e32 vcc, 2, v0
	v_cndmask_b32_e32 v31, v31, v4, vcc
	v_cmp_eq_u32_e32 vcc, 3, v0
	v_cndmask_b32_e32 v31, v31, v5, vcc
	v_cmp_eq_u32_e32 vcc, 4, v0
	v_cndmask_b32_e32 v31, v31, v6, vcc
	v_cmp_eq_u32_e32 vcc, 5, v0
	v_cndmask_b32_e32 v31, v31, v7, vcc
	v_cmp_eq_u32_e32 vcc, 6, v0
	v_cndmask_b32_e32 v31, v31, v8, vcc
	v_cmp_eq_u32_e32 vcc, 7, v0
	v_cndmask_b32_e32 v31, v31, v9, vcc
	v_cmp_eq_u32_e32 vcc, 8, v0
	v_cndmask_b32_e32 v31, v31, v10, vcc
	v_cmp_eq_u32_e32 vcc, 9, v0
	v_cndmask_b32_e32 v31, v31, v11, vcc
	v_cmp_eq_u32_e32 vcc, 10, v0
	v_cndmask_b32_e32 v31, v31, v12, vcc
	v_cmp_eq_u32_e32 vcc, 11, v0
	v_cndmask_b32_e32 v31, v31, v13, vcc
	v_cmp_eq_u32_e32 vcc, 12, v0
	v_cndmask_b32_e32 v31, v31, v14, vcc
	v_cmp_eq_u32_e32 vcc, 13, v0
	v_cndmask_b32_e32 v31, v31, v15, vcc
	v_cmp_eq_u32_e32 vcc, 14, v0
	v_cndmask_b32_e32 v31, v31, v16, vcc
	v_cmp_eq_u32_e32 vcc, 15, v0
	v_cndmask_b32_e32 v31, v31, v17, vcc
	v_cmp_eq_u32_e32 vcc, 16, v0
	v_cndmask_b32_e32 v31, v31, v18, vcc
	v_cmp_eq_u32_e32 vcc, 17, v0
	v_cndmask_b32_e32 v31, v31, v19, vcc
	v_cmp_eq_u32_e32 vcc, 18, v0
	v_cndmask_b32_e32 v31, v31, v20, vcc
	v_cmp_eq_u32_e32 vcc, 19, v0
	v_cndmask_b32_e32 v31, v31, v21, vcc
	v_cmp_eq_u32_e32 vcc, 20, v0
	v_cndmask_b32_e32 v31, v31, v22, vcc
	v_cmp_eq_u32_e32 vcc, 21, v0
	v_cndmask_b32_e32 v31, v31, v23, vcc
	v_cmp_eq_u32_e32 vcc, 22, v0
	v_cndmask_b32_e32 v31, v31, v24, vcc
	v_cmp_eq_u32_e32 vcc, 23, v0
	v_cndmask_b32_e32 v31, v31, v25, vcc
	v_cmp_eq_u32_e32 vcc, 24, v0
	v_cndmask_b32_e32 v31, v31, v26, vcc
	v_cmp_eq_u32_e32 vcc, 25, v0
	ds_read_b32 v32, v124
	v_cndmask_b32_e32 v31, v31, v27, vcc
	v_cmp_eq_u32_e32 vcc, 26, v0
	v_cndmask_b32_e32 v31, v31, v28, vcc
	v_cmp_eq_u32_e32 vcc, 27, v0
	;; [unrolled: 2-line block ×3, first 2 shown]
	v_cndmask_b32_e32 v31, v31, v30, vcc
	s_waitcnt lgkmcnt(0)
	v_mul_f32_e32 v33, v31, v32
	s_cbranch_execz .LBB92_498
	s_branch .LBB92_499
.LBB92_497:
                                        ; implicit-def: $vgpr33
.LBB92_498:
	ds_read_b32 v33, v124
.LBB92_499:
	v_cmp_ne_u32_e32 vcc, 7, v0
	s_and_saveexec_b64 s[14:15], vcc
	s_cbranch_execz .LBB92_503
; %bb.500:
	v_mov_b32_e32 v31, 0x84
	v_lshl_add_u32 v35, v0, 2, v31
	v_mov_b32_e32 v32, v1
	s_mov_b64 s[16:17], 0
	v_mov_b32_e32 v31, v0
.LBB92_501:                             ; =>This Inner Loop Header: Depth=1
	v_add_co_u32_e32 v31, vcc, 1, v31
	v_addc_co_u32_e32 v32, vcc, 0, v32, vcc
	v_cmp_eq_u32_e32 vcc, 1, v31
	v_cndmask_b32_e32 v37, v2, v3, vcc
	v_cmp_lt_u32_e32 vcc, 6, v31
	v_cmp_eq_u32_e64 s[10:11], 2, v31
	v_cndmask_b32_e64 v37, v37, v4, s[10:11]
	s_or_b64 s[16:17], vcc, s[16:17]
	v_cmp_eq_u32_e32 vcc, 3, v31
	v_cndmask_b32_e32 v37, v37, v5, vcc
	v_cmp_eq_u32_e32 vcc, 4, v31
	v_cndmask_b32_e32 v37, v37, v6, vcc
	;; [unrolled: 2-line block ×21, first 2 shown]
	v_cmp_eq_u32_e32 vcc, 24, v31
	ds_read_b32 v36, v35
	v_cndmask_b32_e32 v37, v37, v26, vcc
	v_cmp_eq_u32_e32 vcc, 25, v31
	v_cndmask_b32_e32 v37, v37, v27, vcc
	v_cmp_eq_u32_e32 vcc, 26, v31
	;; [unrolled: 2-line block ×4, first 2 shown]
	v_cndmask_b32_e32 v37, v37, v30, vcc
	v_add_u32_e32 v35, 4, v35
	s_waitcnt lgkmcnt(0)
	v_fmac_f32_e32 v33, v37, v36
	s_andn2_b64 exec, exec, s[16:17]
	s_cbranch_execnz .LBB92_501
; %bb.502:
	s_or_b64 exec, exec, s[16:17]
.LBB92_503:
	s_or_b64 exec, exec, s[14:15]
	v_mov_b32_e32 v10, 0
	ds_read_b32 v10, v10 offset:32
	s_waitcnt lgkmcnt(0)
	v_mul_f32_e32 v10, v33, v10
.LBB92_504:
	s_or_b64 exec, exec, s[12:13]
	v_cmp_gt_u32_e32 vcc, 9, v0
	ds_write_b32 v124, v11
	s_waitcnt lgkmcnt(0)
	; wave barrier
	s_and_saveexec_b64 s[10:11], vcc
	s_cbranch_execz .LBB92_526
; %bb.505:
	s_and_b64 vcc, exec, s[0:1]
	s_cbranch_vccnz .LBB92_507
; %bb.506:
	v_cmp_eq_u32_e32 vcc, 1, v0
	v_cndmask_b32_e32 v31, v2, v3, vcc
	v_cmp_eq_u32_e32 vcc, 2, v0
	v_cndmask_b32_e32 v31, v31, v4, vcc
	;; [unrolled: 2-line block ×24, first 2 shown]
	v_cmp_eq_u32_e32 vcc, 25, v0
	ds_read_b32 v32, v124
	v_cndmask_b32_e32 v31, v31, v27, vcc
	v_cmp_eq_u32_e32 vcc, 26, v0
	v_cndmask_b32_e32 v31, v31, v28, vcc
	v_cmp_eq_u32_e32 vcc, 27, v0
	;; [unrolled: 2-line block ×3, first 2 shown]
	v_cndmask_b32_e32 v31, v31, v30, vcc
	s_waitcnt lgkmcnt(0)
	v_mul_f32_e32 v31, v31, v32
	s_cbranch_execz .LBB92_508
	s_branch .LBB92_509
.LBB92_507:
                                        ; implicit-def: $vgpr31
.LBB92_508:
	ds_read_b32 v31, v124
.LBB92_509:
	v_cmp_ne_u32_e32 vcc, 8, v0
	s_and_saveexec_b64 s[12:13], vcc
	s_cbranch_execz .LBB92_525
; %bb.510:
	v_cmp_eq_u32_e32 vcc, 1, v34
	v_cndmask_b32_e32 v32, v2, v3, vcc
	v_cmp_eq_u32_e32 vcc, 2, v34
	v_cndmask_b32_e32 v32, v32, v4, vcc
	;; [unrolled: 2-line block ×24, first 2 shown]
	v_cmp_eq_u32_e32 vcc, 25, v34
	ds_read_b32 v33, v124 offset:4
	v_cndmask_b32_e32 v32, v32, v27, vcc
	v_cmp_eq_u32_e32 vcc, 26, v34
	v_cndmask_b32_e32 v32, v32, v28, vcc
	v_cmp_eq_u32_e32 vcc, 27, v34
	;; [unrolled: 2-line block ×3, first 2 shown]
	v_cndmask_b32_e32 v32, v32, v30, vcc
	s_waitcnt lgkmcnt(0)
	v_fmac_f32_e32 v31, v32, v33
	s_and_saveexec_b64 s[14:15], s[8:9]
	s_cbranch_execz .LBB92_524
; %bb.511:
	v_add_u32_e32 v32, 2, v0
	v_cmp_eq_u32_e32 vcc, 1, v32
	v_cndmask_b32_e32 v33, v2, v3, vcc
	v_cmp_eq_u32_e32 vcc, 2, v32
	v_cndmask_b32_e32 v33, v33, v4, vcc
	;; [unrolled: 2-line block ×24, first 2 shown]
	v_cmp_eq_u32_e32 vcc, 25, v32
	ds_read_b32 v34, v124 offset:8
	v_cndmask_b32_e32 v33, v33, v27, vcc
	v_cmp_eq_u32_e32 vcc, 26, v32
	v_cndmask_b32_e32 v33, v33, v28, vcc
	v_cmp_eq_u32_e32 vcc, 27, v32
	;; [unrolled: 2-line block ×3, first 2 shown]
	v_cndmask_b32_e32 v32, v33, v30, vcc
	s_waitcnt lgkmcnt(0)
	v_fmac_f32_e32 v31, v32, v34
	v_cmp_ne_u32_e32 vcc, 6, v0
	s_and_saveexec_b64 s[8:9], vcc
	s_cbranch_execz .LBB92_523
; %bb.512:
	v_add_u32_e32 v32, 3, v0
	v_cmp_eq_u32_e32 vcc, 1, v32
	v_cndmask_b32_e32 v33, v2, v3, vcc
	v_cmp_eq_u32_e32 vcc, 2, v32
	v_cndmask_b32_e32 v33, v33, v4, vcc
	;; [unrolled: 2-line block ×24, first 2 shown]
	v_cmp_eq_u32_e32 vcc, 25, v32
	ds_read_b32 v34, v124 offset:12
	v_cndmask_b32_e32 v33, v33, v27, vcc
	v_cmp_eq_u32_e32 vcc, 26, v32
	v_cndmask_b32_e32 v33, v33, v28, vcc
	v_cmp_eq_u32_e32 vcc, 27, v32
	;; [unrolled: 2-line block ×3, first 2 shown]
	v_cndmask_b32_e32 v32, v33, v30, vcc
	s_waitcnt lgkmcnt(0)
	v_fmac_f32_e32 v31, v32, v34
	s_and_saveexec_b64 s[16:17], s[6:7]
	s_cbranch_execz .LBB92_522
; %bb.513:
	v_add_u32_e32 v32, 4, v0
	v_cmp_eq_u32_e32 vcc, 1, v32
	v_cndmask_b32_e32 v33, v2, v3, vcc
	v_cmp_eq_u32_e32 vcc, 2, v32
	v_cndmask_b32_e32 v33, v33, v4, vcc
	;; [unrolled: 2-line block ×24, first 2 shown]
	v_cmp_eq_u32_e32 vcc, 25, v32
	ds_read_b32 v34, v124 offset:16
	v_cndmask_b32_e32 v33, v33, v27, vcc
	v_cmp_eq_u32_e32 vcc, 26, v32
	v_cndmask_b32_e32 v33, v33, v28, vcc
	v_cmp_eq_u32_e32 vcc, 27, v32
	;; [unrolled: 2-line block ×3, first 2 shown]
	v_cndmask_b32_e32 v32, v33, v30, vcc
	s_waitcnt lgkmcnt(0)
	v_fmac_f32_e32 v31, v32, v34
	v_cmp_ne_u32_e32 vcc, 4, v0
	s_and_saveexec_b64 s[6:7], vcc
	s_cbranch_execz .LBB92_521
; %bb.514:
	v_add_u32_e32 v32, 5, v0
	v_cmp_eq_u32_e32 vcc, 1, v32
	v_cndmask_b32_e32 v33, v2, v3, vcc
	v_cmp_eq_u32_e32 vcc, 2, v32
	v_cndmask_b32_e32 v33, v33, v4, vcc
	;; [unrolled: 2-line block ×24, first 2 shown]
	v_cmp_eq_u32_e32 vcc, 25, v32
	ds_read_b32 v34, v124 offset:20
	v_cndmask_b32_e32 v33, v33, v27, vcc
	v_cmp_eq_u32_e32 vcc, 26, v32
	v_cndmask_b32_e32 v33, v33, v28, vcc
	v_cmp_eq_u32_e32 vcc, 27, v32
	;; [unrolled: 2-line block ×3, first 2 shown]
	v_cndmask_b32_e32 v32, v33, v30, vcc
	s_waitcnt lgkmcnt(0)
	v_fmac_f32_e32 v31, v32, v34
	s_and_saveexec_b64 s[18:19], s[4:5]
	s_cbranch_execz .LBB92_520
; %bb.515:
	v_add_u32_e32 v32, 6, v0
	v_cmp_eq_u32_e32 vcc, 1, v32
	v_cndmask_b32_e32 v33, v2, v3, vcc
	v_cmp_eq_u32_e32 vcc, 2, v32
	v_cndmask_b32_e32 v33, v33, v4, vcc
	;; [unrolled: 2-line block ×24, first 2 shown]
	v_cmp_eq_u32_e32 vcc, 25, v32
	ds_read_b32 v34, v124 offset:24
	v_cndmask_b32_e32 v33, v33, v27, vcc
	v_cmp_eq_u32_e32 vcc, 26, v32
	v_cndmask_b32_e32 v33, v33, v28, vcc
	v_cmp_eq_u32_e32 vcc, 27, v32
	;; [unrolled: 2-line block ×3, first 2 shown]
	v_cndmask_b32_e32 v32, v33, v30, vcc
	s_waitcnt lgkmcnt(0)
	v_fmac_f32_e32 v31, v32, v34
	v_cmp_ne_u32_e32 vcc, 2, v0
	s_and_saveexec_b64 s[4:5], vcc
	s_cbranch_execz .LBB92_519
; %bb.516:
	v_add_u32_e32 v32, 7, v0
	v_cmp_eq_u32_e32 vcc, 1, v32
	v_cndmask_b32_e32 v33, v2, v3, vcc
	v_cmp_eq_u32_e32 vcc, 2, v32
	v_cndmask_b32_e32 v33, v33, v4, vcc
	;; [unrolled: 2-line block ×24, first 2 shown]
	v_cmp_eq_u32_e32 vcc, 25, v32
	ds_read_b32 v33, v124 offset:28
	v_cndmask_b32_e32 v11, v11, v27, vcc
	v_cmp_eq_u32_e32 vcc, 26, v32
	v_cndmask_b32_e32 v11, v11, v28, vcc
	v_cmp_eq_u32_e32 vcc, 27, v32
	;; [unrolled: 2-line block ×3, first 2 shown]
	v_cndmask_b32_e32 v11, v11, v30, vcc
	s_waitcnt lgkmcnt(0)
	v_fmac_f32_e32 v31, v11, v33
	s_and_saveexec_b64 s[20:21], s[2:3]
	s_cbranch_execz .LBB92_518
; %bb.517:
	ds_read_b32 v11, v124 offset:32
	s_waitcnt lgkmcnt(0)
	v_fmac_f32_e32 v31, v10, v11
.LBB92_518:
	s_or_b64 exec, exec, s[20:21]
.LBB92_519:
	s_or_b64 exec, exec, s[4:5]
.LBB92_520:
	s_or_b64 exec, exec, s[18:19]
.LBB92_521:
	s_or_b64 exec, exec, s[6:7]
.LBB92_522:
	s_or_b64 exec, exec, s[16:17]
.LBB92_523:
	s_or_b64 exec, exec, s[8:9]
.LBB92_524:
	s_or_b64 exec, exec, s[14:15]
.LBB92_525:
	s_or_b64 exec, exec, s[12:13]
	v_mov_b32_e32 v11, 0
	ds_read_b32 v11, v11 offset:36
	s_waitcnt lgkmcnt(0)
	v_mul_f32_e32 v11, v31, v11
.LBB92_526:
	s_or_b64 exec, exec, s[10:11]
	v_cmp_gt_u32_e32 vcc, 10, v0
	ds_write_b32 v124, v12
	s_waitcnt lgkmcnt(0)
	; wave barrier
	s_and_saveexec_b64 s[4:5], vcc
	s_cbranch_execz .LBB92_536
; %bb.527:
	s_and_b64 vcc, exec, s[0:1]
	s_cbranch_vccnz .LBB92_529
; %bb.528:
	v_cmp_eq_u32_e32 vcc, 1, v0
	v_cndmask_b32_e32 v31, v2, v3, vcc
	v_cmp_eq_u32_e32 vcc, 2, v0
	v_cndmask_b32_e32 v31, v31, v4, vcc
	;; [unrolled: 2-line block ×24, first 2 shown]
	v_cmp_eq_u32_e32 vcc, 25, v0
	ds_read_b32 v32, v124
	v_cndmask_b32_e32 v31, v31, v27, vcc
	v_cmp_eq_u32_e32 vcc, 26, v0
	v_cndmask_b32_e32 v31, v31, v28, vcc
	v_cmp_eq_u32_e32 vcc, 27, v0
	;; [unrolled: 2-line block ×3, first 2 shown]
	v_cndmask_b32_e32 v31, v31, v30, vcc
	s_waitcnt lgkmcnt(0)
	v_mul_f32_e32 v33, v31, v32
	s_cbranch_execz .LBB92_530
	s_branch .LBB92_531
.LBB92_529:
                                        ; implicit-def: $vgpr33
.LBB92_530:
	ds_read_b32 v33, v124
.LBB92_531:
	v_cmp_ne_u32_e32 vcc, 9, v0
	s_and_saveexec_b64 s[6:7], vcc
	s_cbranch_execz .LBB92_535
; %bb.532:
	v_mov_b32_e32 v31, 0x84
	v_lshl_add_u32 v34, v0, 2, v31
	v_mov_b32_e32 v32, v1
	s_mov_b64 s[8:9], 0
	v_mov_b32_e32 v31, v0
.LBB92_533:                             ; =>This Inner Loop Header: Depth=1
	v_add_co_u32_e32 v31, vcc, 1, v31
	v_addc_co_u32_e32 v32, vcc, 0, v32, vcc
	v_cmp_eq_u32_e32 vcc, 1, v31
	v_cndmask_b32_e32 v36, v2, v3, vcc
	v_cmp_lt_u32_e32 vcc, 8, v31
	v_cmp_eq_u32_e64 s[2:3], 2, v31
	v_cndmask_b32_e64 v36, v36, v4, s[2:3]
	s_or_b64 s[8:9], vcc, s[8:9]
	v_cmp_eq_u32_e32 vcc, 3, v31
	v_cndmask_b32_e32 v36, v36, v5, vcc
	v_cmp_eq_u32_e32 vcc, 4, v31
	v_cndmask_b32_e32 v36, v36, v6, vcc
	;; [unrolled: 2-line block ×21, first 2 shown]
	v_cmp_eq_u32_e32 vcc, 24, v31
	ds_read_b32 v35, v34
	v_cndmask_b32_e32 v36, v36, v26, vcc
	v_cmp_eq_u32_e32 vcc, 25, v31
	v_cndmask_b32_e32 v36, v36, v27, vcc
	v_cmp_eq_u32_e32 vcc, 26, v31
	;; [unrolled: 2-line block ×4, first 2 shown]
	v_cndmask_b32_e32 v36, v36, v30, vcc
	v_add_u32_e32 v34, 4, v34
	s_waitcnt lgkmcnt(0)
	v_fmac_f32_e32 v33, v36, v35
	s_andn2_b64 exec, exec, s[8:9]
	s_cbranch_execnz .LBB92_533
; %bb.534:
	s_or_b64 exec, exec, s[8:9]
.LBB92_535:
	s_or_b64 exec, exec, s[6:7]
	v_mov_b32_e32 v12, 0
	ds_read_b32 v12, v12 offset:40
	s_waitcnt lgkmcnt(0)
	v_mul_f32_e32 v12, v33, v12
.LBB92_536:
	s_or_b64 exec, exec, s[4:5]
	v_cmp_gt_u32_e32 vcc, 11, v0
	ds_write_b32 v124, v13
	s_waitcnt lgkmcnt(0)
	; wave barrier
	s_and_saveexec_b64 s[4:5], vcc
	s_cbranch_execz .LBB92_546
; %bb.537:
	s_and_b64 vcc, exec, s[0:1]
	s_cbranch_vccnz .LBB92_539
; %bb.538:
	v_cmp_eq_u32_e32 vcc, 1, v0
	v_cndmask_b32_e32 v31, v2, v3, vcc
	v_cmp_eq_u32_e32 vcc, 2, v0
	v_cndmask_b32_e32 v31, v31, v4, vcc
	;; [unrolled: 2-line block ×24, first 2 shown]
	v_cmp_eq_u32_e32 vcc, 25, v0
	ds_read_b32 v32, v124
	v_cndmask_b32_e32 v31, v31, v27, vcc
	v_cmp_eq_u32_e32 vcc, 26, v0
	v_cndmask_b32_e32 v31, v31, v28, vcc
	v_cmp_eq_u32_e32 vcc, 27, v0
	v_cndmask_b32_e32 v31, v31, v29, vcc
	v_cmp_eq_u32_e32 vcc, 28, v0
	v_cndmask_b32_e32 v31, v31, v30, vcc
	s_waitcnt lgkmcnt(0)
	v_mul_f32_e32 v33, v31, v32
	s_cbranch_execz .LBB92_540
	s_branch .LBB92_541
.LBB92_539:
                                        ; implicit-def: $vgpr33
.LBB92_540:
	ds_read_b32 v33, v124
.LBB92_541:
	v_cmp_ne_u32_e32 vcc, 10, v0
	s_and_saveexec_b64 s[6:7], vcc
	s_cbranch_execz .LBB92_545
; %bb.542:
	v_mov_b32_e32 v31, 0x84
	v_lshl_add_u32 v34, v0, 2, v31
	v_mov_b32_e32 v32, v1
	s_mov_b64 s[8:9], 0
	v_mov_b32_e32 v31, v0
.LBB92_543:                             ; =>This Inner Loop Header: Depth=1
	v_add_co_u32_e32 v31, vcc, 1, v31
	v_addc_co_u32_e32 v32, vcc, 0, v32, vcc
	v_cmp_eq_u32_e32 vcc, 1, v31
	v_cndmask_b32_e32 v36, v2, v3, vcc
	v_cmp_lt_u32_e32 vcc, 9, v31
	v_cmp_eq_u32_e64 s[2:3], 2, v31
	v_cndmask_b32_e64 v36, v36, v4, s[2:3]
	s_or_b64 s[8:9], vcc, s[8:9]
	v_cmp_eq_u32_e32 vcc, 3, v31
	v_cndmask_b32_e32 v36, v36, v5, vcc
	v_cmp_eq_u32_e32 vcc, 4, v31
	v_cndmask_b32_e32 v36, v36, v6, vcc
	;; [unrolled: 2-line block ×21, first 2 shown]
	v_cmp_eq_u32_e32 vcc, 24, v31
	ds_read_b32 v35, v34
	v_cndmask_b32_e32 v36, v36, v26, vcc
	v_cmp_eq_u32_e32 vcc, 25, v31
	v_cndmask_b32_e32 v36, v36, v27, vcc
	v_cmp_eq_u32_e32 vcc, 26, v31
	;; [unrolled: 2-line block ×4, first 2 shown]
	v_cndmask_b32_e32 v36, v36, v30, vcc
	v_add_u32_e32 v34, 4, v34
	s_waitcnt lgkmcnt(0)
	v_fmac_f32_e32 v33, v36, v35
	s_andn2_b64 exec, exec, s[8:9]
	s_cbranch_execnz .LBB92_543
; %bb.544:
	s_or_b64 exec, exec, s[8:9]
.LBB92_545:
	s_or_b64 exec, exec, s[6:7]
	v_mov_b32_e32 v13, 0
	ds_read_b32 v13, v13 offset:44
	s_waitcnt lgkmcnt(0)
	v_mul_f32_e32 v13, v33, v13
.LBB92_546:
	s_or_b64 exec, exec, s[4:5]
	v_cmp_gt_u32_e32 vcc, 12, v0
	ds_write_b32 v124, v14
	s_waitcnt lgkmcnt(0)
	; wave barrier
	s_and_saveexec_b64 s[4:5], vcc
	s_cbranch_execz .LBB92_556
; %bb.547:
	s_and_b64 vcc, exec, s[0:1]
	s_cbranch_vccnz .LBB92_549
; %bb.548:
	v_cmp_eq_u32_e32 vcc, 1, v0
	v_cndmask_b32_e32 v31, v2, v3, vcc
	v_cmp_eq_u32_e32 vcc, 2, v0
	v_cndmask_b32_e32 v31, v31, v4, vcc
	;; [unrolled: 2-line block ×24, first 2 shown]
	v_cmp_eq_u32_e32 vcc, 25, v0
	ds_read_b32 v32, v124
	v_cndmask_b32_e32 v31, v31, v27, vcc
	v_cmp_eq_u32_e32 vcc, 26, v0
	v_cndmask_b32_e32 v31, v31, v28, vcc
	v_cmp_eq_u32_e32 vcc, 27, v0
	;; [unrolled: 2-line block ×3, first 2 shown]
	v_cndmask_b32_e32 v31, v31, v30, vcc
	s_waitcnt lgkmcnt(0)
	v_mul_f32_e32 v33, v31, v32
	s_cbranch_execz .LBB92_550
	s_branch .LBB92_551
.LBB92_549:
                                        ; implicit-def: $vgpr33
.LBB92_550:
	ds_read_b32 v33, v124
.LBB92_551:
	v_cmp_ne_u32_e32 vcc, 11, v0
	s_and_saveexec_b64 s[6:7], vcc
	s_cbranch_execz .LBB92_555
; %bb.552:
	v_mov_b32_e32 v31, 0x84
	v_lshl_add_u32 v34, v0, 2, v31
	v_mov_b32_e32 v32, v1
	s_mov_b64 s[8:9], 0
	v_mov_b32_e32 v31, v0
.LBB92_553:                             ; =>This Inner Loop Header: Depth=1
	v_add_co_u32_e32 v31, vcc, 1, v31
	v_addc_co_u32_e32 v32, vcc, 0, v32, vcc
	v_cmp_eq_u32_e32 vcc, 1, v31
	v_cndmask_b32_e32 v36, v2, v3, vcc
	v_cmp_lt_u32_e32 vcc, 10, v31
	v_cmp_eq_u32_e64 s[2:3], 2, v31
	v_cndmask_b32_e64 v36, v36, v4, s[2:3]
	s_or_b64 s[8:9], vcc, s[8:9]
	v_cmp_eq_u32_e32 vcc, 3, v31
	v_cndmask_b32_e32 v36, v36, v5, vcc
	v_cmp_eq_u32_e32 vcc, 4, v31
	v_cndmask_b32_e32 v36, v36, v6, vcc
	;; [unrolled: 2-line block ×21, first 2 shown]
	v_cmp_eq_u32_e32 vcc, 24, v31
	ds_read_b32 v35, v34
	v_cndmask_b32_e32 v36, v36, v26, vcc
	v_cmp_eq_u32_e32 vcc, 25, v31
	v_cndmask_b32_e32 v36, v36, v27, vcc
	v_cmp_eq_u32_e32 vcc, 26, v31
	;; [unrolled: 2-line block ×4, first 2 shown]
	v_cndmask_b32_e32 v36, v36, v30, vcc
	v_add_u32_e32 v34, 4, v34
	s_waitcnt lgkmcnt(0)
	v_fmac_f32_e32 v33, v36, v35
	s_andn2_b64 exec, exec, s[8:9]
	s_cbranch_execnz .LBB92_553
; %bb.554:
	s_or_b64 exec, exec, s[8:9]
.LBB92_555:
	s_or_b64 exec, exec, s[6:7]
	v_mov_b32_e32 v14, 0
	ds_read_b32 v14, v14 offset:48
	s_waitcnt lgkmcnt(0)
	v_mul_f32_e32 v14, v33, v14
.LBB92_556:
	s_or_b64 exec, exec, s[4:5]
	v_cmp_gt_u32_e32 vcc, 13, v0
	ds_write_b32 v124, v15
	s_waitcnt lgkmcnt(0)
	; wave barrier
	s_and_saveexec_b64 s[4:5], vcc
	s_cbranch_execz .LBB92_566
; %bb.557:
	s_and_b64 vcc, exec, s[0:1]
	s_cbranch_vccnz .LBB92_559
; %bb.558:
	v_cmp_eq_u32_e32 vcc, 1, v0
	v_cndmask_b32_e32 v31, v2, v3, vcc
	v_cmp_eq_u32_e32 vcc, 2, v0
	v_cndmask_b32_e32 v31, v31, v4, vcc
	;; [unrolled: 2-line block ×24, first 2 shown]
	v_cmp_eq_u32_e32 vcc, 25, v0
	ds_read_b32 v32, v124
	v_cndmask_b32_e32 v31, v31, v27, vcc
	v_cmp_eq_u32_e32 vcc, 26, v0
	v_cndmask_b32_e32 v31, v31, v28, vcc
	v_cmp_eq_u32_e32 vcc, 27, v0
	;; [unrolled: 2-line block ×3, first 2 shown]
	v_cndmask_b32_e32 v31, v31, v30, vcc
	s_waitcnt lgkmcnt(0)
	v_mul_f32_e32 v33, v31, v32
	s_cbranch_execz .LBB92_560
	s_branch .LBB92_561
.LBB92_559:
                                        ; implicit-def: $vgpr33
.LBB92_560:
	ds_read_b32 v33, v124
.LBB92_561:
	v_cmp_ne_u32_e32 vcc, 12, v0
	s_and_saveexec_b64 s[6:7], vcc
	s_cbranch_execz .LBB92_565
; %bb.562:
	v_mov_b32_e32 v31, 0x84
	v_lshl_add_u32 v34, v0, 2, v31
	v_mov_b32_e32 v32, v1
	s_mov_b64 s[8:9], 0
	v_mov_b32_e32 v31, v0
.LBB92_563:                             ; =>This Inner Loop Header: Depth=1
	v_add_co_u32_e32 v31, vcc, 1, v31
	v_addc_co_u32_e32 v32, vcc, 0, v32, vcc
	v_cmp_eq_u32_e32 vcc, 1, v31
	v_cndmask_b32_e32 v36, v2, v3, vcc
	v_cmp_lt_u32_e32 vcc, 11, v31
	v_cmp_eq_u32_e64 s[2:3], 2, v31
	v_cndmask_b32_e64 v36, v36, v4, s[2:3]
	s_or_b64 s[8:9], vcc, s[8:9]
	v_cmp_eq_u32_e32 vcc, 3, v31
	v_cndmask_b32_e32 v36, v36, v5, vcc
	v_cmp_eq_u32_e32 vcc, 4, v31
	v_cndmask_b32_e32 v36, v36, v6, vcc
	;; [unrolled: 2-line block ×21, first 2 shown]
	v_cmp_eq_u32_e32 vcc, 24, v31
	ds_read_b32 v35, v34
	v_cndmask_b32_e32 v36, v36, v26, vcc
	v_cmp_eq_u32_e32 vcc, 25, v31
	v_cndmask_b32_e32 v36, v36, v27, vcc
	v_cmp_eq_u32_e32 vcc, 26, v31
	;; [unrolled: 2-line block ×4, first 2 shown]
	v_cndmask_b32_e32 v36, v36, v30, vcc
	v_add_u32_e32 v34, 4, v34
	s_waitcnt lgkmcnt(0)
	v_fmac_f32_e32 v33, v36, v35
	s_andn2_b64 exec, exec, s[8:9]
	s_cbranch_execnz .LBB92_563
; %bb.564:
	s_or_b64 exec, exec, s[8:9]
.LBB92_565:
	s_or_b64 exec, exec, s[6:7]
	v_mov_b32_e32 v15, 0
	ds_read_b32 v15, v15 offset:52
	s_waitcnt lgkmcnt(0)
	v_mul_f32_e32 v15, v33, v15
.LBB92_566:
	s_or_b64 exec, exec, s[4:5]
	v_cmp_gt_u32_e32 vcc, 14, v0
	ds_write_b32 v124, v16
	s_waitcnt lgkmcnt(0)
	; wave barrier
	s_and_saveexec_b64 s[4:5], vcc
	s_cbranch_execz .LBB92_576
; %bb.567:
	s_and_b64 vcc, exec, s[0:1]
	s_cbranch_vccnz .LBB92_569
; %bb.568:
	v_cmp_eq_u32_e32 vcc, 1, v0
	v_cndmask_b32_e32 v31, v2, v3, vcc
	v_cmp_eq_u32_e32 vcc, 2, v0
	v_cndmask_b32_e32 v31, v31, v4, vcc
	v_cmp_eq_u32_e32 vcc, 3, v0
	v_cndmask_b32_e32 v31, v31, v5, vcc
	v_cmp_eq_u32_e32 vcc, 4, v0
	v_cndmask_b32_e32 v31, v31, v6, vcc
	v_cmp_eq_u32_e32 vcc, 5, v0
	v_cndmask_b32_e32 v31, v31, v7, vcc
	v_cmp_eq_u32_e32 vcc, 6, v0
	v_cndmask_b32_e32 v31, v31, v8, vcc
	v_cmp_eq_u32_e32 vcc, 7, v0
	v_cndmask_b32_e32 v31, v31, v9, vcc
	v_cmp_eq_u32_e32 vcc, 8, v0
	v_cndmask_b32_e32 v31, v31, v10, vcc
	v_cmp_eq_u32_e32 vcc, 9, v0
	v_cndmask_b32_e32 v31, v31, v11, vcc
	v_cmp_eq_u32_e32 vcc, 10, v0
	v_cndmask_b32_e32 v31, v31, v12, vcc
	v_cmp_eq_u32_e32 vcc, 11, v0
	v_cndmask_b32_e32 v31, v31, v13, vcc
	v_cmp_eq_u32_e32 vcc, 12, v0
	v_cndmask_b32_e32 v31, v31, v14, vcc
	v_cmp_eq_u32_e32 vcc, 13, v0
	v_cndmask_b32_e32 v31, v31, v15, vcc
	v_cmp_eq_u32_e32 vcc, 14, v0
	v_cndmask_b32_e32 v31, v31, v16, vcc
	v_cmp_eq_u32_e32 vcc, 15, v0
	v_cndmask_b32_e32 v31, v31, v17, vcc
	v_cmp_eq_u32_e32 vcc, 16, v0
	v_cndmask_b32_e32 v31, v31, v18, vcc
	v_cmp_eq_u32_e32 vcc, 17, v0
	v_cndmask_b32_e32 v31, v31, v19, vcc
	v_cmp_eq_u32_e32 vcc, 18, v0
	v_cndmask_b32_e32 v31, v31, v20, vcc
	v_cmp_eq_u32_e32 vcc, 19, v0
	v_cndmask_b32_e32 v31, v31, v21, vcc
	v_cmp_eq_u32_e32 vcc, 20, v0
	v_cndmask_b32_e32 v31, v31, v22, vcc
	v_cmp_eq_u32_e32 vcc, 21, v0
	v_cndmask_b32_e32 v31, v31, v23, vcc
	v_cmp_eq_u32_e32 vcc, 22, v0
	v_cndmask_b32_e32 v31, v31, v24, vcc
	v_cmp_eq_u32_e32 vcc, 23, v0
	v_cndmask_b32_e32 v31, v31, v25, vcc
	v_cmp_eq_u32_e32 vcc, 24, v0
	v_cndmask_b32_e32 v31, v31, v26, vcc
	v_cmp_eq_u32_e32 vcc, 25, v0
	ds_read_b32 v32, v124
	v_cndmask_b32_e32 v31, v31, v27, vcc
	v_cmp_eq_u32_e32 vcc, 26, v0
	v_cndmask_b32_e32 v31, v31, v28, vcc
	v_cmp_eq_u32_e32 vcc, 27, v0
	;; [unrolled: 2-line block ×3, first 2 shown]
	v_cndmask_b32_e32 v31, v31, v30, vcc
	s_waitcnt lgkmcnt(0)
	v_mul_f32_e32 v33, v31, v32
	s_cbranch_execz .LBB92_570
	s_branch .LBB92_571
.LBB92_569:
                                        ; implicit-def: $vgpr33
.LBB92_570:
	ds_read_b32 v33, v124
.LBB92_571:
	v_cmp_ne_u32_e32 vcc, 13, v0
	s_and_saveexec_b64 s[6:7], vcc
	s_cbranch_execz .LBB92_575
; %bb.572:
	v_mov_b32_e32 v31, 0x84
	v_lshl_add_u32 v34, v0, 2, v31
	v_mov_b32_e32 v32, v1
	s_mov_b64 s[8:9], 0
	v_mov_b32_e32 v31, v0
.LBB92_573:                             ; =>This Inner Loop Header: Depth=1
	v_add_co_u32_e32 v31, vcc, 1, v31
	v_addc_co_u32_e32 v32, vcc, 0, v32, vcc
	v_cmp_eq_u32_e32 vcc, 1, v31
	v_cndmask_b32_e32 v36, v2, v3, vcc
	v_cmp_lt_u32_e32 vcc, 12, v31
	v_cmp_eq_u32_e64 s[2:3], 2, v31
	v_cndmask_b32_e64 v36, v36, v4, s[2:3]
	s_or_b64 s[8:9], vcc, s[8:9]
	v_cmp_eq_u32_e32 vcc, 3, v31
	v_cndmask_b32_e32 v36, v36, v5, vcc
	v_cmp_eq_u32_e32 vcc, 4, v31
	v_cndmask_b32_e32 v36, v36, v6, vcc
	;; [unrolled: 2-line block ×21, first 2 shown]
	v_cmp_eq_u32_e32 vcc, 24, v31
	ds_read_b32 v35, v34
	v_cndmask_b32_e32 v36, v36, v26, vcc
	v_cmp_eq_u32_e32 vcc, 25, v31
	v_cndmask_b32_e32 v36, v36, v27, vcc
	v_cmp_eq_u32_e32 vcc, 26, v31
	;; [unrolled: 2-line block ×4, first 2 shown]
	v_cndmask_b32_e32 v36, v36, v30, vcc
	v_add_u32_e32 v34, 4, v34
	s_waitcnt lgkmcnt(0)
	v_fmac_f32_e32 v33, v36, v35
	s_andn2_b64 exec, exec, s[8:9]
	s_cbranch_execnz .LBB92_573
; %bb.574:
	s_or_b64 exec, exec, s[8:9]
.LBB92_575:
	s_or_b64 exec, exec, s[6:7]
	v_mov_b32_e32 v16, 0
	ds_read_b32 v16, v16 offset:56
	s_waitcnt lgkmcnt(0)
	v_mul_f32_e32 v16, v33, v16
.LBB92_576:
	s_or_b64 exec, exec, s[4:5]
	v_cmp_gt_u32_e32 vcc, 15, v0
	ds_write_b32 v124, v17
	s_waitcnt lgkmcnt(0)
	; wave barrier
	s_and_saveexec_b64 s[4:5], vcc
	s_cbranch_execz .LBB92_586
; %bb.577:
	s_and_b64 vcc, exec, s[0:1]
	s_cbranch_vccnz .LBB92_579
; %bb.578:
	v_cmp_eq_u32_e32 vcc, 1, v0
	v_cndmask_b32_e32 v31, v2, v3, vcc
	v_cmp_eq_u32_e32 vcc, 2, v0
	v_cndmask_b32_e32 v31, v31, v4, vcc
	;; [unrolled: 2-line block ×24, first 2 shown]
	v_cmp_eq_u32_e32 vcc, 25, v0
	ds_read_b32 v32, v124
	v_cndmask_b32_e32 v31, v31, v27, vcc
	v_cmp_eq_u32_e32 vcc, 26, v0
	v_cndmask_b32_e32 v31, v31, v28, vcc
	v_cmp_eq_u32_e32 vcc, 27, v0
	;; [unrolled: 2-line block ×3, first 2 shown]
	v_cndmask_b32_e32 v31, v31, v30, vcc
	s_waitcnt lgkmcnt(0)
	v_mul_f32_e32 v33, v31, v32
	s_cbranch_execz .LBB92_580
	s_branch .LBB92_581
.LBB92_579:
                                        ; implicit-def: $vgpr33
.LBB92_580:
	ds_read_b32 v33, v124
.LBB92_581:
	v_cmp_ne_u32_e32 vcc, 14, v0
	s_and_saveexec_b64 s[6:7], vcc
	s_cbranch_execz .LBB92_585
; %bb.582:
	v_mov_b32_e32 v31, 0x84
	v_lshl_add_u32 v34, v0, 2, v31
	v_mov_b32_e32 v32, v1
	s_mov_b64 s[8:9], 0
	v_mov_b32_e32 v31, v0
.LBB92_583:                             ; =>This Inner Loop Header: Depth=1
	v_add_co_u32_e32 v31, vcc, 1, v31
	v_addc_co_u32_e32 v32, vcc, 0, v32, vcc
	v_cmp_eq_u32_e32 vcc, 1, v31
	v_cndmask_b32_e32 v36, v2, v3, vcc
	v_cmp_lt_u32_e32 vcc, 13, v31
	v_cmp_eq_u32_e64 s[2:3], 2, v31
	v_cndmask_b32_e64 v36, v36, v4, s[2:3]
	s_or_b64 s[8:9], vcc, s[8:9]
	v_cmp_eq_u32_e32 vcc, 3, v31
	v_cndmask_b32_e32 v36, v36, v5, vcc
	v_cmp_eq_u32_e32 vcc, 4, v31
	v_cndmask_b32_e32 v36, v36, v6, vcc
	v_cmp_eq_u32_e32 vcc, 5, v31
	v_cndmask_b32_e32 v36, v36, v7, vcc
	v_cmp_eq_u32_e32 vcc, 6, v31
	v_cndmask_b32_e32 v36, v36, v8, vcc
	v_cmp_eq_u32_e32 vcc, 7, v31
	v_cndmask_b32_e32 v36, v36, v9, vcc
	v_cmp_eq_u32_e32 vcc, 8, v31
	v_cndmask_b32_e32 v36, v36, v10, vcc
	v_cmp_eq_u32_e32 vcc, 9, v31
	v_cndmask_b32_e32 v36, v36, v11, vcc
	v_cmp_eq_u32_e32 vcc, 10, v31
	v_cndmask_b32_e32 v36, v36, v12, vcc
	v_cmp_eq_u32_e32 vcc, 11, v31
	v_cndmask_b32_e32 v36, v36, v13, vcc
	v_cmp_eq_u32_e32 vcc, 12, v31
	v_cndmask_b32_e32 v36, v36, v14, vcc
	v_cmp_eq_u32_e32 vcc, 13, v31
	v_cndmask_b32_e32 v36, v36, v15, vcc
	v_cmp_eq_u32_e32 vcc, 14, v31
	v_cndmask_b32_e32 v36, v36, v16, vcc
	v_cmp_eq_u32_e32 vcc, 15, v31
	v_cndmask_b32_e32 v36, v36, v17, vcc
	v_cmp_eq_u32_e32 vcc, 16, v31
	v_cndmask_b32_e32 v36, v36, v18, vcc
	v_cmp_eq_u32_e32 vcc, 17, v31
	v_cndmask_b32_e32 v36, v36, v19, vcc
	v_cmp_eq_u32_e32 vcc, 18, v31
	v_cndmask_b32_e32 v36, v36, v20, vcc
	v_cmp_eq_u32_e32 vcc, 19, v31
	v_cndmask_b32_e32 v36, v36, v21, vcc
	v_cmp_eq_u32_e32 vcc, 20, v31
	v_cndmask_b32_e32 v36, v36, v22, vcc
	v_cmp_eq_u32_e32 vcc, 21, v31
	v_cndmask_b32_e32 v36, v36, v23, vcc
	v_cmp_eq_u32_e32 vcc, 22, v31
	v_cndmask_b32_e32 v36, v36, v24, vcc
	v_cmp_eq_u32_e32 vcc, 23, v31
	v_cndmask_b32_e32 v36, v36, v25, vcc
	v_cmp_eq_u32_e32 vcc, 24, v31
	ds_read_b32 v35, v34
	v_cndmask_b32_e32 v36, v36, v26, vcc
	v_cmp_eq_u32_e32 vcc, 25, v31
	v_cndmask_b32_e32 v36, v36, v27, vcc
	v_cmp_eq_u32_e32 vcc, 26, v31
	;; [unrolled: 2-line block ×4, first 2 shown]
	v_cndmask_b32_e32 v36, v36, v30, vcc
	v_add_u32_e32 v34, 4, v34
	s_waitcnt lgkmcnt(0)
	v_fmac_f32_e32 v33, v36, v35
	s_andn2_b64 exec, exec, s[8:9]
	s_cbranch_execnz .LBB92_583
; %bb.584:
	s_or_b64 exec, exec, s[8:9]
.LBB92_585:
	s_or_b64 exec, exec, s[6:7]
	v_mov_b32_e32 v17, 0
	ds_read_b32 v17, v17 offset:60
	s_waitcnt lgkmcnt(0)
	v_mul_f32_e32 v17, v33, v17
.LBB92_586:
	s_or_b64 exec, exec, s[4:5]
	v_cmp_gt_u32_e32 vcc, 16, v0
	ds_write_b32 v124, v18
	s_waitcnt lgkmcnt(0)
	; wave barrier
	s_and_saveexec_b64 s[4:5], vcc
	s_cbranch_execz .LBB92_596
; %bb.587:
	s_and_b64 vcc, exec, s[0:1]
	s_cbranch_vccnz .LBB92_589
; %bb.588:
	v_cmp_eq_u32_e32 vcc, 1, v0
	v_cndmask_b32_e32 v31, v2, v3, vcc
	v_cmp_eq_u32_e32 vcc, 2, v0
	v_cndmask_b32_e32 v31, v31, v4, vcc
	;; [unrolled: 2-line block ×24, first 2 shown]
	v_cmp_eq_u32_e32 vcc, 25, v0
	ds_read_b32 v32, v124
	v_cndmask_b32_e32 v31, v31, v27, vcc
	v_cmp_eq_u32_e32 vcc, 26, v0
	v_cndmask_b32_e32 v31, v31, v28, vcc
	v_cmp_eq_u32_e32 vcc, 27, v0
	;; [unrolled: 2-line block ×3, first 2 shown]
	v_cndmask_b32_e32 v31, v31, v30, vcc
	s_waitcnt lgkmcnt(0)
	v_mul_f32_e32 v33, v31, v32
	s_cbranch_execz .LBB92_590
	s_branch .LBB92_591
.LBB92_589:
                                        ; implicit-def: $vgpr33
.LBB92_590:
	ds_read_b32 v33, v124
.LBB92_591:
	v_cmp_ne_u32_e32 vcc, 15, v0
	s_and_saveexec_b64 s[6:7], vcc
	s_cbranch_execz .LBB92_595
; %bb.592:
	v_mov_b32_e32 v31, 0x84
	v_lshl_add_u32 v34, v0, 2, v31
	v_mov_b32_e32 v32, v1
	s_mov_b64 s[8:9], 0
	v_mov_b32_e32 v31, v0
.LBB92_593:                             ; =>This Inner Loop Header: Depth=1
	v_add_co_u32_e32 v31, vcc, 1, v31
	v_addc_co_u32_e32 v32, vcc, 0, v32, vcc
	v_cmp_eq_u32_e32 vcc, 1, v31
	v_cndmask_b32_e32 v36, v2, v3, vcc
	v_cmp_lt_u32_e32 vcc, 14, v31
	v_cmp_eq_u32_e64 s[2:3], 2, v31
	v_cndmask_b32_e64 v36, v36, v4, s[2:3]
	s_or_b64 s[8:9], vcc, s[8:9]
	v_cmp_eq_u32_e32 vcc, 3, v31
	v_cndmask_b32_e32 v36, v36, v5, vcc
	v_cmp_eq_u32_e32 vcc, 4, v31
	v_cndmask_b32_e32 v36, v36, v6, vcc
	;; [unrolled: 2-line block ×21, first 2 shown]
	v_cmp_eq_u32_e32 vcc, 24, v31
	ds_read_b32 v35, v34
	v_cndmask_b32_e32 v36, v36, v26, vcc
	v_cmp_eq_u32_e32 vcc, 25, v31
	v_cndmask_b32_e32 v36, v36, v27, vcc
	v_cmp_eq_u32_e32 vcc, 26, v31
	;; [unrolled: 2-line block ×4, first 2 shown]
	v_cndmask_b32_e32 v36, v36, v30, vcc
	v_add_u32_e32 v34, 4, v34
	s_waitcnt lgkmcnt(0)
	v_fmac_f32_e32 v33, v36, v35
	s_andn2_b64 exec, exec, s[8:9]
	s_cbranch_execnz .LBB92_593
; %bb.594:
	s_or_b64 exec, exec, s[8:9]
.LBB92_595:
	s_or_b64 exec, exec, s[6:7]
	v_mov_b32_e32 v18, 0
	ds_read_b32 v18, v18 offset:64
	s_waitcnt lgkmcnt(0)
	v_mul_f32_e32 v18, v33, v18
.LBB92_596:
	s_or_b64 exec, exec, s[4:5]
	v_cmp_gt_u32_e32 vcc, 17, v0
	ds_write_b32 v124, v19
	s_waitcnt lgkmcnt(0)
	; wave barrier
	s_and_saveexec_b64 s[4:5], vcc
	s_cbranch_execz .LBB92_606
; %bb.597:
	s_and_b64 vcc, exec, s[0:1]
	s_cbranch_vccnz .LBB92_599
; %bb.598:
	v_cmp_eq_u32_e32 vcc, 1, v0
	v_cndmask_b32_e32 v31, v2, v3, vcc
	v_cmp_eq_u32_e32 vcc, 2, v0
	v_cndmask_b32_e32 v31, v31, v4, vcc
	;; [unrolled: 2-line block ×24, first 2 shown]
	v_cmp_eq_u32_e32 vcc, 25, v0
	ds_read_b32 v32, v124
	v_cndmask_b32_e32 v31, v31, v27, vcc
	v_cmp_eq_u32_e32 vcc, 26, v0
	v_cndmask_b32_e32 v31, v31, v28, vcc
	v_cmp_eq_u32_e32 vcc, 27, v0
	;; [unrolled: 2-line block ×3, first 2 shown]
	v_cndmask_b32_e32 v31, v31, v30, vcc
	s_waitcnt lgkmcnt(0)
	v_mul_f32_e32 v33, v31, v32
	s_cbranch_execz .LBB92_600
	s_branch .LBB92_601
.LBB92_599:
                                        ; implicit-def: $vgpr33
.LBB92_600:
	ds_read_b32 v33, v124
.LBB92_601:
	v_cmp_ne_u32_e32 vcc, 16, v0
	s_and_saveexec_b64 s[6:7], vcc
	s_cbranch_execz .LBB92_605
; %bb.602:
	v_mov_b32_e32 v31, 0x84
	v_lshl_add_u32 v34, v0, 2, v31
	v_mov_b32_e32 v32, v1
	s_mov_b64 s[8:9], 0
	v_mov_b32_e32 v31, v0
.LBB92_603:                             ; =>This Inner Loop Header: Depth=1
	v_add_co_u32_e32 v31, vcc, 1, v31
	v_addc_co_u32_e32 v32, vcc, 0, v32, vcc
	v_cmp_eq_u32_e32 vcc, 1, v31
	v_cndmask_b32_e32 v36, v2, v3, vcc
	v_cmp_lt_u32_e32 vcc, 15, v31
	v_cmp_eq_u32_e64 s[2:3], 2, v31
	v_cndmask_b32_e64 v36, v36, v4, s[2:3]
	s_or_b64 s[8:9], vcc, s[8:9]
	v_cmp_eq_u32_e32 vcc, 3, v31
	v_cndmask_b32_e32 v36, v36, v5, vcc
	v_cmp_eq_u32_e32 vcc, 4, v31
	v_cndmask_b32_e32 v36, v36, v6, vcc
	v_cmp_eq_u32_e32 vcc, 5, v31
	v_cndmask_b32_e32 v36, v36, v7, vcc
	v_cmp_eq_u32_e32 vcc, 6, v31
	v_cndmask_b32_e32 v36, v36, v8, vcc
	v_cmp_eq_u32_e32 vcc, 7, v31
	v_cndmask_b32_e32 v36, v36, v9, vcc
	v_cmp_eq_u32_e32 vcc, 8, v31
	v_cndmask_b32_e32 v36, v36, v10, vcc
	v_cmp_eq_u32_e32 vcc, 9, v31
	v_cndmask_b32_e32 v36, v36, v11, vcc
	v_cmp_eq_u32_e32 vcc, 10, v31
	v_cndmask_b32_e32 v36, v36, v12, vcc
	v_cmp_eq_u32_e32 vcc, 11, v31
	v_cndmask_b32_e32 v36, v36, v13, vcc
	v_cmp_eq_u32_e32 vcc, 12, v31
	v_cndmask_b32_e32 v36, v36, v14, vcc
	v_cmp_eq_u32_e32 vcc, 13, v31
	v_cndmask_b32_e32 v36, v36, v15, vcc
	v_cmp_eq_u32_e32 vcc, 14, v31
	v_cndmask_b32_e32 v36, v36, v16, vcc
	v_cmp_eq_u32_e32 vcc, 15, v31
	v_cndmask_b32_e32 v36, v36, v17, vcc
	v_cmp_eq_u32_e32 vcc, 16, v31
	v_cndmask_b32_e32 v36, v36, v18, vcc
	v_cmp_eq_u32_e32 vcc, 17, v31
	v_cndmask_b32_e32 v36, v36, v19, vcc
	v_cmp_eq_u32_e32 vcc, 18, v31
	v_cndmask_b32_e32 v36, v36, v20, vcc
	v_cmp_eq_u32_e32 vcc, 19, v31
	v_cndmask_b32_e32 v36, v36, v21, vcc
	v_cmp_eq_u32_e32 vcc, 20, v31
	v_cndmask_b32_e32 v36, v36, v22, vcc
	v_cmp_eq_u32_e32 vcc, 21, v31
	v_cndmask_b32_e32 v36, v36, v23, vcc
	v_cmp_eq_u32_e32 vcc, 22, v31
	v_cndmask_b32_e32 v36, v36, v24, vcc
	v_cmp_eq_u32_e32 vcc, 23, v31
	v_cndmask_b32_e32 v36, v36, v25, vcc
	v_cmp_eq_u32_e32 vcc, 24, v31
	ds_read_b32 v35, v34
	v_cndmask_b32_e32 v36, v36, v26, vcc
	v_cmp_eq_u32_e32 vcc, 25, v31
	v_cndmask_b32_e32 v36, v36, v27, vcc
	v_cmp_eq_u32_e32 vcc, 26, v31
	v_cndmask_b32_e32 v36, v36, v28, vcc
	v_cmp_eq_u32_e32 vcc, 27, v31
	v_cndmask_b32_e32 v36, v36, v29, vcc
	v_cmp_eq_u32_e32 vcc, 28, v31
	v_cndmask_b32_e32 v36, v36, v30, vcc
	v_add_u32_e32 v34, 4, v34
	s_waitcnt lgkmcnt(0)
	v_fmac_f32_e32 v33, v36, v35
	s_andn2_b64 exec, exec, s[8:9]
	s_cbranch_execnz .LBB92_603
; %bb.604:
	s_or_b64 exec, exec, s[8:9]
.LBB92_605:
	s_or_b64 exec, exec, s[6:7]
	v_mov_b32_e32 v19, 0
	ds_read_b32 v19, v19 offset:68
	s_waitcnt lgkmcnt(0)
	v_mul_f32_e32 v19, v33, v19
.LBB92_606:
	s_or_b64 exec, exec, s[4:5]
	v_cmp_gt_u32_e32 vcc, 18, v0
	ds_write_b32 v124, v20
	s_waitcnt lgkmcnt(0)
	; wave barrier
	s_and_saveexec_b64 s[4:5], vcc
	s_cbranch_execz .LBB92_616
; %bb.607:
	s_and_b64 vcc, exec, s[0:1]
	s_cbranch_vccnz .LBB92_609
; %bb.608:
	v_cmp_eq_u32_e32 vcc, 1, v0
	v_cndmask_b32_e32 v31, v2, v3, vcc
	v_cmp_eq_u32_e32 vcc, 2, v0
	v_cndmask_b32_e32 v31, v31, v4, vcc
	;; [unrolled: 2-line block ×24, first 2 shown]
	v_cmp_eq_u32_e32 vcc, 25, v0
	ds_read_b32 v32, v124
	v_cndmask_b32_e32 v31, v31, v27, vcc
	v_cmp_eq_u32_e32 vcc, 26, v0
	v_cndmask_b32_e32 v31, v31, v28, vcc
	v_cmp_eq_u32_e32 vcc, 27, v0
	v_cndmask_b32_e32 v31, v31, v29, vcc
	v_cmp_eq_u32_e32 vcc, 28, v0
	v_cndmask_b32_e32 v31, v31, v30, vcc
	s_waitcnt lgkmcnt(0)
	v_mul_f32_e32 v33, v31, v32
	s_cbranch_execz .LBB92_610
	s_branch .LBB92_611
.LBB92_609:
                                        ; implicit-def: $vgpr33
.LBB92_610:
	ds_read_b32 v33, v124
.LBB92_611:
	v_cmp_ne_u32_e32 vcc, 17, v0
	s_and_saveexec_b64 s[6:7], vcc
	s_cbranch_execz .LBB92_615
; %bb.612:
	v_mov_b32_e32 v31, 0x84
	v_lshl_add_u32 v34, v0, 2, v31
	v_mov_b32_e32 v32, v1
	s_mov_b64 s[8:9], 0
	v_mov_b32_e32 v31, v0
.LBB92_613:                             ; =>This Inner Loop Header: Depth=1
	v_add_co_u32_e32 v31, vcc, 1, v31
	v_addc_co_u32_e32 v32, vcc, 0, v32, vcc
	v_cmp_eq_u32_e32 vcc, 1, v31
	v_cndmask_b32_e32 v36, v2, v3, vcc
	v_cmp_lt_u32_e32 vcc, 16, v31
	v_cmp_eq_u32_e64 s[2:3], 2, v31
	v_cndmask_b32_e64 v36, v36, v4, s[2:3]
	s_or_b64 s[8:9], vcc, s[8:9]
	v_cmp_eq_u32_e32 vcc, 3, v31
	v_cndmask_b32_e32 v36, v36, v5, vcc
	v_cmp_eq_u32_e32 vcc, 4, v31
	v_cndmask_b32_e32 v36, v36, v6, vcc
	;; [unrolled: 2-line block ×21, first 2 shown]
	v_cmp_eq_u32_e32 vcc, 24, v31
	ds_read_b32 v35, v34
	v_cndmask_b32_e32 v36, v36, v26, vcc
	v_cmp_eq_u32_e32 vcc, 25, v31
	v_cndmask_b32_e32 v36, v36, v27, vcc
	v_cmp_eq_u32_e32 vcc, 26, v31
	;; [unrolled: 2-line block ×4, first 2 shown]
	v_cndmask_b32_e32 v36, v36, v30, vcc
	v_add_u32_e32 v34, 4, v34
	s_waitcnt lgkmcnt(0)
	v_fmac_f32_e32 v33, v36, v35
	s_andn2_b64 exec, exec, s[8:9]
	s_cbranch_execnz .LBB92_613
; %bb.614:
	s_or_b64 exec, exec, s[8:9]
.LBB92_615:
	s_or_b64 exec, exec, s[6:7]
	v_mov_b32_e32 v20, 0
	ds_read_b32 v20, v20 offset:72
	s_waitcnt lgkmcnt(0)
	v_mul_f32_e32 v20, v33, v20
.LBB92_616:
	s_or_b64 exec, exec, s[4:5]
	v_cmp_gt_u32_e32 vcc, 19, v0
	ds_write_b32 v124, v21
	s_waitcnt lgkmcnt(0)
	; wave barrier
	s_and_saveexec_b64 s[4:5], vcc
	s_cbranch_execz .LBB92_626
; %bb.617:
	s_and_b64 vcc, exec, s[0:1]
	s_cbranch_vccnz .LBB92_619
; %bb.618:
	v_cmp_eq_u32_e32 vcc, 1, v0
	v_cndmask_b32_e32 v31, v2, v3, vcc
	v_cmp_eq_u32_e32 vcc, 2, v0
	v_cndmask_b32_e32 v31, v31, v4, vcc
	;; [unrolled: 2-line block ×24, first 2 shown]
	v_cmp_eq_u32_e32 vcc, 25, v0
	ds_read_b32 v32, v124
	v_cndmask_b32_e32 v31, v31, v27, vcc
	v_cmp_eq_u32_e32 vcc, 26, v0
	v_cndmask_b32_e32 v31, v31, v28, vcc
	v_cmp_eq_u32_e32 vcc, 27, v0
	;; [unrolled: 2-line block ×3, first 2 shown]
	v_cndmask_b32_e32 v31, v31, v30, vcc
	s_waitcnt lgkmcnt(0)
	v_mul_f32_e32 v33, v31, v32
	s_cbranch_execz .LBB92_620
	s_branch .LBB92_621
.LBB92_619:
                                        ; implicit-def: $vgpr33
.LBB92_620:
	ds_read_b32 v33, v124
.LBB92_621:
	v_cmp_ne_u32_e32 vcc, 18, v0
	s_and_saveexec_b64 s[6:7], vcc
	s_cbranch_execz .LBB92_625
; %bb.622:
	v_mov_b32_e32 v31, 0x84
	v_lshl_add_u32 v34, v0, 2, v31
	v_mov_b32_e32 v32, v1
	s_mov_b64 s[8:9], 0
	v_mov_b32_e32 v31, v0
.LBB92_623:                             ; =>This Inner Loop Header: Depth=1
	v_add_co_u32_e32 v31, vcc, 1, v31
	v_addc_co_u32_e32 v32, vcc, 0, v32, vcc
	v_cmp_eq_u32_e32 vcc, 1, v31
	v_cndmask_b32_e32 v36, v2, v3, vcc
	v_cmp_lt_u32_e32 vcc, 17, v31
	v_cmp_eq_u32_e64 s[2:3], 2, v31
	v_cndmask_b32_e64 v36, v36, v4, s[2:3]
	s_or_b64 s[8:9], vcc, s[8:9]
	v_cmp_eq_u32_e32 vcc, 3, v31
	v_cndmask_b32_e32 v36, v36, v5, vcc
	v_cmp_eq_u32_e32 vcc, 4, v31
	v_cndmask_b32_e32 v36, v36, v6, vcc
	;; [unrolled: 2-line block ×21, first 2 shown]
	v_cmp_eq_u32_e32 vcc, 24, v31
	ds_read_b32 v35, v34
	v_cndmask_b32_e32 v36, v36, v26, vcc
	v_cmp_eq_u32_e32 vcc, 25, v31
	v_cndmask_b32_e32 v36, v36, v27, vcc
	v_cmp_eq_u32_e32 vcc, 26, v31
	v_cndmask_b32_e32 v36, v36, v28, vcc
	v_cmp_eq_u32_e32 vcc, 27, v31
	v_cndmask_b32_e32 v36, v36, v29, vcc
	v_cmp_eq_u32_e32 vcc, 28, v31
	v_cndmask_b32_e32 v36, v36, v30, vcc
	v_add_u32_e32 v34, 4, v34
	s_waitcnt lgkmcnt(0)
	v_fmac_f32_e32 v33, v36, v35
	s_andn2_b64 exec, exec, s[8:9]
	s_cbranch_execnz .LBB92_623
; %bb.624:
	s_or_b64 exec, exec, s[8:9]
.LBB92_625:
	s_or_b64 exec, exec, s[6:7]
	v_mov_b32_e32 v21, 0
	ds_read_b32 v21, v21 offset:76
	s_waitcnt lgkmcnt(0)
	v_mul_f32_e32 v21, v33, v21
.LBB92_626:
	s_or_b64 exec, exec, s[4:5]
	v_cmp_gt_u32_e32 vcc, 20, v0
	ds_write_b32 v124, v22
	s_waitcnt lgkmcnt(0)
	; wave barrier
	s_and_saveexec_b64 s[4:5], vcc
	s_cbranch_execz .LBB92_636
; %bb.627:
	s_and_b64 vcc, exec, s[0:1]
	s_cbranch_vccnz .LBB92_629
; %bb.628:
	v_cmp_eq_u32_e32 vcc, 1, v0
	v_cndmask_b32_e32 v31, v2, v3, vcc
	v_cmp_eq_u32_e32 vcc, 2, v0
	v_cndmask_b32_e32 v31, v31, v4, vcc
	;; [unrolled: 2-line block ×24, first 2 shown]
	v_cmp_eq_u32_e32 vcc, 25, v0
	ds_read_b32 v32, v124
	v_cndmask_b32_e32 v31, v31, v27, vcc
	v_cmp_eq_u32_e32 vcc, 26, v0
	v_cndmask_b32_e32 v31, v31, v28, vcc
	v_cmp_eq_u32_e32 vcc, 27, v0
	;; [unrolled: 2-line block ×3, first 2 shown]
	v_cndmask_b32_e32 v31, v31, v30, vcc
	s_waitcnt lgkmcnt(0)
	v_mul_f32_e32 v33, v31, v32
	s_cbranch_execz .LBB92_630
	s_branch .LBB92_631
.LBB92_629:
                                        ; implicit-def: $vgpr33
.LBB92_630:
	ds_read_b32 v33, v124
.LBB92_631:
	v_cmp_ne_u32_e32 vcc, 19, v0
	s_and_saveexec_b64 s[6:7], vcc
	s_cbranch_execz .LBB92_635
; %bb.632:
	v_mov_b32_e32 v31, 0x84
	v_lshl_add_u32 v34, v0, 2, v31
	v_mov_b32_e32 v32, v1
	s_mov_b64 s[8:9], 0
	v_mov_b32_e32 v31, v0
.LBB92_633:                             ; =>This Inner Loop Header: Depth=1
	v_add_co_u32_e32 v31, vcc, 1, v31
	v_addc_co_u32_e32 v32, vcc, 0, v32, vcc
	v_cmp_eq_u32_e32 vcc, 1, v31
	v_cndmask_b32_e32 v36, v2, v3, vcc
	v_cmp_lt_u32_e32 vcc, 18, v31
	v_cmp_eq_u32_e64 s[2:3], 2, v31
	v_cndmask_b32_e64 v36, v36, v4, s[2:3]
	s_or_b64 s[8:9], vcc, s[8:9]
	v_cmp_eq_u32_e32 vcc, 3, v31
	v_cndmask_b32_e32 v36, v36, v5, vcc
	v_cmp_eq_u32_e32 vcc, 4, v31
	v_cndmask_b32_e32 v36, v36, v6, vcc
	;; [unrolled: 2-line block ×21, first 2 shown]
	v_cmp_eq_u32_e32 vcc, 24, v31
	ds_read_b32 v35, v34
	v_cndmask_b32_e32 v36, v36, v26, vcc
	v_cmp_eq_u32_e32 vcc, 25, v31
	v_cndmask_b32_e32 v36, v36, v27, vcc
	v_cmp_eq_u32_e32 vcc, 26, v31
	;; [unrolled: 2-line block ×4, first 2 shown]
	v_cndmask_b32_e32 v36, v36, v30, vcc
	v_add_u32_e32 v34, 4, v34
	s_waitcnt lgkmcnt(0)
	v_fmac_f32_e32 v33, v36, v35
	s_andn2_b64 exec, exec, s[8:9]
	s_cbranch_execnz .LBB92_633
; %bb.634:
	s_or_b64 exec, exec, s[8:9]
.LBB92_635:
	s_or_b64 exec, exec, s[6:7]
	v_mov_b32_e32 v22, 0
	ds_read_b32 v22, v22 offset:80
	s_waitcnt lgkmcnt(0)
	v_mul_f32_e32 v22, v33, v22
.LBB92_636:
	s_or_b64 exec, exec, s[4:5]
	v_cmp_gt_u32_e32 vcc, 21, v0
	ds_write_b32 v124, v23
	s_waitcnt lgkmcnt(0)
	; wave barrier
	s_and_saveexec_b64 s[4:5], vcc
	s_cbranch_execz .LBB92_646
; %bb.637:
	s_and_b64 vcc, exec, s[0:1]
	s_cbranch_vccnz .LBB92_639
; %bb.638:
	v_cmp_eq_u32_e32 vcc, 1, v0
	v_cndmask_b32_e32 v31, v2, v3, vcc
	v_cmp_eq_u32_e32 vcc, 2, v0
	v_cndmask_b32_e32 v31, v31, v4, vcc
	;; [unrolled: 2-line block ×24, first 2 shown]
	v_cmp_eq_u32_e32 vcc, 25, v0
	ds_read_b32 v32, v124
	v_cndmask_b32_e32 v31, v31, v27, vcc
	v_cmp_eq_u32_e32 vcc, 26, v0
	v_cndmask_b32_e32 v31, v31, v28, vcc
	v_cmp_eq_u32_e32 vcc, 27, v0
	;; [unrolled: 2-line block ×3, first 2 shown]
	v_cndmask_b32_e32 v31, v31, v30, vcc
	s_waitcnt lgkmcnt(0)
	v_mul_f32_e32 v33, v31, v32
	s_cbranch_execz .LBB92_640
	s_branch .LBB92_641
.LBB92_639:
                                        ; implicit-def: $vgpr33
.LBB92_640:
	ds_read_b32 v33, v124
.LBB92_641:
	v_cmp_ne_u32_e32 vcc, 20, v0
	s_and_saveexec_b64 s[6:7], vcc
	s_cbranch_execz .LBB92_645
; %bb.642:
	v_mov_b32_e32 v31, 0x84
	v_lshl_add_u32 v34, v0, 2, v31
	v_mov_b32_e32 v32, v1
	s_mov_b64 s[8:9], 0
	v_mov_b32_e32 v31, v0
.LBB92_643:                             ; =>This Inner Loop Header: Depth=1
	v_add_co_u32_e32 v31, vcc, 1, v31
	v_addc_co_u32_e32 v32, vcc, 0, v32, vcc
	v_cmp_eq_u32_e32 vcc, 1, v31
	v_cndmask_b32_e32 v36, v2, v3, vcc
	v_cmp_lt_u32_e32 vcc, 19, v31
	v_cmp_eq_u32_e64 s[2:3], 2, v31
	v_cndmask_b32_e64 v36, v36, v4, s[2:3]
	s_or_b64 s[8:9], vcc, s[8:9]
	v_cmp_eq_u32_e32 vcc, 3, v31
	v_cndmask_b32_e32 v36, v36, v5, vcc
	v_cmp_eq_u32_e32 vcc, 4, v31
	v_cndmask_b32_e32 v36, v36, v6, vcc
	;; [unrolled: 2-line block ×21, first 2 shown]
	v_cmp_eq_u32_e32 vcc, 24, v31
	ds_read_b32 v35, v34
	v_cndmask_b32_e32 v36, v36, v26, vcc
	v_cmp_eq_u32_e32 vcc, 25, v31
	v_cndmask_b32_e32 v36, v36, v27, vcc
	v_cmp_eq_u32_e32 vcc, 26, v31
	;; [unrolled: 2-line block ×4, first 2 shown]
	v_cndmask_b32_e32 v36, v36, v30, vcc
	v_add_u32_e32 v34, 4, v34
	s_waitcnt lgkmcnt(0)
	v_fmac_f32_e32 v33, v36, v35
	s_andn2_b64 exec, exec, s[8:9]
	s_cbranch_execnz .LBB92_643
; %bb.644:
	s_or_b64 exec, exec, s[8:9]
.LBB92_645:
	s_or_b64 exec, exec, s[6:7]
	v_mov_b32_e32 v23, 0
	ds_read_b32 v23, v23 offset:84
	s_waitcnt lgkmcnt(0)
	v_mul_f32_e32 v23, v33, v23
.LBB92_646:
	s_or_b64 exec, exec, s[4:5]
	v_cmp_gt_u32_e32 vcc, 22, v0
	ds_write_b32 v124, v24
	s_waitcnt lgkmcnt(0)
	; wave barrier
	s_and_saveexec_b64 s[4:5], vcc
	s_cbranch_execz .LBB92_656
; %bb.647:
	s_and_b64 vcc, exec, s[0:1]
	s_cbranch_vccnz .LBB92_649
; %bb.648:
	v_cmp_eq_u32_e32 vcc, 1, v0
	v_cndmask_b32_e32 v31, v2, v3, vcc
	v_cmp_eq_u32_e32 vcc, 2, v0
	v_cndmask_b32_e32 v31, v31, v4, vcc
	;; [unrolled: 2-line block ×24, first 2 shown]
	v_cmp_eq_u32_e32 vcc, 25, v0
	ds_read_b32 v32, v124
	v_cndmask_b32_e32 v31, v31, v27, vcc
	v_cmp_eq_u32_e32 vcc, 26, v0
	v_cndmask_b32_e32 v31, v31, v28, vcc
	v_cmp_eq_u32_e32 vcc, 27, v0
	;; [unrolled: 2-line block ×3, first 2 shown]
	v_cndmask_b32_e32 v31, v31, v30, vcc
	s_waitcnt lgkmcnt(0)
	v_mul_f32_e32 v33, v31, v32
	s_cbranch_execz .LBB92_650
	s_branch .LBB92_651
.LBB92_649:
                                        ; implicit-def: $vgpr33
.LBB92_650:
	ds_read_b32 v33, v124
.LBB92_651:
	v_cmp_ne_u32_e32 vcc, 21, v0
	s_and_saveexec_b64 s[6:7], vcc
	s_cbranch_execz .LBB92_655
; %bb.652:
	v_mov_b32_e32 v31, 0x84
	v_lshl_add_u32 v34, v0, 2, v31
	v_mov_b32_e32 v32, v1
	s_mov_b64 s[8:9], 0
	v_mov_b32_e32 v31, v0
.LBB92_653:                             ; =>This Inner Loop Header: Depth=1
	v_add_co_u32_e32 v31, vcc, 1, v31
	v_addc_co_u32_e32 v32, vcc, 0, v32, vcc
	v_cmp_eq_u32_e32 vcc, 1, v31
	v_cndmask_b32_e32 v36, v2, v3, vcc
	v_cmp_lt_u32_e32 vcc, 20, v31
	v_cmp_eq_u32_e64 s[2:3], 2, v31
	v_cndmask_b32_e64 v36, v36, v4, s[2:3]
	s_or_b64 s[8:9], vcc, s[8:9]
	v_cmp_eq_u32_e32 vcc, 3, v31
	v_cndmask_b32_e32 v36, v36, v5, vcc
	v_cmp_eq_u32_e32 vcc, 4, v31
	v_cndmask_b32_e32 v36, v36, v6, vcc
	;; [unrolled: 2-line block ×21, first 2 shown]
	v_cmp_eq_u32_e32 vcc, 24, v31
	ds_read_b32 v35, v34
	v_cndmask_b32_e32 v36, v36, v26, vcc
	v_cmp_eq_u32_e32 vcc, 25, v31
	v_cndmask_b32_e32 v36, v36, v27, vcc
	v_cmp_eq_u32_e32 vcc, 26, v31
	;; [unrolled: 2-line block ×4, first 2 shown]
	v_cndmask_b32_e32 v36, v36, v30, vcc
	v_add_u32_e32 v34, 4, v34
	s_waitcnt lgkmcnt(0)
	v_fmac_f32_e32 v33, v36, v35
	s_andn2_b64 exec, exec, s[8:9]
	s_cbranch_execnz .LBB92_653
; %bb.654:
	s_or_b64 exec, exec, s[8:9]
.LBB92_655:
	s_or_b64 exec, exec, s[6:7]
	v_mov_b32_e32 v24, 0
	ds_read_b32 v24, v24 offset:88
	s_waitcnt lgkmcnt(0)
	v_mul_f32_e32 v24, v33, v24
.LBB92_656:
	s_or_b64 exec, exec, s[4:5]
	v_cmp_gt_u32_e32 vcc, 23, v0
	ds_write_b32 v124, v25
	s_waitcnt lgkmcnt(0)
	; wave barrier
	s_and_saveexec_b64 s[4:5], vcc
	s_cbranch_execz .LBB92_666
; %bb.657:
	s_and_b64 vcc, exec, s[0:1]
	s_cbranch_vccnz .LBB92_659
; %bb.658:
	v_cmp_eq_u32_e32 vcc, 1, v0
	v_cndmask_b32_e32 v31, v2, v3, vcc
	v_cmp_eq_u32_e32 vcc, 2, v0
	v_cndmask_b32_e32 v31, v31, v4, vcc
	;; [unrolled: 2-line block ×24, first 2 shown]
	v_cmp_eq_u32_e32 vcc, 25, v0
	ds_read_b32 v32, v124
	v_cndmask_b32_e32 v31, v31, v27, vcc
	v_cmp_eq_u32_e32 vcc, 26, v0
	v_cndmask_b32_e32 v31, v31, v28, vcc
	v_cmp_eq_u32_e32 vcc, 27, v0
	;; [unrolled: 2-line block ×3, first 2 shown]
	v_cndmask_b32_e32 v31, v31, v30, vcc
	s_waitcnt lgkmcnt(0)
	v_mul_f32_e32 v33, v31, v32
	s_cbranch_execz .LBB92_660
	s_branch .LBB92_661
.LBB92_659:
                                        ; implicit-def: $vgpr33
.LBB92_660:
	ds_read_b32 v33, v124
.LBB92_661:
	v_cmp_ne_u32_e32 vcc, 22, v0
	s_and_saveexec_b64 s[6:7], vcc
	s_cbranch_execz .LBB92_665
; %bb.662:
	v_mov_b32_e32 v31, 0x84
	v_lshl_add_u32 v34, v0, 2, v31
	v_mov_b32_e32 v32, v1
	s_mov_b64 s[8:9], 0
	v_mov_b32_e32 v31, v0
.LBB92_663:                             ; =>This Inner Loop Header: Depth=1
	v_add_co_u32_e32 v31, vcc, 1, v31
	v_addc_co_u32_e32 v32, vcc, 0, v32, vcc
	v_cmp_eq_u32_e32 vcc, 1, v31
	v_cndmask_b32_e32 v36, v2, v3, vcc
	v_cmp_lt_u32_e32 vcc, 21, v31
	v_cmp_eq_u32_e64 s[2:3], 2, v31
	v_cndmask_b32_e64 v36, v36, v4, s[2:3]
	s_or_b64 s[8:9], vcc, s[8:9]
	v_cmp_eq_u32_e32 vcc, 3, v31
	v_cndmask_b32_e32 v36, v36, v5, vcc
	v_cmp_eq_u32_e32 vcc, 4, v31
	v_cndmask_b32_e32 v36, v36, v6, vcc
	;; [unrolled: 2-line block ×21, first 2 shown]
	v_cmp_eq_u32_e32 vcc, 24, v31
	ds_read_b32 v35, v34
	v_cndmask_b32_e32 v36, v36, v26, vcc
	v_cmp_eq_u32_e32 vcc, 25, v31
	v_cndmask_b32_e32 v36, v36, v27, vcc
	v_cmp_eq_u32_e32 vcc, 26, v31
	;; [unrolled: 2-line block ×4, first 2 shown]
	v_cndmask_b32_e32 v36, v36, v30, vcc
	v_add_u32_e32 v34, 4, v34
	s_waitcnt lgkmcnt(0)
	v_fmac_f32_e32 v33, v36, v35
	s_andn2_b64 exec, exec, s[8:9]
	s_cbranch_execnz .LBB92_663
; %bb.664:
	s_or_b64 exec, exec, s[8:9]
.LBB92_665:
	s_or_b64 exec, exec, s[6:7]
	v_mov_b32_e32 v25, 0
	ds_read_b32 v25, v25 offset:92
	s_waitcnt lgkmcnt(0)
	v_mul_f32_e32 v25, v33, v25
.LBB92_666:
	s_or_b64 exec, exec, s[4:5]
	v_cmp_gt_u32_e32 vcc, 24, v0
	ds_write_b32 v124, v26
	s_waitcnt lgkmcnt(0)
	; wave barrier
	s_and_saveexec_b64 s[4:5], vcc
	s_cbranch_execz .LBB92_676
; %bb.667:
	s_and_b64 vcc, exec, s[0:1]
	s_cbranch_vccnz .LBB92_669
; %bb.668:
	v_cmp_eq_u32_e32 vcc, 1, v0
	v_cndmask_b32_e32 v31, v2, v3, vcc
	v_cmp_eq_u32_e32 vcc, 2, v0
	v_cndmask_b32_e32 v31, v31, v4, vcc
	;; [unrolled: 2-line block ×24, first 2 shown]
	v_cmp_eq_u32_e32 vcc, 25, v0
	ds_read_b32 v32, v124
	v_cndmask_b32_e32 v31, v31, v27, vcc
	v_cmp_eq_u32_e32 vcc, 26, v0
	v_cndmask_b32_e32 v31, v31, v28, vcc
	v_cmp_eq_u32_e32 vcc, 27, v0
	;; [unrolled: 2-line block ×3, first 2 shown]
	v_cndmask_b32_e32 v31, v31, v30, vcc
	s_waitcnt lgkmcnt(0)
	v_mul_f32_e32 v33, v31, v32
	s_cbranch_execz .LBB92_670
	s_branch .LBB92_671
.LBB92_669:
                                        ; implicit-def: $vgpr33
.LBB92_670:
	ds_read_b32 v33, v124
.LBB92_671:
	v_cmp_ne_u32_e32 vcc, 23, v0
	s_and_saveexec_b64 s[6:7], vcc
	s_cbranch_execz .LBB92_675
; %bb.672:
	v_mov_b32_e32 v31, 0x84
	v_lshl_add_u32 v34, v0, 2, v31
	v_mov_b32_e32 v32, v1
	s_mov_b64 s[8:9], 0
	v_mov_b32_e32 v31, v0
.LBB92_673:                             ; =>This Inner Loop Header: Depth=1
	v_add_co_u32_e32 v31, vcc, 1, v31
	v_addc_co_u32_e32 v32, vcc, 0, v32, vcc
	v_cmp_eq_u32_e32 vcc, 1, v31
	v_cndmask_b32_e32 v36, v2, v3, vcc
	v_cmp_lt_u32_e32 vcc, 22, v31
	v_cmp_eq_u32_e64 s[2:3], 2, v31
	v_cndmask_b32_e64 v36, v36, v4, s[2:3]
	s_or_b64 s[8:9], vcc, s[8:9]
	v_cmp_eq_u32_e32 vcc, 3, v31
	v_cndmask_b32_e32 v36, v36, v5, vcc
	v_cmp_eq_u32_e32 vcc, 4, v31
	v_cndmask_b32_e32 v36, v36, v6, vcc
	v_cmp_eq_u32_e32 vcc, 5, v31
	v_cndmask_b32_e32 v36, v36, v7, vcc
	v_cmp_eq_u32_e32 vcc, 6, v31
	v_cndmask_b32_e32 v36, v36, v8, vcc
	v_cmp_eq_u32_e32 vcc, 7, v31
	v_cndmask_b32_e32 v36, v36, v9, vcc
	v_cmp_eq_u32_e32 vcc, 8, v31
	v_cndmask_b32_e32 v36, v36, v10, vcc
	v_cmp_eq_u32_e32 vcc, 9, v31
	v_cndmask_b32_e32 v36, v36, v11, vcc
	v_cmp_eq_u32_e32 vcc, 10, v31
	v_cndmask_b32_e32 v36, v36, v12, vcc
	v_cmp_eq_u32_e32 vcc, 11, v31
	v_cndmask_b32_e32 v36, v36, v13, vcc
	v_cmp_eq_u32_e32 vcc, 12, v31
	v_cndmask_b32_e32 v36, v36, v14, vcc
	v_cmp_eq_u32_e32 vcc, 13, v31
	v_cndmask_b32_e32 v36, v36, v15, vcc
	v_cmp_eq_u32_e32 vcc, 14, v31
	v_cndmask_b32_e32 v36, v36, v16, vcc
	v_cmp_eq_u32_e32 vcc, 15, v31
	v_cndmask_b32_e32 v36, v36, v17, vcc
	v_cmp_eq_u32_e32 vcc, 16, v31
	v_cndmask_b32_e32 v36, v36, v18, vcc
	v_cmp_eq_u32_e32 vcc, 17, v31
	v_cndmask_b32_e32 v36, v36, v19, vcc
	v_cmp_eq_u32_e32 vcc, 18, v31
	v_cndmask_b32_e32 v36, v36, v20, vcc
	v_cmp_eq_u32_e32 vcc, 19, v31
	v_cndmask_b32_e32 v36, v36, v21, vcc
	v_cmp_eq_u32_e32 vcc, 20, v31
	v_cndmask_b32_e32 v36, v36, v22, vcc
	v_cmp_eq_u32_e32 vcc, 21, v31
	v_cndmask_b32_e32 v36, v36, v23, vcc
	v_cmp_eq_u32_e32 vcc, 22, v31
	v_cndmask_b32_e32 v36, v36, v24, vcc
	v_cmp_eq_u32_e32 vcc, 23, v31
	v_cndmask_b32_e32 v36, v36, v25, vcc
	v_cmp_eq_u32_e32 vcc, 24, v31
	ds_read_b32 v35, v34
	v_cndmask_b32_e32 v36, v36, v26, vcc
	v_cmp_eq_u32_e32 vcc, 25, v31
	v_cndmask_b32_e32 v36, v36, v27, vcc
	v_cmp_eq_u32_e32 vcc, 26, v31
	;; [unrolled: 2-line block ×4, first 2 shown]
	v_cndmask_b32_e32 v36, v36, v30, vcc
	v_add_u32_e32 v34, 4, v34
	s_waitcnt lgkmcnt(0)
	v_fmac_f32_e32 v33, v36, v35
	s_andn2_b64 exec, exec, s[8:9]
	s_cbranch_execnz .LBB92_673
; %bb.674:
	s_or_b64 exec, exec, s[8:9]
.LBB92_675:
	s_or_b64 exec, exec, s[6:7]
	v_mov_b32_e32 v26, 0
	ds_read_b32 v26, v26 offset:96
	s_waitcnt lgkmcnt(0)
	v_mul_f32_e32 v26, v33, v26
.LBB92_676:
	s_or_b64 exec, exec, s[4:5]
	v_cmp_gt_u32_e32 vcc, 25, v0
	ds_write_b32 v124, v27
	s_waitcnt lgkmcnt(0)
	; wave barrier
	s_and_saveexec_b64 s[4:5], vcc
	s_cbranch_execz .LBB92_686
; %bb.677:
	s_and_b64 vcc, exec, s[0:1]
	s_cbranch_vccnz .LBB92_679
; %bb.678:
	v_cmp_eq_u32_e32 vcc, 1, v0
	v_cndmask_b32_e32 v31, v2, v3, vcc
	v_cmp_eq_u32_e32 vcc, 2, v0
	v_cndmask_b32_e32 v31, v31, v4, vcc
	;; [unrolled: 2-line block ×24, first 2 shown]
	v_cmp_eq_u32_e32 vcc, 25, v0
	ds_read_b32 v32, v124
	v_cndmask_b32_e32 v31, v31, v27, vcc
	v_cmp_eq_u32_e32 vcc, 26, v0
	v_cndmask_b32_e32 v31, v31, v28, vcc
	v_cmp_eq_u32_e32 vcc, 27, v0
	;; [unrolled: 2-line block ×3, first 2 shown]
	v_cndmask_b32_e32 v31, v31, v30, vcc
	s_waitcnt lgkmcnt(0)
	v_mul_f32_e32 v33, v31, v32
	s_cbranch_execz .LBB92_680
	s_branch .LBB92_681
.LBB92_679:
                                        ; implicit-def: $vgpr33
.LBB92_680:
	ds_read_b32 v33, v124
.LBB92_681:
	v_cmp_ne_u32_e32 vcc, 24, v0
	s_and_saveexec_b64 s[6:7], vcc
	s_cbranch_execz .LBB92_685
; %bb.682:
	v_mov_b32_e32 v31, 0x84
	v_lshl_add_u32 v34, v0, 2, v31
	v_mov_b32_e32 v32, v1
	s_mov_b64 s[8:9], 0
	v_mov_b32_e32 v31, v0
.LBB92_683:                             ; =>This Inner Loop Header: Depth=1
	v_add_co_u32_e32 v31, vcc, 1, v31
	v_addc_co_u32_e32 v32, vcc, 0, v32, vcc
	v_cmp_eq_u32_e32 vcc, 1, v31
	v_cndmask_b32_e32 v36, v2, v3, vcc
	v_cmp_lt_u32_e32 vcc, 23, v31
	v_cmp_eq_u32_e64 s[2:3], 2, v31
	v_cndmask_b32_e64 v36, v36, v4, s[2:3]
	s_or_b64 s[8:9], vcc, s[8:9]
	v_cmp_eq_u32_e32 vcc, 3, v31
	v_cndmask_b32_e32 v36, v36, v5, vcc
	v_cmp_eq_u32_e32 vcc, 4, v31
	v_cndmask_b32_e32 v36, v36, v6, vcc
	v_cmp_eq_u32_e32 vcc, 5, v31
	v_cndmask_b32_e32 v36, v36, v7, vcc
	v_cmp_eq_u32_e32 vcc, 6, v31
	v_cndmask_b32_e32 v36, v36, v8, vcc
	v_cmp_eq_u32_e32 vcc, 7, v31
	v_cndmask_b32_e32 v36, v36, v9, vcc
	v_cmp_eq_u32_e32 vcc, 8, v31
	v_cndmask_b32_e32 v36, v36, v10, vcc
	v_cmp_eq_u32_e32 vcc, 9, v31
	v_cndmask_b32_e32 v36, v36, v11, vcc
	v_cmp_eq_u32_e32 vcc, 10, v31
	v_cndmask_b32_e32 v36, v36, v12, vcc
	v_cmp_eq_u32_e32 vcc, 11, v31
	v_cndmask_b32_e32 v36, v36, v13, vcc
	v_cmp_eq_u32_e32 vcc, 12, v31
	v_cndmask_b32_e32 v36, v36, v14, vcc
	v_cmp_eq_u32_e32 vcc, 13, v31
	v_cndmask_b32_e32 v36, v36, v15, vcc
	v_cmp_eq_u32_e32 vcc, 14, v31
	v_cndmask_b32_e32 v36, v36, v16, vcc
	v_cmp_eq_u32_e32 vcc, 15, v31
	v_cndmask_b32_e32 v36, v36, v17, vcc
	v_cmp_eq_u32_e32 vcc, 16, v31
	v_cndmask_b32_e32 v36, v36, v18, vcc
	v_cmp_eq_u32_e32 vcc, 17, v31
	v_cndmask_b32_e32 v36, v36, v19, vcc
	v_cmp_eq_u32_e32 vcc, 18, v31
	v_cndmask_b32_e32 v36, v36, v20, vcc
	v_cmp_eq_u32_e32 vcc, 19, v31
	v_cndmask_b32_e32 v36, v36, v21, vcc
	v_cmp_eq_u32_e32 vcc, 20, v31
	v_cndmask_b32_e32 v36, v36, v22, vcc
	v_cmp_eq_u32_e32 vcc, 21, v31
	v_cndmask_b32_e32 v36, v36, v23, vcc
	v_cmp_eq_u32_e32 vcc, 22, v31
	v_cndmask_b32_e32 v36, v36, v24, vcc
	v_cmp_eq_u32_e32 vcc, 23, v31
	v_cndmask_b32_e32 v36, v36, v25, vcc
	v_cmp_eq_u32_e32 vcc, 24, v31
	ds_read_b32 v35, v34
	v_cndmask_b32_e32 v36, v36, v26, vcc
	v_cmp_eq_u32_e32 vcc, 25, v31
	v_cndmask_b32_e32 v36, v36, v27, vcc
	v_cmp_eq_u32_e32 vcc, 26, v31
	;; [unrolled: 2-line block ×4, first 2 shown]
	v_cndmask_b32_e32 v36, v36, v30, vcc
	v_add_u32_e32 v34, 4, v34
	s_waitcnt lgkmcnt(0)
	v_fmac_f32_e32 v33, v36, v35
	s_andn2_b64 exec, exec, s[8:9]
	s_cbranch_execnz .LBB92_683
; %bb.684:
	s_or_b64 exec, exec, s[8:9]
.LBB92_685:
	s_or_b64 exec, exec, s[6:7]
	v_mov_b32_e32 v27, 0
	ds_read_b32 v27, v27 offset:100
	s_waitcnt lgkmcnt(0)
	v_mul_f32_e32 v27, v33, v27
.LBB92_686:
	s_or_b64 exec, exec, s[4:5]
	v_cmp_gt_u32_e32 vcc, 26, v0
	ds_write_b32 v124, v28
	s_waitcnt lgkmcnt(0)
	; wave barrier
	s_and_saveexec_b64 s[4:5], vcc
	s_cbranch_execz .LBB92_696
; %bb.687:
	s_and_b64 vcc, exec, s[0:1]
	s_cbranch_vccnz .LBB92_689
; %bb.688:
	v_cmp_eq_u32_e32 vcc, 1, v0
	v_cndmask_b32_e32 v31, v2, v3, vcc
	v_cmp_eq_u32_e32 vcc, 2, v0
	v_cndmask_b32_e32 v31, v31, v4, vcc
	;; [unrolled: 2-line block ×24, first 2 shown]
	v_cmp_eq_u32_e32 vcc, 25, v0
	ds_read_b32 v32, v124
	v_cndmask_b32_e32 v31, v31, v27, vcc
	v_cmp_eq_u32_e32 vcc, 26, v0
	v_cndmask_b32_e32 v31, v31, v28, vcc
	v_cmp_eq_u32_e32 vcc, 27, v0
	;; [unrolled: 2-line block ×3, first 2 shown]
	v_cndmask_b32_e32 v31, v31, v30, vcc
	s_waitcnt lgkmcnt(0)
	v_mul_f32_e32 v33, v31, v32
	s_cbranch_execz .LBB92_690
	s_branch .LBB92_691
.LBB92_689:
                                        ; implicit-def: $vgpr33
.LBB92_690:
	ds_read_b32 v33, v124
.LBB92_691:
	v_cmp_ne_u32_e32 vcc, 25, v0
	s_and_saveexec_b64 s[6:7], vcc
	s_cbranch_execz .LBB92_695
; %bb.692:
	v_mov_b32_e32 v31, 0x84
	v_lshl_add_u32 v34, v0, 2, v31
	v_mov_b32_e32 v32, v1
	s_mov_b64 s[8:9], 0
	v_mov_b32_e32 v31, v0
.LBB92_693:                             ; =>This Inner Loop Header: Depth=1
	v_add_co_u32_e32 v31, vcc, 1, v31
	v_addc_co_u32_e32 v32, vcc, 0, v32, vcc
	v_cmp_eq_u32_e32 vcc, 1, v31
	v_cndmask_b32_e32 v36, v2, v3, vcc
	v_cmp_lt_u32_e32 vcc, 24, v31
	v_cmp_eq_u32_e64 s[2:3], 2, v31
	v_cndmask_b32_e64 v36, v36, v4, s[2:3]
	s_or_b64 s[8:9], vcc, s[8:9]
	v_cmp_eq_u32_e32 vcc, 3, v31
	v_cndmask_b32_e32 v36, v36, v5, vcc
	v_cmp_eq_u32_e32 vcc, 4, v31
	v_cndmask_b32_e32 v36, v36, v6, vcc
	;; [unrolled: 2-line block ×21, first 2 shown]
	v_cmp_eq_u32_e32 vcc, 24, v31
	ds_read_b32 v35, v34
	v_cndmask_b32_e32 v36, v36, v26, vcc
	v_cmp_eq_u32_e32 vcc, 25, v31
	v_cndmask_b32_e32 v36, v36, v27, vcc
	v_cmp_eq_u32_e32 vcc, 26, v31
	;; [unrolled: 2-line block ×4, first 2 shown]
	v_cndmask_b32_e32 v36, v36, v30, vcc
	v_add_u32_e32 v34, 4, v34
	s_waitcnt lgkmcnt(0)
	v_fmac_f32_e32 v33, v36, v35
	s_andn2_b64 exec, exec, s[8:9]
	s_cbranch_execnz .LBB92_693
; %bb.694:
	s_or_b64 exec, exec, s[8:9]
.LBB92_695:
	s_or_b64 exec, exec, s[6:7]
	v_mov_b32_e32 v28, 0
	ds_read_b32 v28, v28 offset:104
	s_waitcnt lgkmcnt(0)
	v_mul_f32_e32 v28, v33, v28
.LBB92_696:
	s_or_b64 exec, exec, s[4:5]
	v_cmp_gt_u32_e64 s[2:3], 27, v0
	ds_write_b32 v124, v29
	s_waitcnt lgkmcnt(0)
	; wave barrier
	s_and_saveexec_b64 s[6:7], s[2:3]
	s_cbranch_execz .LBB92_706
; %bb.697:
	s_and_b64 vcc, exec, s[0:1]
	s_cbranch_vccnz .LBB92_699
; %bb.698:
	v_cmp_eq_u32_e32 vcc, 1, v0
	v_cndmask_b32_e32 v31, v2, v3, vcc
	v_cmp_eq_u32_e32 vcc, 2, v0
	v_cndmask_b32_e32 v31, v31, v4, vcc
	;; [unrolled: 2-line block ×24, first 2 shown]
	v_cmp_eq_u32_e32 vcc, 25, v0
	ds_read_b32 v32, v124
	v_cndmask_b32_e32 v31, v31, v27, vcc
	v_cmp_eq_u32_e32 vcc, 26, v0
	v_cndmask_b32_e32 v31, v31, v28, vcc
	v_cmp_eq_u32_e32 vcc, 27, v0
	;; [unrolled: 2-line block ×3, first 2 shown]
	v_cndmask_b32_e32 v31, v31, v30, vcc
	s_waitcnt lgkmcnt(0)
	v_mul_f32_e32 v33, v31, v32
	s_cbranch_execz .LBB92_700
	s_branch .LBB92_701
.LBB92_699:
                                        ; implicit-def: $vgpr33
.LBB92_700:
	ds_read_b32 v33, v124
.LBB92_701:
	v_cmp_ne_u32_e32 vcc, 26, v0
	s_and_saveexec_b64 s[8:9], vcc
	s_cbranch_execz .LBB92_705
; %bb.702:
	v_mov_b32_e32 v31, 0x84
	v_lshl_add_u32 v34, v0, 2, v31
	v_mov_b32_e32 v32, v1
	s_mov_b64 s[10:11], 0
	v_mov_b32_e32 v31, v0
.LBB92_703:                             ; =>This Inner Loop Header: Depth=1
	v_add_co_u32_e32 v31, vcc, 1, v31
	v_addc_co_u32_e32 v32, vcc, 0, v32, vcc
	v_cmp_eq_u32_e32 vcc, 1, v31
	v_cndmask_b32_e32 v36, v2, v3, vcc
	v_cmp_lt_u32_e32 vcc, 25, v31
	v_cmp_eq_u32_e64 s[4:5], 2, v31
	v_cndmask_b32_e64 v36, v36, v4, s[4:5]
	s_or_b64 s[10:11], vcc, s[10:11]
	v_cmp_eq_u32_e32 vcc, 3, v31
	v_cndmask_b32_e32 v36, v36, v5, vcc
	v_cmp_eq_u32_e32 vcc, 4, v31
	v_cndmask_b32_e32 v36, v36, v6, vcc
	;; [unrolled: 2-line block ×21, first 2 shown]
	v_cmp_eq_u32_e32 vcc, 24, v31
	ds_read_b32 v35, v34
	v_cndmask_b32_e32 v36, v36, v26, vcc
	v_cmp_eq_u32_e32 vcc, 25, v31
	v_cndmask_b32_e32 v36, v36, v27, vcc
	v_cmp_eq_u32_e32 vcc, 26, v31
	;; [unrolled: 2-line block ×4, first 2 shown]
	v_cndmask_b32_e32 v36, v36, v30, vcc
	v_add_u32_e32 v34, 4, v34
	s_waitcnt lgkmcnt(0)
	v_fmac_f32_e32 v33, v36, v35
	s_andn2_b64 exec, exec, s[10:11]
	s_cbranch_execnz .LBB92_703
; %bb.704:
	s_or_b64 exec, exec, s[10:11]
.LBB92_705:
	s_or_b64 exec, exec, s[8:9]
	v_mov_b32_e32 v29, 0
	ds_read_b32 v29, v29 offset:108
	s_waitcnt lgkmcnt(0)
	v_mul_f32_e32 v29, v33, v29
.LBB92_706:
	s_or_b64 exec, exec, s[6:7]
	v_cmp_ne_u32_e32 vcc, 28, v0
	ds_write_b32 v124, v30
	s_waitcnt lgkmcnt(0)
	; wave barrier
	s_and_saveexec_b64 s[4:5], vcc
	s_cbranch_execz .LBB92_716
; %bb.707:
	s_and_b64 vcc, exec, s[0:1]
	s_cbranch_vccnz .LBB92_709
; %bb.708:
	v_cmp_eq_u32_e32 vcc, 1, v0
	v_cndmask_b32_e32 v31, v2, v3, vcc
	v_cmp_eq_u32_e32 vcc, 2, v0
	v_cndmask_b32_e32 v31, v31, v4, vcc
	;; [unrolled: 2-line block ×24, first 2 shown]
	v_cmp_eq_u32_e32 vcc, 25, v0
	ds_read_b32 v32, v124
	v_cndmask_b32_e32 v31, v31, v27, vcc
	v_cmp_eq_u32_e32 vcc, 26, v0
	v_cndmask_b32_e32 v31, v31, v28, vcc
	v_cmp_eq_u32_e32 vcc, 27, v0
	;; [unrolled: 2-line block ×3, first 2 shown]
	v_cndmask_b32_e32 v31, v31, v30, vcc
	s_waitcnt lgkmcnt(0)
	v_mul_f32_e32 v31, v31, v32
	s_cbranch_execz .LBB92_710
	s_branch .LBB92_711
.LBB92_709:
                                        ; implicit-def: $vgpr31
.LBB92_710:
	ds_read_b32 v31, v124
.LBB92_711:
	s_and_saveexec_b64 s[6:7], s[2:3]
	s_cbranch_execz .LBB92_715
; %bb.712:
	v_mov_b32_e32 v32, 0x84
	v_lshl_add_u32 v32, v0, 2, v32
	s_mov_b64 s[2:3], 0
.LBB92_713:                             ; =>This Inner Loop Header: Depth=1
	v_add_co_u32_e32 v0, vcc, 1, v0
	v_addc_co_u32_e32 v1, vcc, 0, v1, vcc
	v_cmp_eq_u32_e32 vcc, 1, v0
	v_cndmask_b32_e32 v34, v2, v3, vcc
	v_cmp_lt_u32_e32 vcc, 26, v0
	v_cmp_eq_u32_e64 s[0:1], 2, v0
	v_cndmask_b32_e64 v34, v34, v4, s[0:1]
	s_or_b64 s[2:3], vcc, s[2:3]
	v_cmp_eq_u32_e32 vcc, 3, v0
	v_cndmask_b32_e32 v34, v34, v5, vcc
	v_cmp_eq_u32_e32 vcc, 4, v0
	v_cndmask_b32_e32 v34, v34, v6, vcc
	;; [unrolled: 2-line block ×21, first 2 shown]
	v_cmp_eq_u32_e32 vcc, 24, v0
	ds_read_b32 v33, v32
	v_cndmask_b32_e32 v34, v34, v26, vcc
	v_cmp_eq_u32_e32 vcc, 25, v0
	v_cndmask_b32_e32 v34, v34, v27, vcc
	v_cmp_eq_u32_e32 vcc, 26, v0
	;; [unrolled: 2-line block ×4, first 2 shown]
	v_cndmask_b32_e32 v34, v34, v30, vcc
	v_add_u32_e32 v32, 4, v32
	s_waitcnt lgkmcnt(0)
	v_fmac_f32_e32 v31, v34, v33
	s_andn2_b64 exec, exec, s[2:3]
	s_cbranch_execnz .LBB92_713
; %bb.714:
	s_or_b64 exec, exec, s[2:3]
.LBB92_715:
	s_or_b64 exec, exec, s[6:7]
	v_mov_b32_e32 v0, 0
	ds_read_b32 v0, v0 offset:112
	s_waitcnt lgkmcnt(0)
	v_mul_f32_e32 v30, v31, v0
.LBB92_716:
	s_or_b64 exec, exec, s[4:5]
	v_mov_b32_e32 v65, v33
	v_mov_b32_e32 v64, v32
	;; [unrolled: 1-line block ×32, first 2 shown]
.LBB92_717:
	flat_store_dword v[120:121], v34
	flat_store_dword v[122:123], v35
	;; [unrolled: 1-line block ×29, first 2 shown]
.LBB92_718:
	s_endpgm
	.section	.rodata,"a",@progbits
	.p2align	6, 0x0
	.amdhsa_kernel _ZN9rocsolver6v33100L18trti2_kernel_smallILi29EfPKPfEEv13rocblas_fill_17rocblas_diagonal_T1_iil
		.amdhsa_group_segment_fixed_size 244
		.amdhsa_private_segment_fixed_size 0
		.amdhsa_kernarg_size 32
		.amdhsa_user_sgpr_count 6
		.amdhsa_user_sgpr_private_segment_buffer 1
		.amdhsa_user_sgpr_dispatch_ptr 0
		.amdhsa_user_sgpr_queue_ptr 0
		.amdhsa_user_sgpr_kernarg_segment_ptr 1
		.amdhsa_user_sgpr_dispatch_id 0
		.amdhsa_user_sgpr_flat_scratch_init 0
		.amdhsa_user_sgpr_private_segment_size 0
		.amdhsa_uses_dynamic_stack 0
		.amdhsa_system_sgpr_private_segment_wavefront_offset 0
		.amdhsa_system_sgpr_workgroup_id_x 1
		.amdhsa_system_sgpr_workgroup_id_y 0
		.amdhsa_system_sgpr_workgroup_id_z 0
		.amdhsa_system_sgpr_workgroup_info 0
		.amdhsa_system_vgpr_workitem_id 0
		.amdhsa_next_free_vgpr 142
		.amdhsa_next_free_sgpr 66
		.amdhsa_reserve_vcc 1
		.amdhsa_reserve_flat_scratch 0
		.amdhsa_float_round_mode_32 0
		.amdhsa_float_round_mode_16_64 0
		.amdhsa_float_denorm_mode_32 3
		.amdhsa_float_denorm_mode_16_64 3
		.amdhsa_dx10_clamp 1
		.amdhsa_ieee_mode 1
		.amdhsa_fp16_overflow 0
		.amdhsa_exception_fp_ieee_invalid_op 0
		.amdhsa_exception_fp_denorm_src 0
		.amdhsa_exception_fp_ieee_div_zero 0
		.amdhsa_exception_fp_ieee_overflow 0
		.amdhsa_exception_fp_ieee_underflow 0
		.amdhsa_exception_fp_ieee_inexact 0
		.amdhsa_exception_int_div_zero 0
	.end_amdhsa_kernel
	.section	.text._ZN9rocsolver6v33100L18trti2_kernel_smallILi29EfPKPfEEv13rocblas_fill_17rocblas_diagonal_T1_iil,"axG",@progbits,_ZN9rocsolver6v33100L18trti2_kernel_smallILi29EfPKPfEEv13rocblas_fill_17rocblas_diagonal_T1_iil,comdat
.Lfunc_end92:
	.size	_ZN9rocsolver6v33100L18trti2_kernel_smallILi29EfPKPfEEv13rocblas_fill_17rocblas_diagonal_T1_iil, .Lfunc_end92-_ZN9rocsolver6v33100L18trti2_kernel_smallILi29EfPKPfEEv13rocblas_fill_17rocblas_diagonal_T1_iil
                                        ; -- End function
	.set _ZN9rocsolver6v33100L18trti2_kernel_smallILi29EfPKPfEEv13rocblas_fill_17rocblas_diagonal_T1_iil.num_vgpr, 142
	.set _ZN9rocsolver6v33100L18trti2_kernel_smallILi29EfPKPfEEv13rocblas_fill_17rocblas_diagonal_T1_iil.num_agpr, 0
	.set _ZN9rocsolver6v33100L18trti2_kernel_smallILi29EfPKPfEEv13rocblas_fill_17rocblas_diagonal_T1_iil.numbered_sgpr, 66
	.set _ZN9rocsolver6v33100L18trti2_kernel_smallILi29EfPKPfEEv13rocblas_fill_17rocblas_diagonal_T1_iil.num_named_barrier, 0
	.set _ZN9rocsolver6v33100L18trti2_kernel_smallILi29EfPKPfEEv13rocblas_fill_17rocblas_diagonal_T1_iil.private_seg_size, 0
	.set _ZN9rocsolver6v33100L18trti2_kernel_smallILi29EfPKPfEEv13rocblas_fill_17rocblas_diagonal_T1_iil.uses_vcc, 1
	.set _ZN9rocsolver6v33100L18trti2_kernel_smallILi29EfPKPfEEv13rocblas_fill_17rocblas_diagonal_T1_iil.uses_flat_scratch, 0
	.set _ZN9rocsolver6v33100L18trti2_kernel_smallILi29EfPKPfEEv13rocblas_fill_17rocblas_diagonal_T1_iil.has_dyn_sized_stack, 0
	.set _ZN9rocsolver6v33100L18trti2_kernel_smallILi29EfPKPfEEv13rocblas_fill_17rocblas_diagonal_T1_iil.has_recursion, 0
	.set _ZN9rocsolver6v33100L18trti2_kernel_smallILi29EfPKPfEEv13rocblas_fill_17rocblas_diagonal_T1_iil.has_indirect_call, 0
	.section	.AMDGPU.csdata,"",@progbits
; Kernel info:
; codeLenInByte = 46516
; TotalNumSgprs: 70
; NumVgprs: 142
; ScratchSize: 0
; MemoryBound: 0
; FloatMode: 240
; IeeeMode: 1
; LDSByteSize: 244 bytes/workgroup (compile time only)
; SGPRBlocks: 8
; VGPRBlocks: 35
; NumSGPRsForWavesPerEU: 70
; NumVGPRsForWavesPerEU: 142
; Occupancy: 1
; WaveLimiterHint : 1
; COMPUTE_PGM_RSRC2:SCRATCH_EN: 0
; COMPUTE_PGM_RSRC2:USER_SGPR: 6
; COMPUTE_PGM_RSRC2:TRAP_HANDLER: 0
; COMPUTE_PGM_RSRC2:TGID_X_EN: 1
; COMPUTE_PGM_RSRC2:TGID_Y_EN: 0
; COMPUTE_PGM_RSRC2:TGID_Z_EN: 0
; COMPUTE_PGM_RSRC2:TIDIG_COMP_CNT: 0
	.section	.text._ZN9rocsolver6v33100L18trti2_kernel_smallILi30EfPKPfEEv13rocblas_fill_17rocblas_diagonal_T1_iil,"axG",@progbits,_ZN9rocsolver6v33100L18trti2_kernel_smallILi30EfPKPfEEv13rocblas_fill_17rocblas_diagonal_T1_iil,comdat
	.globl	_ZN9rocsolver6v33100L18trti2_kernel_smallILi30EfPKPfEEv13rocblas_fill_17rocblas_diagonal_T1_iil ; -- Begin function _ZN9rocsolver6v33100L18trti2_kernel_smallILi30EfPKPfEEv13rocblas_fill_17rocblas_diagonal_T1_iil
	.p2align	8
	.type	_ZN9rocsolver6v33100L18trti2_kernel_smallILi30EfPKPfEEv13rocblas_fill_17rocblas_diagonal_T1_iil,@function
_ZN9rocsolver6v33100L18trti2_kernel_smallILi30EfPKPfEEv13rocblas_fill_17rocblas_diagonal_T1_iil: ; @_ZN9rocsolver6v33100L18trti2_kernel_smallILi30EfPKPfEEv13rocblas_fill_17rocblas_diagonal_T1_iil
; %bb.0:
	v_cmp_gt_u32_e32 vcc, 30, v0
	s_and_saveexec_b64 s[0:1], vcc
	s_cbranch_execz .LBB93_744
; %bb.1:
	s_load_dwordx2 s[0:1], s[4:5], 0x10
	s_load_dwordx4 s[64:67], s[4:5], 0x0
	s_ashr_i32 s7, s6, 31
	s_lshl_b64 s[2:3], s[6:7], 3
	v_lshlrev_b32_e32 v34, 2, v0
	s_waitcnt lgkmcnt(0)
	s_ashr_i32 s5, s0, 31
	s_add_u32 s2, s66, s2
	s_addc_u32 s3, s67, s3
	s_load_dwordx2 s[2:3], s[2:3], 0x0
	s_mov_b32 s4, s0
	s_lshl_b64 s[4:5], s[4:5], 2
	v_mov_b32_e32 v35, -1.0
	s_waitcnt lgkmcnt(0)
	s_add_u32 s0, s2, s4
	s_addc_u32 s2, s3, s5
	s_add_i32 s3, s1, s1
	v_add_u32_e32 v1, s3, v0
	v_ashrrev_i32_e32 v2, 31, v1
	v_lshlrev_b64 v[2:3], 2, v[1:2]
	v_add_u32_e32 v1, s1, v1
	v_mov_b32_e32 v4, s2
	v_add_co_u32_e32 v66, vcc, s0, v2
	v_ashrrev_i32_e32 v2, 31, v1
	v_addc_co_u32_e32 v67, vcc, v4, v3, vcc
	v_lshlrev_b64 v[2:3], 2, v[1:2]
	v_add_u32_e32 v1, s1, v1
	v_add_co_u32_e32 v68, vcc, s0, v2
	v_ashrrev_i32_e32 v2, 31, v1
	v_addc_co_u32_e32 v69, vcc, v4, v3, vcc
	v_lshlrev_b64 v[2:3], 2, v[1:2]
	v_add_u32_e32 v1, s1, v1
	;; [unrolled: 5-line block ×26, first 2 shown]
	v_add_co_u32_e32 v118, vcc, s0, v2
	v_ashrrev_i32_e32 v2, 31, v1
	v_lshlrev_b64 v[1:2], 2, v[1:2]
	v_addc_co_u32_e32 v119, vcc, v4, v3, vcc
	v_mov_b32_e32 v3, s2
	v_add_co_u32_e32 v120, vcc, s0, v1
	v_addc_co_u32_e32 v121, vcc, v3, v2, vcc
	v_mov_b32_e32 v1, s2
	v_add_co_u32_e32 v122, vcc, s0, v34
	s_ashr_i32 s3, s1, 31
	s_mov_b32 s2, s1
	v_addc_co_u32_e32 v123, vcc, 0, v1, vcc
	s_lshl_b64 s[0:1], s[2:3], 2
	v_mov_b32_e32 v1, s1
	v_add_co_u32_e32 v124, vcc, s0, v122
	v_addc_co_u32_e32 v125, vcc, v123, v1, vcc
	flat_load_dword v2, v[122:123]
	flat_load_dword v3, v[124:125]
	;; [unrolled: 1-line block ×30, first 2 shown]
	s_cmpk_lg_i32 s65, 0x84
	v_mov_b32_e32 v1, 0
	s_cselect_b64 s[62:63], -1, 0
	s_cmpk_eq_i32 s65, 0x84
	v_cmp_eq_u32_e64 s[0:1], 0, v0
	s_cbranch_scc1 .LBB93_3
; %bb.2:
	v_cmp_eq_u32_e64 s[2:3], 1, v0
	s_waitcnt vmcnt(0) lgkmcnt(0)
	v_cndmask_b32_e64 v32, v2, v3, s[2:3]
	v_cmp_eq_u32_e64 s[4:5], 2, v0
	v_cndmask_b32_e64 v32, v32, v4, s[4:5]
	v_cmp_eq_u32_e64 s[6:7], 3, v0
	;; [unrolled: 2-line block ×28, first 2 shown]
	v_cndmask_b32_e64 v32, v32, v31, s[60:61]
	v_div_scale_f32 v33, s[66:67], v32, v32, 1.0
	v_div_scale_f32 v35, vcc, 1.0, v32, 1.0
	v_rcp_f32_e32 v36, v33
	v_fma_f32 v37, -v33, v36, 1.0
	v_fmac_f32_e32 v36, v37, v36
	v_mul_f32_e32 v37, v35, v36
	v_fma_f32 v38, -v33, v37, v35
	v_fmac_f32_e32 v37, v38, v36
	v_fma_f32 v33, -v33, v37, v35
	v_div_fmas_f32 v33, v33, v36, v37
	v_div_fixup_f32 v32, v33, v32, 1.0
	v_cndmask_b32_e64 v31, v31, v32, s[60:61]
	v_cndmask_b32_e64 v30, v30, v32, s[58:59]
	;; [unrolled: 1-line block ×30, first 2 shown]
	v_xor_b32_e32 v35, 0x80000000, v32
.LBB93_3:
	s_cmpk_eq_i32 s64, 0x79
	v_add_u32_e32 v126, 0x80, v34
	ds_write_b32 v34, v35
	s_cbranch_scc1 .LBB93_7
; %bb.4:
	s_waitcnt vmcnt(0) lgkmcnt(0)
	v_mov_b32_e32 v65, v33
	v_mov_b32_e32 v64, v32
	;; [unrolled: 1-line block ×32, first 2 shown]
	v_cmp_eq_u32_e64 s[0:1], 29, v0
	ds_write_b32 v126, v30
	s_waitcnt lgkmcnt(0)
	; wave barrier
	s_and_saveexec_b64 s[2:3], s[0:1]
	s_cbranch_execz .LBB93_11
; %bb.5:
	s_and_b64 vcc, exec, s[62:63]
	s_cbranch_vccz .LBB93_8
; %bb.6:
	v_cmp_eq_u32_e32 vcc, 1, v0
	v_cndmask_b32_e32 v34, v2, v3, vcc
	v_cmp_eq_u32_e32 vcc, 2, v0
	v_cndmask_b32_e32 v34, v34, v4, vcc
	;; [unrolled: 2-line block ×25, first 2 shown]
	v_cmp_eq_u32_e32 vcc, 26, v0
	ds_read_b32 v35, v126
	v_cndmask_b32_e32 v34, v34, v28, vcc
	v_cmp_eq_u32_e32 vcc, 27, v0
	v_cndmask_b32_e32 v34, v34, v29, vcc
	v_cmp_eq_u32_e32 vcc, 28, v0
	;; [unrolled: 2-line block ×3, first 2 shown]
	v_cndmask_b32_e32 v34, v34, v31, vcc
	s_waitcnt lgkmcnt(0)
	v_mul_f32_e32 v38, v34, v35
	s_cbranch_execz .LBB93_9
	s_branch .LBB93_10
.LBB93_7:
                                        ; implicit-def: $vgpr34_vgpr35_vgpr36_vgpr37_vgpr38_vgpr39_vgpr40_vgpr41_vgpr42_vgpr43_vgpr44_vgpr45_vgpr46_vgpr47_vgpr48_vgpr49_vgpr50_vgpr51_vgpr52_vgpr53_vgpr54_vgpr55_vgpr56_vgpr57_vgpr58_vgpr59_vgpr60_vgpr61_vgpr62_vgpr63_vgpr64_vgpr65
	s_cbranch_execnz .LBB93_450
	s_branch .LBB93_743
.LBB93_8:
                                        ; implicit-def: $vgpr38
.LBB93_9:
	ds_read_b32 v38, v126
.LBB93_10:
	v_mov_b32_e32 v34, 0
	ds_read_b32 v39, v34 offset:112
	v_mov_b32_e32 v34, v2
	v_mov_b32_e32 v35, v3
	;; [unrolled: 1-line block ×4, first 2 shown]
	s_waitcnt lgkmcnt(0)
	v_mul_f32_e32 v62, v38, v39
	v_mov_b32_e32 v38, v6
	v_mov_b32_e32 v39, v7
	;; [unrolled: 1-line block ×25, first 2 shown]
.LBB93_11:
	s_or_b64 exec, exec, s[2:3]
	v_cmp_lt_u32_e64 s[2:3], 27, v0
	ds_write_b32 v126, v61
	s_waitcnt lgkmcnt(0)
	; wave barrier
	s_and_saveexec_b64 s[4:5], s[2:3]
	s_cbranch_execz .LBB93_17
; %bb.12:
	s_andn2_b64 vcc, exec, s[62:63]
	s_cbranch_vccnz .LBB93_14
; %bb.13:
	v_cmp_eq_u32_e32 vcc, 1, v0
	v_cndmask_b32_e32 v64, v34, v35, vcc
	v_cmp_eq_u32_e32 vcc, 2, v0
	v_cndmask_b32_e32 v64, v64, v36, vcc
	;; [unrolled: 2-line block ×27, first 2 shown]
	ds_read_b32 v64, v126
	v_cmp_eq_u32_e32 vcc, 28, v0
	v_cndmask_b32_e32 v61, v61, v62, vcc
	v_cmp_eq_u32_e32 vcc, 29, v0
	v_cndmask_b32_e32 v61, v61, v63, vcc
	s_waitcnt lgkmcnt(0)
	v_mul_f32_e32 v61, v61, v64
	s_cbranch_execz .LBB93_15
	s_branch .LBB93_16
.LBB93_14:
                                        ; implicit-def: $vgpr61
.LBB93_15:
	ds_read_b32 v61, v126
.LBB93_16:
	v_mov_b32_e32 v64, 0
	ds_read2_b32 v[64:65], v64 offset0:27 offset1:60
	s_waitcnt lgkmcnt(0)
	v_fma_f32 v65, v62, v65, v61
	v_cndmask_b32_e64 v61, v61, v65, s[0:1]
	v_mul_f32_e32 v61, v61, v64
.LBB93_17:
	s_or_b64 exec, exec, s[4:5]
	v_cmp_lt_u32_e64 s[0:1], 26, v0
	ds_write_b32 v126, v60
	s_waitcnt lgkmcnt(0)
	; wave barrier
	s_and_saveexec_b64 s[4:5], s[0:1]
	s_cbranch_execz .LBB93_33
; %bb.18:
	s_andn2_b64 vcc, exec, s[62:63]
	s_cbranch_vccnz .LBB93_20
; %bb.19:
	v_cmp_eq_u32_e32 vcc, 1, v0
	v_cndmask_b32_e32 v127, v34, v35, vcc
	v_cmp_eq_u32_e32 vcc, 2, v0
	v_cndmask_b32_e32 v127, v127, v36, vcc
	;; [unrolled: 2-line block ×25, first 2 shown]
	v_cmp_eq_u32_e32 vcc, 26, v0
	ds_read_b32 v128, v126
	v_cndmask_b32_e32 v127, v127, v60, vcc
	v_cmp_eq_u32_e32 vcc, 27, v0
	v_cndmask_b32_e32 v127, v127, v61, vcc
	v_cmp_eq_u32_e32 vcc, 28, v0
	;; [unrolled: 2-line block ×3, first 2 shown]
	v_cndmask_b32_e32 v127, v127, v63, vcc
	s_waitcnt lgkmcnt(0)
	v_mul_f32_e32 v127, v127, v128
	s_cbranch_execz .LBB93_21
	s_branch .LBB93_22
.LBB93_20:
                                        ; implicit-def: $vgpr127
.LBB93_21:
	ds_read_b32 v127, v126
.LBB93_22:
	s_and_saveexec_b64 s[6:7], s[2:3]
	s_cbranch_execz .LBB93_32
; %bb.23:
	v_subrev_u32_e32 v130, 28, v0
	v_mov_b32_e32 v128, 27
	v_subrev_u32_e32 v129, 27, v0
	v_cmp_lt_u32_e32 vcc, 6, v130
	s_and_saveexec_b64 s[2:3], vcc
	s_cbranch_execz .LBB93_27
; %bb.24:
	v_and_b32_e32 v128, -8, v129
	v_sub_u32_e32 v130, 0, v128
	s_mov_b64 s[8:9], 34
	s_movk_i32 s12, 0xec
	s_mov_b64 s[10:11], 0
.LBB93_25:                              ; =>This Inner Loop Header: Depth=1
	s_add_i32 s13, s8, -7
	v_mov_b32_e32 v128, s12
	s_add_i32 s14, s8, -6
	s_set_gpr_idx_on s13, gpr_idx(SRC0)
	v_mov_b32_e32 v137, v34
	s_set_gpr_idx_off
	ds_read2_b32 v[131:132], v128 offset1:1
	s_add_i32 s15, s8, -5
	s_set_gpr_idx_on s14, gpr_idx(SRC0)
	v_mov_b32_e32 v138, v34
	s_set_gpr_idx_off
	s_add_i32 s16, s8, -4
	s_set_gpr_idx_on s15, gpr_idx(SRC0)
	v_mov_b32_e32 v139, v34
	s_set_gpr_idx_off
	ds_read2_b32 v[133:134], v128 offset0:2 offset1:3
	s_add_i32 s17, s8, -3
	s_set_gpr_idx_on s16, gpr_idx(SRC0)
	v_mov_b32_e32 v140, v34
	s_set_gpr_idx_off
	s_add_i32 s18, s8, -2
	s_set_gpr_idx_on s17, gpr_idx(SRC0)
	v_mov_b32_e32 v141, v34
	s_set_gpr_idx_off
	ds_read2_b32 v[135:136], v128 offset0:4 offset1:5
	s_add_i32 s19, s8, -1
	s_waitcnt lgkmcnt(2)
	v_fmac_f32_e32 v127, v137, v131
	s_set_gpr_idx_on s18, gpr_idx(SRC0)
	v_mov_b32_e32 v137, v34
	s_set_gpr_idx_off
	v_fmac_f32_e32 v127, v138, v132
	s_set_gpr_idx_on s19, gpr_idx(SRC0)
	v_mov_b32_e32 v138, v34
	s_set_gpr_idx_off
	ds_read2_b32 v[131:132], v128 offset0:6 offset1:7
	s_waitcnt lgkmcnt(2)
	v_fmac_f32_e32 v127, v139, v133
	s_set_gpr_idx_on s8, gpr_idx(SRC0)
	v_mov_b32_e32 v133, v34
	s_set_gpr_idx_off
	v_fmac_f32_e32 v127, v140, v134
	s_add_u32 s8, s8, 8
	s_waitcnt lgkmcnt(1)
	v_fmac_f32_e32 v127, v141, v135
	v_add_u32_e32 v128, s8, v130
	v_fmac_f32_e32 v127, v137, v136
	s_addc_u32 s9, s9, 0
	s_add_i32 s12, s12, 32
	s_add_i32 s13, s8, -7
	v_cmp_eq_u32_e32 vcc, 34, v128
	s_waitcnt lgkmcnt(0)
	v_fmac_f32_e32 v127, v138, v131
	v_mov_b32_e32 v128, s13
	s_or_b64 s[10:11], vcc, s[10:11]
	v_fmac_f32_e32 v127, v133, v132
	s_andn2_b64 exec, exec, s[10:11]
	s_cbranch_execnz .LBB93_25
; %bb.26:
	s_or_b64 exec, exec, s[10:11]
.LBB93_27:
	s_or_b64 exec, exec, s[2:3]
	v_and_b32_e32 v64, 7, v129
	v_cmp_ne_u32_e32 vcc, 0, v64
	s_and_saveexec_b64 s[8:9], vcc
	s_cbranch_execz .LBB93_31
; %bb.28:
	v_mov_b32_e32 v65, 0x80
	v_lshl_add_u32 v65, v128, 2, v65
	v_mov_b32_e32 v129, 0
	s_mov_b64 s[10:11], 0
.LBB93_29:                              ; =>This Inner Loop Header: Depth=1
	v_cmp_eq_u32_e32 vcc, 1, v128
	v_cndmask_b32_e32 v130, v34, v35, vcc
	v_add_u32_e32 v64, -1, v64
	v_cmp_eq_u32_e32 vcc, 2, v128
	v_cndmask_b32_e32 v130, v130, v36, vcc
	v_cmp_eq_u32_e32 vcc, 0, v64
	v_cmp_eq_u32_e64 s[2:3], 3, v128
	v_cndmask_b32_e64 v130, v130, v37, s[2:3]
	s_or_b64 s[10:11], vcc, s[10:11]
	v_cmp_eq_u32_e32 vcc, 4, v128
	v_cndmask_b32_e32 v130, v130, v38, vcc
	v_cmp_eq_u32_e32 vcc, 5, v128
	v_cndmask_b32_e32 v130, v130, v39, vcc
	v_cmp_eq_u32_e32 vcc, 6, v128
	v_cndmask_b32_e32 v130, v130, v40, vcc
	v_cmp_eq_u32_e32 vcc, 7, v128
	v_cndmask_b32_e32 v130, v130, v41, vcc
	v_cmp_eq_u32_e32 vcc, 8, v128
	v_cndmask_b32_e32 v130, v130, v42, vcc
	v_cmp_eq_u32_e32 vcc, 9, v128
	v_cndmask_b32_e32 v130, v130, v43, vcc
	v_cmp_eq_u32_e32 vcc, 10, v128
	v_cndmask_b32_e32 v130, v130, v44, vcc
	v_cmp_eq_u32_e32 vcc, 11, v128
	v_cndmask_b32_e32 v130, v130, v45, vcc
	v_cmp_eq_u32_e32 vcc, 12, v128
	v_cndmask_b32_e32 v130, v130, v46, vcc
	v_cmp_eq_u32_e32 vcc, 13, v128
	v_cndmask_b32_e32 v130, v130, v47, vcc
	v_cmp_eq_u32_e32 vcc, 14, v128
	v_cndmask_b32_e32 v130, v130, v48, vcc
	v_cmp_eq_u32_e32 vcc, 15, v128
	v_cndmask_b32_e32 v130, v130, v49, vcc
	v_cmp_eq_u32_e32 vcc, 16, v128
	v_cndmask_b32_e32 v130, v130, v50, vcc
	v_cmp_eq_u32_e32 vcc, 17, v128
	v_cndmask_b32_e32 v130, v130, v51, vcc
	v_cmp_eq_u32_e32 vcc, 18, v128
	v_cndmask_b32_e32 v130, v130, v52, vcc
	v_cmp_eq_u32_e32 vcc, 19, v128
	v_cndmask_b32_e32 v130, v130, v53, vcc
	v_cmp_eq_u32_e32 vcc, 20, v128
	v_cndmask_b32_e32 v130, v130, v54, vcc
	v_cmp_eq_u32_e32 vcc, 21, v128
	v_cndmask_b32_e32 v130, v130, v55, vcc
	v_cmp_eq_u32_e32 vcc, 22, v128
	v_cndmask_b32_e32 v130, v130, v56, vcc
	v_cmp_eq_u32_e32 vcc, 23, v128
	v_cndmask_b32_e32 v130, v130, v57, vcc
	v_cmp_eq_u32_e32 vcc, 24, v128
	v_cndmask_b32_e32 v130, v130, v58, vcc
	v_cmp_eq_u32_e32 vcc, 25, v128
	ds_read_b32 v131, v65
	v_cndmask_b32_e32 v130, v130, v59, vcc
	v_cmp_eq_u32_e32 vcc, 26, v128
	v_cndmask_b32_e32 v130, v130, v60, vcc
	v_cmp_eq_u32_e32 vcc, 27, v128
	;; [unrolled: 2-line block ×4, first 2 shown]
	v_add_co_u32_e64 v128, s[2:3], 1, v128
	v_cndmask_b32_e32 v130, v130, v63, vcc
	v_add_u32_e32 v65, 4, v65
	v_addc_co_u32_e64 v129, s[2:3], 0, v129, s[2:3]
	s_waitcnt lgkmcnt(0)
	v_fmac_f32_e32 v127, v130, v131
	s_andn2_b64 exec, exec, s[10:11]
	s_cbranch_execnz .LBB93_29
; %bb.30:
	s_or_b64 exec, exec, s[10:11]
.LBB93_31:
	s_or_b64 exec, exec, s[8:9]
.LBB93_32:
	s_or_b64 exec, exec, s[6:7]
	v_mov_b32_e32 v60, 0
	ds_read_b32 v60, v60 offset:104
	s_waitcnt lgkmcnt(0)
	v_mul_f32_e32 v60, v127, v60
.LBB93_33:
	s_or_b64 exec, exec, s[4:5]
	v_cmp_lt_u32_e64 s[2:3], 25, v0
	ds_write_b32 v126, v59
	s_waitcnt lgkmcnt(0)
	; wave barrier
	s_and_saveexec_b64 s[4:5], s[2:3]
	s_cbranch_execz .LBB93_49
; %bb.34:
	s_andn2_b64 vcc, exec, s[62:63]
	s_cbranch_vccnz .LBB93_36
; %bb.35:
	v_cmp_eq_u32_e32 vcc, 1, v0
	v_cndmask_b32_e32 v127, v34, v35, vcc
	v_cmp_eq_u32_e32 vcc, 2, v0
	v_cndmask_b32_e32 v127, v127, v36, vcc
	;; [unrolled: 2-line block ×25, first 2 shown]
	v_cmp_eq_u32_e32 vcc, 26, v0
	ds_read_b32 v128, v126
	v_cndmask_b32_e32 v127, v127, v60, vcc
	v_cmp_eq_u32_e32 vcc, 27, v0
	v_cndmask_b32_e32 v127, v127, v61, vcc
	v_cmp_eq_u32_e32 vcc, 28, v0
	;; [unrolled: 2-line block ×3, first 2 shown]
	v_cndmask_b32_e32 v127, v127, v63, vcc
	s_waitcnt lgkmcnt(0)
	v_mul_f32_e32 v127, v127, v128
	s_cbranch_execz .LBB93_37
	s_branch .LBB93_38
.LBB93_36:
                                        ; implicit-def: $vgpr127
.LBB93_37:
	ds_read_b32 v127, v126
.LBB93_38:
	s_and_saveexec_b64 s[6:7], s[0:1]
	s_cbranch_execz .LBB93_48
; %bb.39:
	v_subrev_u32_e32 v130, 27, v0
	v_mov_b32_e32 v128, 26
	v_subrev_u32_e32 v129, 26, v0
	v_cmp_lt_u32_e32 vcc, 6, v130
	s_and_saveexec_b64 s[0:1], vcc
	s_cbranch_execz .LBB93_43
; %bb.40:
	v_and_b32_e32 v128, -8, v129
	v_sub_u32_e32 v130, 0, v128
	s_mov_b64 s[8:9], 33
	s_movk_i32 s12, 0xe8
	s_mov_b64 s[10:11], 0
.LBB93_41:                              ; =>This Inner Loop Header: Depth=1
	s_add_i32 s13, s8, -7
	v_mov_b32_e32 v128, s12
	s_add_i32 s14, s8, -6
	s_set_gpr_idx_on s13, gpr_idx(SRC0)
	v_mov_b32_e32 v139, v34
	s_set_gpr_idx_off
	ds_read2_b64 v[131:134], v128 offset1:1
	s_add_i32 s15, s8, -5
	s_set_gpr_idx_on s14, gpr_idx(SRC0)
	v_mov_b32_e32 v140, v34
	s_set_gpr_idx_off
	s_add_i32 s16, s8, -4
	s_set_gpr_idx_on s15, gpr_idx(SRC0)
	v_mov_b32_e32 v141, v34
	s_set_gpr_idx_off
	;; [unrolled: 4-line block ×4, first 2 shown]
	ds_read2_b64 v[135:138], v128 offset0:2 offset1:3
	s_add_i32 s19, s8, -1
	s_waitcnt lgkmcnt(1)
	v_fmac_f32_e32 v127, v139, v131
	s_set_gpr_idx_on s18, gpr_idx(SRC0)
	v_mov_b32_e32 v131, v34
	s_set_gpr_idx_off
	v_fmac_f32_e32 v127, v140, v132
	s_set_gpr_idx_on s19, gpr_idx(SRC0)
	v_mov_b32_e32 v132, v34
	s_set_gpr_idx_off
	v_fmac_f32_e32 v127, v141, v133
	s_set_gpr_idx_on s8, gpr_idx(SRC0)
	v_mov_b32_e32 v133, v34
	s_set_gpr_idx_off
	v_fmac_f32_e32 v127, v142, v134
	s_add_u32 s8, s8, 8
	s_waitcnt lgkmcnt(0)
	v_fmac_f32_e32 v127, v143, v135
	v_add_u32_e32 v128, s8, v130
	v_fmac_f32_e32 v127, v131, v136
	s_addc_u32 s9, s9, 0
	s_add_i32 s12, s12, 32
	s_add_i32 s13, s8, -7
	v_cmp_eq_u32_e32 vcc, 33, v128
	v_fmac_f32_e32 v127, v132, v137
	v_mov_b32_e32 v128, s13
	s_or_b64 s[10:11], vcc, s[10:11]
	v_fmac_f32_e32 v127, v133, v138
	s_andn2_b64 exec, exec, s[10:11]
	s_cbranch_execnz .LBB93_41
; %bb.42:
	s_or_b64 exec, exec, s[10:11]
.LBB93_43:
	s_or_b64 exec, exec, s[0:1]
	v_and_b32_e32 v64, 7, v129
	v_cmp_ne_u32_e32 vcc, 0, v64
	s_and_saveexec_b64 s[8:9], vcc
	s_cbranch_execz .LBB93_47
; %bb.44:
	v_mov_b32_e32 v65, 0x80
	v_lshl_add_u32 v65, v128, 2, v65
	v_mov_b32_e32 v129, 0
	s_mov_b64 s[10:11], 0
.LBB93_45:                              ; =>This Inner Loop Header: Depth=1
	v_cmp_eq_u32_e32 vcc, 1, v128
	v_cndmask_b32_e32 v130, v34, v35, vcc
	v_add_u32_e32 v64, -1, v64
	v_cmp_eq_u32_e32 vcc, 2, v128
	v_cndmask_b32_e32 v130, v130, v36, vcc
	v_cmp_eq_u32_e32 vcc, 0, v64
	v_cmp_eq_u32_e64 s[0:1], 3, v128
	v_cndmask_b32_e64 v130, v130, v37, s[0:1]
	s_or_b64 s[10:11], vcc, s[10:11]
	v_cmp_eq_u32_e32 vcc, 4, v128
	v_cndmask_b32_e32 v130, v130, v38, vcc
	v_cmp_eq_u32_e32 vcc, 5, v128
	v_cndmask_b32_e32 v130, v130, v39, vcc
	;; [unrolled: 2-line block ×21, first 2 shown]
	v_cmp_eq_u32_e32 vcc, 25, v128
	ds_read_b32 v131, v65
	v_cndmask_b32_e32 v130, v130, v59, vcc
	v_cmp_eq_u32_e32 vcc, 26, v128
	v_cndmask_b32_e32 v130, v130, v60, vcc
	v_cmp_eq_u32_e32 vcc, 27, v128
	;; [unrolled: 2-line block ×4, first 2 shown]
	v_add_co_u32_e64 v128, s[0:1], 1, v128
	v_cndmask_b32_e32 v130, v130, v63, vcc
	v_add_u32_e32 v65, 4, v65
	v_addc_co_u32_e64 v129, s[0:1], 0, v129, s[0:1]
	s_waitcnt lgkmcnt(0)
	v_fmac_f32_e32 v127, v130, v131
	s_andn2_b64 exec, exec, s[10:11]
	s_cbranch_execnz .LBB93_45
; %bb.46:
	s_or_b64 exec, exec, s[10:11]
.LBB93_47:
	s_or_b64 exec, exec, s[8:9]
.LBB93_48:
	s_or_b64 exec, exec, s[6:7]
	v_mov_b32_e32 v59, 0
	ds_read_b32 v59, v59 offset:100
	s_waitcnt lgkmcnt(0)
	v_mul_f32_e32 v59, v127, v59
.LBB93_49:
	s_or_b64 exec, exec, s[4:5]
	v_cmp_lt_u32_e64 s[0:1], 24, v0
	ds_write_b32 v126, v58
	s_waitcnt lgkmcnt(0)
	; wave barrier
	s_and_saveexec_b64 s[4:5], s[0:1]
	s_cbranch_execz .LBB93_65
; %bb.50:
	s_andn2_b64 vcc, exec, s[62:63]
	s_cbranch_vccnz .LBB93_52
; %bb.51:
	v_cmp_eq_u32_e32 vcc, 1, v0
	v_cndmask_b32_e32 v127, v34, v35, vcc
	v_cmp_eq_u32_e32 vcc, 2, v0
	v_cndmask_b32_e32 v127, v127, v36, vcc
	;; [unrolled: 2-line block ×25, first 2 shown]
	v_cmp_eq_u32_e32 vcc, 26, v0
	ds_read_b32 v128, v126
	v_cndmask_b32_e32 v127, v127, v60, vcc
	v_cmp_eq_u32_e32 vcc, 27, v0
	v_cndmask_b32_e32 v127, v127, v61, vcc
	v_cmp_eq_u32_e32 vcc, 28, v0
	;; [unrolled: 2-line block ×3, first 2 shown]
	v_cndmask_b32_e32 v127, v127, v63, vcc
	s_waitcnt lgkmcnt(0)
	v_mul_f32_e32 v127, v127, v128
	s_cbranch_execz .LBB93_53
	s_branch .LBB93_54
.LBB93_52:
                                        ; implicit-def: $vgpr127
.LBB93_53:
	ds_read_b32 v127, v126
.LBB93_54:
	s_and_saveexec_b64 s[6:7], s[2:3]
	s_cbranch_execz .LBB93_64
; %bb.55:
	v_subrev_u32_e32 v130, 26, v0
	v_mov_b32_e32 v128, 25
	v_subrev_u32_e32 v129, 25, v0
	v_cmp_lt_u32_e32 vcc, 6, v130
	s_and_saveexec_b64 s[2:3], vcc
	s_cbranch_execz .LBB93_59
; %bb.56:
	v_and_b32_e32 v128, -8, v129
	v_sub_u32_e32 v130, 0, v128
	s_mov_b64 s[8:9], 32
	s_movk_i32 s12, 0xe4
	s_mov_b64 s[10:11], 0
.LBB93_57:                              ; =>This Inner Loop Header: Depth=1
	s_add_i32 s13, s8, -7
	v_mov_b32_e32 v128, s12
	s_add_i32 s14, s8, -6
	s_set_gpr_idx_on s13, gpr_idx(SRC0)
	v_mov_b32_e32 v137, v34
	s_set_gpr_idx_off
	ds_read2_b32 v[131:132], v128 offset1:1
	s_add_i32 s15, s8, -5
	s_set_gpr_idx_on s14, gpr_idx(SRC0)
	v_mov_b32_e32 v138, v34
	s_set_gpr_idx_off
	s_add_i32 s16, s8, -4
	s_set_gpr_idx_on s15, gpr_idx(SRC0)
	v_mov_b32_e32 v139, v34
	s_set_gpr_idx_off
	ds_read2_b32 v[133:134], v128 offset0:2 offset1:3
	s_add_i32 s17, s8, -3
	s_set_gpr_idx_on s16, gpr_idx(SRC0)
	v_mov_b32_e32 v140, v34
	s_set_gpr_idx_off
	s_add_i32 s18, s8, -2
	s_set_gpr_idx_on s17, gpr_idx(SRC0)
	v_mov_b32_e32 v141, v34
	s_set_gpr_idx_off
	ds_read2_b32 v[135:136], v128 offset0:4 offset1:5
	s_add_i32 s19, s8, -1
	s_waitcnt lgkmcnt(2)
	v_fmac_f32_e32 v127, v137, v131
	s_set_gpr_idx_on s18, gpr_idx(SRC0)
	v_mov_b32_e32 v137, v34
	s_set_gpr_idx_off
	v_fmac_f32_e32 v127, v138, v132
	s_set_gpr_idx_on s19, gpr_idx(SRC0)
	v_mov_b32_e32 v138, v34
	s_set_gpr_idx_off
	ds_read2_b32 v[131:132], v128 offset0:6 offset1:7
	s_waitcnt lgkmcnt(2)
	v_fmac_f32_e32 v127, v139, v133
	s_set_gpr_idx_on s8, gpr_idx(SRC0)
	v_mov_b32_e32 v133, v34
	s_set_gpr_idx_off
	v_fmac_f32_e32 v127, v140, v134
	s_add_u32 s8, s8, 8
	s_waitcnt lgkmcnt(1)
	v_fmac_f32_e32 v127, v141, v135
	v_add_u32_e32 v128, s8, v130
	v_fmac_f32_e32 v127, v137, v136
	s_addc_u32 s9, s9, 0
	s_add_i32 s12, s12, 32
	s_add_i32 s13, s8, -7
	v_cmp_eq_u32_e32 vcc, 32, v128
	s_waitcnt lgkmcnt(0)
	v_fmac_f32_e32 v127, v138, v131
	v_mov_b32_e32 v128, s13
	s_or_b64 s[10:11], vcc, s[10:11]
	v_fmac_f32_e32 v127, v133, v132
	s_andn2_b64 exec, exec, s[10:11]
	s_cbranch_execnz .LBB93_57
; %bb.58:
	s_or_b64 exec, exec, s[10:11]
.LBB93_59:
	s_or_b64 exec, exec, s[2:3]
	v_and_b32_e32 v64, 7, v129
	v_cmp_ne_u32_e32 vcc, 0, v64
	s_and_saveexec_b64 s[8:9], vcc
	s_cbranch_execz .LBB93_63
; %bb.60:
	v_mov_b32_e32 v65, 0x80
	v_lshl_add_u32 v65, v128, 2, v65
	v_mov_b32_e32 v129, 0
	s_mov_b64 s[10:11], 0
.LBB93_61:                              ; =>This Inner Loop Header: Depth=1
	v_cmp_eq_u32_e32 vcc, 1, v128
	v_cndmask_b32_e32 v130, v34, v35, vcc
	v_add_u32_e32 v64, -1, v64
	v_cmp_eq_u32_e32 vcc, 2, v128
	v_cndmask_b32_e32 v130, v130, v36, vcc
	v_cmp_eq_u32_e32 vcc, 0, v64
	v_cmp_eq_u32_e64 s[2:3], 3, v128
	v_cndmask_b32_e64 v130, v130, v37, s[2:3]
	s_or_b64 s[10:11], vcc, s[10:11]
	v_cmp_eq_u32_e32 vcc, 4, v128
	v_cndmask_b32_e32 v130, v130, v38, vcc
	v_cmp_eq_u32_e32 vcc, 5, v128
	v_cndmask_b32_e32 v130, v130, v39, vcc
	;; [unrolled: 2-line block ×21, first 2 shown]
	v_cmp_eq_u32_e32 vcc, 25, v128
	ds_read_b32 v131, v65
	v_cndmask_b32_e32 v130, v130, v59, vcc
	v_cmp_eq_u32_e32 vcc, 26, v128
	v_cndmask_b32_e32 v130, v130, v60, vcc
	v_cmp_eq_u32_e32 vcc, 27, v128
	;; [unrolled: 2-line block ×4, first 2 shown]
	v_add_co_u32_e64 v128, s[2:3], 1, v128
	v_cndmask_b32_e32 v130, v130, v63, vcc
	v_add_u32_e32 v65, 4, v65
	v_addc_co_u32_e64 v129, s[2:3], 0, v129, s[2:3]
	s_waitcnt lgkmcnt(0)
	v_fmac_f32_e32 v127, v130, v131
	s_andn2_b64 exec, exec, s[10:11]
	s_cbranch_execnz .LBB93_61
; %bb.62:
	s_or_b64 exec, exec, s[10:11]
.LBB93_63:
	s_or_b64 exec, exec, s[8:9]
.LBB93_64:
	s_or_b64 exec, exec, s[6:7]
	v_mov_b32_e32 v58, 0
	ds_read_b32 v58, v58 offset:96
	s_waitcnt lgkmcnt(0)
	v_mul_f32_e32 v58, v127, v58
.LBB93_65:
	s_or_b64 exec, exec, s[4:5]
	v_cmp_lt_u32_e64 s[2:3], 23, v0
	ds_write_b32 v126, v57
	s_waitcnt lgkmcnt(0)
	; wave barrier
	s_and_saveexec_b64 s[4:5], s[2:3]
	s_cbranch_execz .LBB93_81
; %bb.66:
	s_andn2_b64 vcc, exec, s[62:63]
	s_cbranch_vccnz .LBB93_68
; %bb.67:
	v_cmp_eq_u32_e32 vcc, 1, v0
	v_cndmask_b32_e32 v127, v34, v35, vcc
	v_cmp_eq_u32_e32 vcc, 2, v0
	v_cndmask_b32_e32 v127, v127, v36, vcc
	;; [unrolled: 2-line block ×25, first 2 shown]
	v_cmp_eq_u32_e32 vcc, 26, v0
	ds_read_b32 v128, v126
	v_cndmask_b32_e32 v127, v127, v60, vcc
	v_cmp_eq_u32_e32 vcc, 27, v0
	v_cndmask_b32_e32 v127, v127, v61, vcc
	v_cmp_eq_u32_e32 vcc, 28, v0
	;; [unrolled: 2-line block ×3, first 2 shown]
	v_cndmask_b32_e32 v127, v127, v63, vcc
	s_waitcnt lgkmcnt(0)
	v_mul_f32_e32 v127, v127, v128
	s_cbranch_execz .LBB93_69
	s_branch .LBB93_70
.LBB93_68:
                                        ; implicit-def: $vgpr127
.LBB93_69:
	ds_read_b32 v127, v126
.LBB93_70:
	s_and_saveexec_b64 s[6:7], s[0:1]
	s_cbranch_execz .LBB93_80
; %bb.71:
	v_subrev_u32_e32 v128, 25, v0
	v_cmp_lt_u32_e32 vcc, 6, v128
	v_mov_b32_e32 v128, 24
	s_and_saveexec_b64 s[0:1], vcc
	s_cbranch_execz .LBB93_75
; %bb.72:
	v_and_b32_e32 v128, 24, v0
	v_sub_u32_e32 v129, 0, v128
	s_mov_b64 s[8:9], 31
	s_movk_i32 s12, 0xe0
	s_mov_b64 s[10:11], 0
.LBB93_73:                              ; =>This Inner Loop Header: Depth=1
	s_add_i32 s13, s8, -7
	v_mov_b32_e32 v128, s12
	s_add_i32 s14, s8, -6
	s_set_gpr_idx_on s13, gpr_idx(SRC0)
	v_mov_b32_e32 v138, v34
	s_set_gpr_idx_off
	s_add_i32 s15, s8, -5
	ds_read_b128 v[130:133], v128
	ds_read_b128 v[134:137], v128 offset:16
	s_set_gpr_idx_on s14, gpr_idx(SRC0)
	v_mov_b32_e32 v128, v34
	s_set_gpr_idx_off
	s_add_i32 s16, s8, -4
	s_set_gpr_idx_on s15, gpr_idx(SRC0)
	v_mov_b32_e32 v139, v34
	s_set_gpr_idx_off
	s_add_i32 s17, s8, -3
	;; [unrolled: 4-line block ×4, first 2 shown]
	s_waitcnt lgkmcnt(1)
	v_fmac_f32_e32 v127, v138, v130
	s_set_gpr_idx_on s18, gpr_idx(SRC0)
	v_mov_b32_e32 v130, v34
	s_set_gpr_idx_off
	v_fmac_f32_e32 v127, v128, v131
	s_set_gpr_idx_on s19, gpr_idx(SRC0)
	v_mov_b32_e32 v131, v34
	s_set_gpr_idx_off
	;; [unrolled: 4-line block ×3, first 2 shown]
	v_fmac_f32_e32 v127, v140, v133
	s_add_u32 s8, s8, 8
	s_waitcnt lgkmcnt(0)
	v_fmac_f32_e32 v127, v141, v134
	v_add_u32_e32 v128, s8, v129
	v_fmac_f32_e32 v127, v130, v135
	s_addc_u32 s9, s9, 0
	s_add_i32 s12, s12, 32
	s_add_i32 s13, s8, -7
	v_cmp_eq_u32_e32 vcc, 7, v128
	v_fmac_f32_e32 v127, v131, v136
	v_mov_b32_e32 v128, s13
	s_or_b64 s[10:11], vcc, s[10:11]
	v_fmac_f32_e32 v127, v132, v137
	s_andn2_b64 exec, exec, s[10:11]
	s_cbranch_execnz .LBB93_73
; %bb.74:
	s_or_b64 exec, exec, s[10:11]
.LBB93_75:
	s_or_b64 exec, exec, s[0:1]
	v_and_b32_e32 v64, 7, v0
	v_cmp_ne_u32_e32 vcc, 0, v64
	s_and_saveexec_b64 s[8:9], vcc
	s_cbranch_execz .LBB93_79
; %bb.76:
	v_mov_b32_e32 v65, 0x80
	v_lshl_add_u32 v65, v128, 2, v65
	v_mov_b32_e32 v129, 0
	s_mov_b64 s[10:11], 0
.LBB93_77:                              ; =>This Inner Loop Header: Depth=1
	v_cmp_eq_u32_e32 vcc, 1, v128
	v_cndmask_b32_e32 v130, v34, v35, vcc
	v_add_u32_e32 v64, -1, v64
	v_cmp_eq_u32_e32 vcc, 2, v128
	v_cndmask_b32_e32 v130, v130, v36, vcc
	v_cmp_eq_u32_e32 vcc, 0, v64
	v_cmp_eq_u32_e64 s[0:1], 3, v128
	v_cndmask_b32_e64 v130, v130, v37, s[0:1]
	s_or_b64 s[10:11], vcc, s[10:11]
	v_cmp_eq_u32_e32 vcc, 4, v128
	v_cndmask_b32_e32 v130, v130, v38, vcc
	v_cmp_eq_u32_e32 vcc, 5, v128
	v_cndmask_b32_e32 v130, v130, v39, vcc
	;; [unrolled: 2-line block ×21, first 2 shown]
	v_cmp_eq_u32_e32 vcc, 25, v128
	ds_read_b32 v131, v65
	v_cndmask_b32_e32 v130, v130, v59, vcc
	v_cmp_eq_u32_e32 vcc, 26, v128
	v_cndmask_b32_e32 v130, v130, v60, vcc
	v_cmp_eq_u32_e32 vcc, 27, v128
	;; [unrolled: 2-line block ×4, first 2 shown]
	v_add_co_u32_e64 v128, s[0:1], 1, v128
	v_cndmask_b32_e32 v130, v130, v63, vcc
	v_add_u32_e32 v65, 4, v65
	v_addc_co_u32_e64 v129, s[0:1], 0, v129, s[0:1]
	s_waitcnt lgkmcnt(0)
	v_fmac_f32_e32 v127, v130, v131
	s_andn2_b64 exec, exec, s[10:11]
	s_cbranch_execnz .LBB93_77
; %bb.78:
	s_or_b64 exec, exec, s[10:11]
.LBB93_79:
	s_or_b64 exec, exec, s[8:9]
.LBB93_80:
	s_or_b64 exec, exec, s[6:7]
	v_mov_b32_e32 v57, 0
	ds_read_b32 v57, v57 offset:92
	s_waitcnt lgkmcnt(0)
	v_mul_f32_e32 v57, v127, v57
.LBB93_81:
	s_or_b64 exec, exec, s[4:5]
	v_cmp_lt_u32_e64 s[0:1], 22, v0
	ds_write_b32 v126, v56
	s_waitcnt lgkmcnt(0)
	; wave barrier
	s_and_saveexec_b64 s[4:5], s[0:1]
	s_cbranch_execz .LBB93_97
; %bb.82:
	s_andn2_b64 vcc, exec, s[62:63]
	s_cbranch_vccnz .LBB93_84
; %bb.83:
	v_cmp_eq_u32_e32 vcc, 1, v0
	v_cndmask_b32_e32 v127, v34, v35, vcc
	v_cmp_eq_u32_e32 vcc, 2, v0
	v_cndmask_b32_e32 v127, v127, v36, vcc
	;; [unrolled: 2-line block ×25, first 2 shown]
	v_cmp_eq_u32_e32 vcc, 26, v0
	ds_read_b32 v128, v126
	v_cndmask_b32_e32 v127, v127, v60, vcc
	v_cmp_eq_u32_e32 vcc, 27, v0
	v_cndmask_b32_e32 v127, v127, v61, vcc
	v_cmp_eq_u32_e32 vcc, 28, v0
	;; [unrolled: 2-line block ×3, first 2 shown]
	v_cndmask_b32_e32 v127, v127, v63, vcc
	s_waitcnt lgkmcnt(0)
	v_mul_f32_e32 v127, v127, v128
	s_cbranch_execz .LBB93_85
	s_branch .LBB93_86
.LBB93_84:
                                        ; implicit-def: $vgpr127
.LBB93_85:
	ds_read_b32 v127, v126
.LBB93_86:
	s_and_saveexec_b64 s[6:7], s[2:3]
	s_cbranch_execz .LBB93_96
; %bb.87:
	v_subrev_u32_e32 v130, 24, v0
	v_mov_b32_e32 v128, 23
	v_subrev_u32_e32 v129, 23, v0
	v_cmp_lt_u32_e32 vcc, 6, v130
	s_and_saveexec_b64 s[2:3], vcc
	s_cbranch_execz .LBB93_91
; %bb.88:
	v_and_b32_e32 v128, -8, v129
	v_sub_u32_e32 v130, 0, v128
	s_mov_b64 s[8:9], 30
	s_movk_i32 s12, 0xdc
	s_mov_b64 s[10:11], 0
.LBB93_89:                              ; =>This Inner Loop Header: Depth=1
	s_add_i32 s13, s8, -7
	v_mov_b32_e32 v128, s12
	s_add_i32 s14, s8, -6
	s_set_gpr_idx_on s13, gpr_idx(SRC0)
	v_mov_b32_e32 v137, v34
	s_set_gpr_idx_off
	ds_read2_b32 v[131:132], v128 offset1:1
	s_add_i32 s15, s8, -5
	s_set_gpr_idx_on s14, gpr_idx(SRC0)
	v_mov_b32_e32 v138, v34
	s_set_gpr_idx_off
	s_add_i32 s16, s8, -4
	s_set_gpr_idx_on s15, gpr_idx(SRC0)
	v_mov_b32_e32 v139, v34
	s_set_gpr_idx_off
	ds_read2_b32 v[133:134], v128 offset0:2 offset1:3
	s_add_i32 s17, s8, -3
	s_set_gpr_idx_on s16, gpr_idx(SRC0)
	v_mov_b32_e32 v140, v34
	s_set_gpr_idx_off
	s_add_i32 s18, s8, -2
	s_set_gpr_idx_on s17, gpr_idx(SRC0)
	v_mov_b32_e32 v141, v34
	s_set_gpr_idx_off
	ds_read2_b32 v[135:136], v128 offset0:4 offset1:5
	s_add_i32 s19, s8, -1
	s_waitcnt lgkmcnt(2)
	v_fmac_f32_e32 v127, v137, v131
	s_set_gpr_idx_on s18, gpr_idx(SRC0)
	v_mov_b32_e32 v137, v34
	s_set_gpr_idx_off
	v_fmac_f32_e32 v127, v138, v132
	s_set_gpr_idx_on s19, gpr_idx(SRC0)
	v_mov_b32_e32 v138, v34
	s_set_gpr_idx_off
	ds_read2_b32 v[131:132], v128 offset0:6 offset1:7
	s_waitcnt lgkmcnt(2)
	v_fmac_f32_e32 v127, v139, v133
	s_set_gpr_idx_on s8, gpr_idx(SRC0)
	v_mov_b32_e32 v133, v34
	s_set_gpr_idx_off
	v_fmac_f32_e32 v127, v140, v134
	s_add_u32 s8, s8, 8
	s_waitcnt lgkmcnt(1)
	v_fmac_f32_e32 v127, v141, v135
	v_add_u32_e32 v128, s8, v130
	v_fmac_f32_e32 v127, v137, v136
	s_addc_u32 s9, s9, 0
	s_add_i32 s12, s12, 32
	s_add_i32 s13, s8, -7
	v_cmp_eq_u32_e32 vcc, 30, v128
	s_waitcnt lgkmcnt(0)
	v_fmac_f32_e32 v127, v138, v131
	v_mov_b32_e32 v128, s13
	s_or_b64 s[10:11], vcc, s[10:11]
	v_fmac_f32_e32 v127, v133, v132
	s_andn2_b64 exec, exec, s[10:11]
	s_cbranch_execnz .LBB93_89
; %bb.90:
	s_or_b64 exec, exec, s[10:11]
.LBB93_91:
	s_or_b64 exec, exec, s[2:3]
	v_and_b32_e32 v64, 7, v129
	v_cmp_ne_u32_e32 vcc, 0, v64
	s_and_saveexec_b64 s[8:9], vcc
	s_cbranch_execz .LBB93_95
; %bb.92:
	v_mov_b32_e32 v65, 0x80
	v_lshl_add_u32 v65, v128, 2, v65
	v_mov_b32_e32 v129, 0
	s_mov_b64 s[10:11], 0
.LBB93_93:                              ; =>This Inner Loop Header: Depth=1
	v_cmp_eq_u32_e32 vcc, 1, v128
	v_cndmask_b32_e32 v130, v34, v35, vcc
	v_add_u32_e32 v64, -1, v64
	v_cmp_eq_u32_e32 vcc, 2, v128
	v_cndmask_b32_e32 v130, v130, v36, vcc
	v_cmp_eq_u32_e32 vcc, 0, v64
	v_cmp_eq_u32_e64 s[2:3], 3, v128
	v_cndmask_b32_e64 v130, v130, v37, s[2:3]
	s_or_b64 s[10:11], vcc, s[10:11]
	v_cmp_eq_u32_e32 vcc, 4, v128
	v_cndmask_b32_e32 v130, v130, v38, vcc
	v_cmp_eq_u32_e32 vcc, 5, v128
	v_cndmask_b32_e32 v130, v130, v39, vcc
	;; [unrolled: 2-line block ×21, first 2 shown]
	v_cmp_eq_u32_e32 vcc, 25, v128
	ds_read_b32 v131, v65
	v_cndmask_b32_e32 v130, v130, v59, vcc
	v_cmp_eq_u32_e32 vcc, 26, v128
	v_cndmask_b32_e32 v130, v130, v60, vcc
	v_cmp_eq_u32_e32 vcc, 27, v128
	;; [unrolled: 2-line block ×4, first 2 shown]
	v_add_co_u32_e64 v128, s[2:3], 1, v128
	v_cndmask_b32_e32 v130, v130, v63, vcc
	v_add_u32_e32 v65, 4, v65
	v_addc_co_u32_e64 v129, s[2:3], 0, v129, s[2:3]
	s_waitcnt lgkmcnt(0)
	v_fmac_f32_e32 v127, v130, v131
	s_andn2_b64 exec, exec, s[10:11]
	s_cbranch_execnz .LBB93_93
; %bb.94:
	s_or_b64 exec, exec, s[10:11]
.LBB93_95:
	s_or_b64 exec, exec, s[8:9]
.LBB93_96:
	s_or_b64 exec, exec, s[6:7]
	v_mov_b32_e32 v56, 0
	ds_read_b32 v56, v56 offset:88
	s_waitcnt lgkmcnt(0)
	v_mul_f32_e32 v56, v127, v56
.LBB93_97:
	s_or_b64 exec, exec, s[4:5]
	v_cmp_lt_u32_e64 s[2:3], 21, v0
	ds_write_b32 v126, v55
	s_waitcnt lgkmcnt(0)
	; wave barrier
	s_and_saveexec_b64 s[4:5], s[2:3]
	s_cbranch_execz .LBB93_113
; %bb.98:
	s_andn2_b64 vcc, exec, s[62:63]
	s_cbranch_vccnz .LBB93_100
; %bb.99:
	v_cmp_eq_u32_e32 vcc, 1, v0
	v_cndmask_b32_e32 v127, v34, v35, vcc
	v_cmp_eq_u32_e32 vcc, 2, v0
	v_cndmask_b32_e32 v127, v127, v36, vcc
	;; [unrolled: 2-line block ×25, first 2 shown]
	v_cmp_eq_u32_e32 vcc, 26, v0
	ds_read_b32 v128, v126
	v_cndmask_b32_e32 v127, v127, v60, vcc
	v_cmp_eq_u32_e32 vcc, 27, v0
	v_cndmask_b32_e32 v127, v127, v61, vcc
	v_cmp_eq_u32_e32 vcc, 28, v0
	;; [unrolled: 2-line block ×3, first 2 shown]
	v_cndmask_b32_e32 v127, v127, v63, vcc
	s_waitcnt lgkmcnt(0)
	v_mul_f32_e32 v127, v127, v128
	s_cbranch_execz .LBB93_101
	s_branch .LBB93_102
.LBB93_100:
                                        ; implicit-def: $vgpr127
.LBB93_101:
	ds_read_b32 v127, v126
.LBB93_102:
	s_and_saveexec_b64 s[6:7], s[0:1]
	s_cbranch_execz .LBB93_112
; %bb.103:
	v_subrev_u32_e32 v130, 23, v0
	v_mov_b32_e32 v128, 22
	v_subrev_u32_e32 v129, 22, v0
	v_cmp_lt_u32_e32 vcc, 6, v130
	s_and_saveexec_b64 s[0:1], vcc
	s_cbranch_execz .LBB93_107
; %bb.104:
	v_and_b32_e32 v128, -8, v129
	v_sub_u32_e32 v130, 0, v128
	s_mov_b64 s[8:9], 29
	s_movk_i32 s12, 0xd8
	s_mov_b64 s[10:11], 0
.LBB93_105:                             ; =>This Inner Loop Header: Depth=1
	s_add_i32 s13, s8, -7
	v_mov_b32_e32 v128, s12
	s_add_i32 s14, s8, -6
	s_set_gpr_idx_on s13, gpr_idx(SRC0)
	v_mov_b32_e32 v139, v34
	s_set_gpr_idx_off
	ds_read2_b64 v[131:134], v128 offset1:1
	s_add_i32 s15, s8, -5
	s_set_gpr_idx_on s14, gpr_idx(SRC0)
	v_mov_b32_e32 v140, v34
	s_set_gpr_idx_off
	s_add_i32 s16, s8, -4
	s_set_gpr_idx_on s15, gpr_idx(SRC0)
	v_mov_b32_e32 v141, v34
	s_set_gpr_idx_off
	;; [unrolled: 4-line block ×4, first 2 shown]
	ds_read2_b64 v[135:138], v128 offset0:2 offset1:3
	s_add_i32 s19, s8, -1
	s_waitcnt lgkmcnt(1)
	v_fmac_f32_e32 v127, v139, v131
	s_set_gpr_idx_on s18, gpr_idx(SRC0)
	v_mov_b32_e32 v131, v34
	s_set_gpr_idx_off
	v_fmac_f32_e32 v127, v140, v132
	s_set_gpr_idx_on s19, gpr_idx(SRC0)
	v_mov_b32_e32 v132, v34
	s_set_gpr_idx_off
	;; [unrolled: 4-line block ×3, first 2 shown]
	v_fmac_f32_e32 v127, v142, v134
	s_add_u32 s8, s8, 8
	s_waitcnt lgkmcnt(0)
	v_fmac_f32_e32 v127, v143, v135
	v_add_u32_e32 v128, s8, v130
	v_fmac_f32_e32 v127, v131, v136
	s_addc_u32 s9, s9, 0
	s_add_i32 s12, s12, 32
	s_add_i32 s13, s8, -7
	v_cmp_eq_u32_e32 vcc, 29, v128
	v_fmac_f32_e32 v127, v132, v137
	v_mov_b32_e32 v128, s13
	s_or_b64 s[10:11], vcc, s[10:11]
	v_fmac_f32_e32 v127, v133, v138
	s_andn2_b64 exec, exec, s[10:11]
	s_cbranch_execnz .LBB93_105
; %bb.106:
	s_or_b64 exec, exec, s[10:11]
.LBB93_107:
	s_or_b64 exec, exec, s[0:1]
	v_and_b32_e32 v64, 7, v129
	v_cmp_ne_u32_e32 vcc, 0, v64
	s_and_saveexec_b64 s[8:9], vcc
	s_cbranch_execz .LBB93_111
; %bb.108:
	v_mov_b32_e32 v65, 0x80
	v_lshl_add_u32 v65, v128, 2, v65
	v_mov_b32_e32 v129, 0
	s_mov_b64 s[10:11], 0
.LBB93_109:                             ; =>This Inner Loop Header: Depth=1
	v_cmp_eq_u32_e32 vcc, 1, v128
	v_cndmask_b32_e32 v130, v34, v35, vcc
	v_add_u32_e32 v64, -1, v64
	v_cmp_eq_u32_e32 vcc, 2, v128
	v_cndmask_b32_e32 v130, v130, v36, vcc
	v_cmp_eq_u32_e32 vcc, 0, v64
	v_cmp_eq_u32_e64 s[0:1], 3, v128
	v_cndmask_b32_e64 v130, v130, v37, s[0:1]
	s_or_b64 s[10:11], vcc, s[10:11]
	v_cmp_eq_u32_e32 vcc, 4, v128
	v_cndmask_b32_e32 v130, v130, v38, vcc
	v_cmp_eq_u32_e32 vcc, 5, v128
	v_cndmask_b32_e32 v130, v130, v39, vcc
	;; [unrolled: 2-line block ×21, first 2 shown]
	v_cmp_eq_u32_e32 vcc, 25, v128
	ds_read_b32 v131, v65
	v_cndmask_b32_e32 v130, v130, v59, vcc
	v_cmp_eq_u32_e32 vcc, 26, v128
	v_cndmask_b32_e32 v130, v130, v60, vcc
	v_cmp_eq_u32_e32 vcc, 27, v128
	;; [unrolled: 2-line block ×4, first 2 shown]
	v_add_co_u32_e64 v128, s[0:1], 1, v128
	v_cndmask_b32_e32 v130, v130, v63, vcc
	v_add_u32_e32 v65, 4, v65
	v_addc_co_u32_e64 v129, s[0:1], 0, v129, s[0:1]
	s_waitcnt lgkmcnt(0)
	v_fmac_f32_e32 v127, v130, v131
	s_andn2_b64 exec, exec, s[10:11]
	s_cbranch_execnz .LBB93_109
; %bb.110:
	s_or_b64 exec, exec, s[10:11]
.LBB93_111:
	s_or_b64 exec, exec, s[8:9]
.LBB93_112:
	s_or_b64 exec, exec, s[6:7]
	v_mov_b32_e32 v55, 0
	ds_read_b32 v55, v55 offset:84
	s_waitcnt lgkmcnt(0)
	v_mul_f32_e32 v55, v127, v55
.LBB93_113:
	s_or_b64 exec, exec, s[4:5]
	v_cmp_lt_u32_e64 s[0:1], 20, v0
	ds_write_b32 v126, v54
	s_waitcnt lgkmcnt(0)
	; wave barrier
	s_and_saveexec_b64 s[4:5], s[0:1]
	s_cbranch_execz .LBB93_129
; %bb.114:
	s_andn2_b64 vcc, exec, s[62:63]
	s_cbranch_vccnz .LBB93_116
; %bb.115:
	v_cmp_eq_u32_e32 vcc, 1, v0
	v_cndmask_b32_e32 v127, v34, v35, vcc
	v_cmp_eq_u32_e32 vcc, 2, v0
	v_cndmask_b32_e32 v127, v127, v36, vcc
	;; [unrolled: 2-line block ×25, first 2 shown]
	v_cmp_eq_u32_e32 vcc, 26, v0
	ds_read_b32 v128, v126
	v_cndmask_b32_e32 v127, v127, v60, vcc
	v_cmp_eq_u32_e32 vcc, 27, v0
	v_cndmask_b32_e32 v127, v127, v61, vcc
	v_cmp_eq_u32_e32 vcc, 28, v0
	v_cndmask_b32_e32 v127, v127, v62, vcc
	v_cmp_eq_u32_e32 vcc, 29, v0
	v_cndmask_b32_e32 v127, v127, v63, vcc
	s_waitcnt lgkmcnt(0)
	v_mul_f32_e32 v127, v127, v128
	s_cbranch_execz .LBB93_117
	s_branch .LBB93_118
.LBB93_116:
                                        ; implicit-def: $vgpr127
.LBB93_117:
	ds_read_b32 v127, v126
.LBB93_118:
	s_and_saveexec_b64 s[6:7], s[2:3]
	s_cbranch_execz .LBB93_128
; %bb.119:
	v_subrev_u32_e32 v130, 22, v0
	v_mov_b32_e32 v128, 21
	v_subrev_u32_e32 v129, 21, v0
	v_cmp_lt_u32_e32 vcc, 6, v130
	s_and_saveexec_b64 s[2:3], vcc
	s_cbranch_execz .LBB93_123
; %bb.120:
	v_and_b32_e32 v128, -8, v129
	v_sub_u32_e32 v130, 0, v128
	s_mov_b64 s[8:9], 28
	s_movk_i32 s12, 0xd4
	s_mov_b64 s[10:11], 0
.LBB93_121:                             ; =>This Inner Loop Header: Depth=1
	s_add_i32 s13, s8, -7
	v_mov_b32_e32 v128, s12
	s_add_i32 s14, s8, -6
	s_set_gpr_idx_on s13, gpr_idx(SRC0)
	v_mov_b32_e32 v137, v34
	s_set_gpr_idx_off
	ds_read2_b32 v[131:132], v128 offset1:1
	s_add_i32 s15, s8, -5
	s_set_gpr_idx_on s14, gpr_idx(SRC0)
	v_mov_b32_e32 v138, v34
	s_set_gpr_idx_off
	s_add_i32 s16, s8, -4
	s_set_gpr_idx_on s15, gpr_idx(SRC0)
	v_mov_b32_e32 v139, v34
	s_set_gpr_idx_off
	ds_read2_b32 v[133:134], v128 offset0:2 offset1:3
	s_add_i32 s17, s8, -3
	s_set_gpr_idx_on s16, gpr_idx(SRC0)
	v_mov_b32_e32 v140, v34
	s_set_gpr_idx_off
	s_add_i32 s18, s8, -2
	s_set_gpr_idx_on s17, gpr_idx(SRC0)
	v_mov_b32_e32 v141, v34
	s_set_gpr_idx_off
	ds_read2_b32 v[135:136], v128 offset0:4 offset1:5
	s_add_i32 s19, s8, -1
	s_waitcnt lgkmcnt(2)
	v_fmac_f32_e32 v127, v137, v131
	s_set_gpr_idx_on s18, gpr_idx(SRC0)
	v_mov_b32_e32 v137, v34
	s_set_gpr_idx_off
	v_fmac_f32_e32 v127, v138, v132
	s_set_gpr_idx_on s19, gpr_idx(SRC0)
	v_mov_b32_e32 v138, v34
	s_set_gpr_idx_off
	ds_read2_b32 v[131:132], v128 offset0:6 offset1:7
	s_waitcnt lgkmcnt(2)
	v_fmac_f32_e32 v127, v139, v133
	s_set_gpr_idx_on s8, gpr_idx(SRC0)
	v_mov_b32_e32 v133, v34
	s_set_gpr_idx_off
	v_fmac_f32_e32 v127, v140, v134
	s_add_u32 s8, s8, 8
	s_waitcnt lgkmcnt(1)
	v_fmac_f32_e32 v127, v141, v135
	v_add_u32_e32 v128, s8, v130
	v_fmac_f32_e32 v127, v137, v136
	s_addc_u32 s9, s9, 0
	s_add_i32 s12, s12, 32
	s_add_i32 s13, s8, -7
	v_cmp_eq_u32_e32 vcc, 28, v128
	s_waitcnt lgkmcnt(0)
	v_fmac_f32_e32 v127, v138, v131
	v_mov_b32_e32 v128, s13
	s_or_b64 s[10:11], vcc, s[10:11]
	v_fmac_f32_e32 v127, v133, v132
	s_andn2_b64 exec, exec, s[10:11]
	s_cbranch_execnz .LBB93_121
; %bb.122:
	s_or_b64 exec, exec, s[10:11]
.LBB93_123:
	s_or_b64 exec, exec, s[2:3]
	v_and_b32_e32 v64, 7, v129
	v_cmp_ne_u32_e32 vcc, 0, v64
	s_and_saveexec_b64 s[8:9], vcc
	s_cbranch_execz .LBB93_127
; %bb.124:
	v_mov_b32_e32 v65, 0x80
	v_lshl_add_u32 v65, v128, 2, v65
	v_mov_b32_e32 v129, 0
	s_mov_b64 s[10:11], 0
.LBB93_125:                             ; =>This Inner Loop Header: Depth=1
	v_cmp_eq_u32_e32 vcc, 1, v128
	v_cndmask_b32_e32 v130, v34, v35, vcc
	v_add_u32_e32 v64, -1, v64
	v_cmp_eq_u32_e32 vcc, 2, v128
	v_cndmask_b32_e32 v130, v130, v36, vcc
	v_cmp_eq_u32_e32 vcc, 0, v64
	v_cmp_eq_u32_e64 s[2:3], 3, v128
	v_cndmask_b32_e64 v130, v130, v37, s[2:3]
	s_or_b64 s[10:11], vcc, s[10:11]
	v_cmp_eq_u32_e32 vcc, 4, v128
	v_cndmask_b32_e32 v130, v130, v38, vcc
	v_cmp_eq_u32_e32 vcc, 5, v128
	v_cndmask_b32_e32 v130, v130, v39, vcc
	;; [unrolled: 2-line block ×21, first 2 shown]
	v_cmp_eq_u32_e32 vcc, 25, v128
	ds_read_b32 v131, v65
	v_cndmask_b32_e32 v130, v130, v59, vcc
	v_cmp_eq_u32_e32 vcc, 26, v128
	v_cndmask_b32_e32 v130, v130, v60, vcc
	v_cmp_eq_u32_e32 vcc, 27, v128
	;; [unrolled: 2-line block ×4, first 2 shown]
	v_add_co_u32_e64 v128, s[2:3], 1, v128
	v_cndmask_b32_e32 v130, v130, v63, vcc
	v_add_u32_e32 v65, 4, v65
	v_addc_co_u32_e64 v129, s[2:3], 0, v129, s[2:3]
	s_waitcnt lgkmcnt(0)
	v_fmac_f32_e32 v127, v130, v131
	s_andn2_b64 exec, exec, s[10:11]
	s_cbranch_execnz .LBB93_125
; %bb.126:
	s_or_b64 exec, exec, s[10:11]
.LBB93_127:
	s_or_b64 exec, exec, s[8:9]
.LBB93_128:
	s_or_b64 exec, exec, s[6:7]
	v_mov_b32_e32 v54, 0
	ds_read_b32 v54, v54 offset:80
	s_waitcnt lgkmcnt(0)
	v_mul_f32_e32 v54, v127, v54
.LBB93_129:
	s_or_b64 exec, exec, s[4:5]
	v_cmp_lt_u32_e64 s[2:3], 19, v0
	ds_write_b32 v126, v53
	s_waitcnt lgkmcnt(0)
	; wave barrier
	s_and_saveexec_b64 s[4:5], s[2:3]
	s_cbranch_execz .LBB93_145
; %bb.130:
	s_andn2_b64 vcc, exec, s[62:63]
	s_cbranch_vccnz .LBB93_132
; %bb.131:
	v_cmp_eq_u32_e32 vcc, 1, v0
	v_cndmask_b32_e32 v127, v34, v35, vcc
	v_cmp_eq_u32_e32 vcc, 2, v0
	v_cndmask_b32_e32 v127, v127, v36, vcc
	v_cmp_eq_u32_e32 vcc, 3, v0
	v_cndmask_b32_e32 v127, v127, v37, vcc
	v_cmp_eq_u32_e32 vcc, 4, v0
	v_cndmask_b32_e32 v127, v127, v38, vcc
	v_cmp_eq_u32_e32 vcc, 5, v0
	v_cndmask_b32_e32 v127, v127, v39, vcc
	v_cmp_eq_u32_e32 vcc, 6, v0
	v_cndmask_b32_e32 v127, v127, v40, vcc
	v_cmp_eq_u32_e32 vcc, 7, v0
	v_cndmask_b32_e32 v127, v127, v41, vcc
	v_cmp_eq_u32_e32 vcc, 8, v0
	v_cndmask_b32_e32 v127, v127, v42, vcc
	v_cmp_eq_u32_e32 vcc, 9, v0
	v_cndmask_b32_e32 v127, v127, v43, vcc
	v_cmp_eq_u32_e32 vcc, 10, v0
	v_cndmask_b32_e32 v127, v127, v44, vcc
	v_cmp_eq_u32_e32 vcc, 11, v0
	v_cndmask_b32_e32 v127, v127, v45, vcc
	v_cmp_eq_u32_e32 vcc, 12, v0
	v_cndmask_b32_e32 v127, v127, v46, vcc
	v_cmp_eq_u32_e32 vcc, 13, v0
	v_cndmask_b32_e32 v127, v127, v47, vcc
	v_cmp_eq_u32_e32 vcc, 14, v0
	v_cndmask_b32_e32 v127, v127, v48, vcc
	v_cmp_eq_u32_e32 vcc, 15, v0
	v_cndmask_b32_e32 v127, v127, v49, vcc
	v_cmp_eq_u32_e32 vcc, 16, v0
	v_cndmask_b32_e32 v127, v127, v50, vcc
	v_cmp_eq_u32_e32 vcc, 17, v0
	v_cndmask_b32_e32 v127, v127, v51, vcc
	v_cmp_eq_u32_e32 vcc, 18, v0
	v_cndmask_b32_e32 v127, v127, v52, vcc
	v_cmp_eq_u32_e32 vcc, 19, v0
	v_cndmask_b32_e32 v127, v127, v53, vcc
	v_cmp_eq_u32_e32 vcc, 20, v0
	v_cndmask_b32_e32 v127, v127, v54, vcc
	v_cmp_eq_u32_e32 vcc, 21, v0
	v_cndmask_b32_e32 v127, v127, v55, vcc
	v_cmp_eq_u32_e32 vcc, 22, v0
	v_cndmask_b32_e32 v127, v127, v56, vcc
	v_cmp_eq_u32_e32 vcc, 23, v0
	v_cndmask_b32_e32 v127, v127, v57, vcc
	v_cmp_eq_u32_e32 vcc, 24, v0
	v_cndmask_b32_e32 v127, v127, v58, vcc
	v_cmp_eq_u32_e32 vcc, 25, v0
	v_cndmask_b32_e32 v127, v127, v59, vcc
	v_cmp_eq_u32_e32 vcc, 26, v0
	ds_read_b32 v128, v126
	v_cndmask_b32_e32 v127, v127, v60, vcc
	v_cmp_eq_u32_e32 vcc, 27, v0
	v_cndmask_b32_e32 v127, v127, v61, vcc
	v_cmp_eq_u32_e32 vcc, 28, v0
	;; [unrolled: 2-line block ×3, first 2 shown]
	v_cndmask_b32_e32 v127, v127, v63, vcc
	s_waitcnt lgkmcnt(0)
	v_mul_f32_e32 v127, v127, v128
	s_cbranch_execz .LBB93_133
	s_branch .LBB93_134
.LBB93_132:
                                        ; implicit-def: $vgpr127
.LBB93_133:
	ds_read_b32 v127, v126
.LBB93_134:
	s_and_saveexec_b64 s[6:7], s[0:1]
	s_cbranch_execz .LBB93_144
; %bb.135:
	v_subrev_u32_e32 v130, 21, v0
	v_mov_b32_e32 v128, 20
	v_subrev_u32_e32 v129, 20, v0
	v_cmp_lt_u32_e32 vcc, 6, v130
	s_and_saveexec_b64 s[0:1], vcc
	s_cbranch_execz .LBB93_139
; %bb.136:
	v_and_b32_e32 v128, -8, v129
	v_sub_u32_e32 v130, 0, v128
	s_mov_b64 s[8:9], 27
	s_movk_i32 s12, 0xd0
	s_mov_b64 s[10:11], 0
.LBB93_137:                             ; =>This Inner Loop Header: Depth=1
	s_add_i32 s13, s8, -7
	v_mov_b32_e32 v128, s12
	s_add_i32 s14, s8, -6
	s_set_gpr_idx_on s13, gpr_idx(SRC0)
	v_mov_b32_e32 v139, v34
	s_set_gpr_idx_off
	s_add_i32 s15, s8, -5
	ds_read_b128 v[131:134], v128
	ds_read_b128 v[135:138], v128 offset:16
	s_set_gpr_idx_on s14, gpr_idx(SRC0)
	v_mov_b32_e32 v128, v34
	s_set_gpr_idx_off
	s_add_i32 s16, s8, -4
	s_set_gpr_idx_on s15, gpr_idx(SRC0)
	v_mov_b32_e32 v140, v34
	s_set_gpr_idx_off
	s_add_i32 s17, s8, -3
	;; [unrolled: 4-line block ×4, first 2 shown]
	s_waitcnt lgkmcnt(1)
	v_fmac_f32_e32 v127, v139, v131
	s_set_gpr_idx_on s18, gpr_idx(SRC0)
	v_mov_b32_e32 v131, v34
	s_set_gpr_idx_off
	v_fmac_f32_e32 v127, v128, v132
	s_set_gpr_idx_on s19, gpr_idx(SRC0)
	v_mov_b32_e32 v132, v34
	s_set_gpr_idx_off
	;; [unrolled: 4-line block ×3, first 2 shown]
	v_fmac_f32_e32 v127, v141, v134
	s_add_u32 s8, s8, 8
	s_waitcnt lgkmcnt(0)
	v_fmac_f32_e32 v127, v142, v135
	v_add_u32_e32 v128, s8, v130
	v_fmac_f32_e32 v127, v131, v136
	s_addc_u32 s9, s9, 0
	s_add_i32 s12, s12, 32
	s_add_i32 s13, s8, -7
	v_cmp_eq_u32_e32 vcc, 27, v128
	v_fmac_f32_e32 v127, v132, v137
	v_mov_b32_e32 v128, s13
	s_or_b64 s[10:11], vcc, s[10:11]
	v_fmac_f32_e32 v127, v133, v138
	s_andn2_b64 exec, exec, s[10:11]
	s_cbranch_execnz .LBB93_137
; %bb.138:
	s_or_b64 exec, exec, s[10:11]
.LBB93_139:
	s_or_b64 exec, exec, s[0:1]
	v_and_b32_e32 v64, 7, v129
	v_cmp_ne_u32_e32 vcc, 0, v64
	s_and_saveexec_b64 s[8:9], vcc
	s_cbranch_execz .LBB93_143
; %bb.140:
	v_mov_b32_e32 v65, 0x80
	v_lshl_add_u32 v65, v128, 2, v65
	v_mov_b32_e32 v129, 0
	s_mov_b64 s[10:11], 0
.LBB93_141:                             ; =>This Inner Loop Header: Depth=1
	v_cmp_eq_u32_e32 vcc, 1, v128
	v_cndmask_b32_e32 v130, v34, v35, vcc
	v_add_u32_e32 v64, -1, v64
	v_cmp_eq_u32_e32 vcc, 2, v128
	v_cndmask_b32_e32 v130, v130, v36, vcc
	v_cmp_eq_u32_e32 vcc, 0, v64
	v_cmp_eq_u32_e64 s[0:1], 3, v128
	v_cndmask_b32_e64 v130, v130, v37, s[0:1]
	s_or_b64 s[10:11], vcc, s[10:11]
	v_cmp_eq_u32_e32 vcc, 4, v128
	v_cndmask_b32_e32 v130, v130, v38, vcc
	v_cmp_eq_u32_e32 vcc, 5, v128
	v_cndmask_b32_e32 v130, v130, v39, vcc
	v_cmp_eq_u32_e32 vcc, 6, v128
	v_cndmask_b32_e32 v130, v130, v40, vcc
	v_cmp_eq_u32_e32 vcc, 7, v128
	v_cndmask_b32_e32 v130, v130, v41, vcc
	v_cmp_eq_u32_e32 vcc, 8, v128
	v_cndmask_b32_e32 v130, v130, v42, vcc
	v_cmp_eq_u32_e32 vcc, 9, v128
	v_cndmask_b32_e32 v130, v130, v43, vcc
	v_cmp_eq_u32_e32 vcc, 10, v128
	v_cndmask_b32_e32 v130, v130, v44, vcc
	v_cmp_eq_u32_e32 vcc, 11, v128
	v_cndmask_b32_e32 v130, v130, v45, vcc
	v_cmp_eq_u32_e32 vcc, 12, v128
	v_cndmask_b32_e32 v130, v130, v46, vcc
	v_cmp_eq_u32_e32 vcc, 13, v128
	v_cndmask_b32_e32 v130, v130, v47, vcc
	v_cmp_eq_u32_e32 vcc, 14, v128
	v_cndmask_b32_e32 v130, v130, v48, vcc
	v_cmp_eq_u32_e32 vcc, 15, v128
	v_cndmask_b32_e32 v130, v130, v49, vcc
	v_cmp_eq_u32_e32 vcc, 16, v128
	v_cndmask_b32_e32 v130, v130, v50, vcc
	v_cmp_eq_u32_e32 vcc, 17, v128
	v_cndmask_b32_e32 v130, v130, v51, vcc
	v_cmp_eq_u32_e32 vcc, 18, v128
	v_cndmask_b32_e32 v130, v130, v52, vcc
	v_cmp_eq_u32_e32 vcc, 19, v128
	v_cndmask_b32_e32 v130, v130, v53, vcc
	v_cmp_eq_u32_e32 vcc, 20, v128
	v_cndmask_b32_e32 v130, v130, v54, vcc
	v_cmp_eq_u32_e32 vcc, 21, v128
	v_cndmask_b32_e32 v130, v130, v55, vcc
	v_cmp_eq_u32_e32 vcc, 22, v128
	v_cndmask_b32_e32 v130, v130, v56, vcc
	v_cmp_eq_u32_e32 vcc, 23, v128
	v_cndmask_b32_e32 v130, v130, v57, vcc
	v_cmp_eq_u32_e32 vcc, 24, v128
	v_cndmask_b32_e32 v130, v130, v58, vcc
	v_cmp_eq_u32_e32 vcc, 25, v128
	ds_read_b32 v131, v65
	v_cndmask_b32_e32 v130, v130, v59, vcc
	v_cmp_eq_u32_e32 vcc, 26, v128
	v_cndmask_b32_e32 v130, v130, v60, vcc
	v_cmp_eq_u32_e32 vcc, 27, v128
	;; [unrolled: 2-line block ×4, first 2 shown]
	v_add_co_u32_e64 v128, s[0:1], 1, v128
	v_cndmask_b32_e32 v130, v130, v63, vcc
	v_add_u32_e32 v65, 4, v65
	v_addc_co_u32_e64 v129, s[0:1], 0, v129, s[0:1]
	s_waitcnt lgkmcnt(0)
	v_fmac_f32_e32 v127, v130, v131
	s_andn2_b64 exec, exec, s[10:11]
	s_cbranch_execnz .LBB93_141
; %bb.142:
	s_or_b64 exec, exec, s[10:11]
.LBB93_143:
	s_or_b64 exec, exec, s[8:9]
.LBB93_144:
	s_or_b64 exec, exec, s[6:7]
	v_mov_b32_e32 v53, 0
	ds_read_b32 v53, v53 offset:76
	s_waitcnt lgkmcnt(0)
	v_mul_f32_e32 v53, v127, v53
.LBB93_145:
	s_or_b64 exec, exec, s[4:5]
	v_cmp_lt_u32_e64 s[0:1], 18, v0
	ds_write_b32 v126, v52
	s_waitcnt lgkmcnt(0)
	; wave barrier
	s_and_saveexec_b64 s[4:5], s[0:1]
	s_cbranch_execz .LBB93_161
; %bb.146:
	s_andn2_b64 vcc, exec, s[62:63]
	s_cbranch_vccnz .LBB93_148
; %bb.147:
	v_cmp_eq_u32_e32 vcc, 1, v0
	v_cndmask_b32_e32 v127, v34, v35, vcc
	v_cmp_eq_u32_e32 vcc, 2, v0
	v_cndmask_b32_e32 v127, v127, v36, vcc
	;; [unrolled: 2-line block ×25, first 2 shown]
	v_cmp_eq_u32_e32 vcc, 26, v0
	ds_read_b32 v128, v126
	v_cndmask_b32_e32 v127, v127, v60, vcc
	v_cmp_eq_u32_e32 vcc, 27, v0
	v_cndmask_b32_e32 v127, v127, v61, vcc
	v_cmp_eq_u32_e32 vcc, 28, v0
	;; [unrolled: 2-line block ×3, first 2 shown]
	v_cndmask_b32_e32 v127, v127, v63, vcc
	s_waitcnt lgkmcnt(0)
	v_mul_f32_e32 v127, v127, v128
	s_cbranch_execz .LBB93_149
	s_branch .LBB93_150
.LBB93_148:
                                        ; implicit-def: $vgpr127
.LBB93_149:
	ds_read_b32 v127, v126
.LBB93_150:
	s_and_saveexec_b64 s[6:7], s[2:3]
	s_cbranch_execz .LBB93_160
; %bb.151:
	v_subrev_u32_e32 v130, 20, v0
	v_mov_b32_e32 v128, 19
	v_subrev_u32_e32 v129, 19, v0
	v_cmp_lt_u32_e32 vcc, 6, v130
	s_and_saveexec_b64 s[2:3], vcc
	s_cbranch_execz .LBB93_155
; %bb.152:
	v_and_b32_e32 v128, -8, v129
	v_sub_u32_e32 v130, 0, v128
	s_mov_b64 s[8:9], 26
	s_movk_i32 s12, 0xcc
	s_mov_b64 s[10:11], 0
.LBB93_153:                             ; =>This Inner Loop Header: Depth=1
	s_add_i32 s13, s8, -7
	v_mov_b32_e32 v128, s12
	s_add_i32 s14, s8, -6
	s_set_gpr_idx_on s13, gpr_idx(SRC0)
	v_mov_b32_e32 v137, v34
	s_set_gpr_idx_off
	ds_read2_b32 v[131:132], v128 offset1:1
	s_add_i32 s15, s8, -5
	s_set_gpr_idx_on s14, gpr_idx(SRC0)
	v_mov_b32_e32 v138, v34
	s_set_gpr_idx_off
	s_add_i32 s16, s8, -4
	s_set_gpr_idx_on s15, gpr_idx(SRC0)
	v_mov_b32_e32 v139, v34
	s_set_gpr_idx_off
	ds_read2_b32 v[133:134], v128 offset0:2 offset1:3
	s_add_i32 s17, s8, -3
	s_set_gpr_idx_on s16, gpr_idx(SRC0)
	v_mov_b32_e32 v140, v34
	s_set_gpr_idx_off
	s_add_i32 s18, s8, -2
	s_set_gpr_idx_on s17, gpr_idx(SRC0)
	v_mov_b32_e32 v141, v34
	s_set_gpr_idx_off
	ds_read2_b32 v[135:136], v128 offset0:4 offset1:5
	s_add_i32 s19, s8, -1
	s_waitcnt lgkmcnt(2)
	v_fmac_f32_e32 v127, v137, v131
	s_set_gpr_idx_on s18, gpr_idx(SRC0)
	v_mov_b32_e32 v137, v34
	s_set_gpr_idx_off
	v_fmac_f32_e32 v127, v138, v132
	s_set_gpr_idx_on s19, gpr_idx(SRC0)
	v_mov_b32_e32 v138, v34
	s_set_gpr_idx_off
	ds_read2_b32 v[131:132], v128 offset0:6 offset1:7
	s_waitcnt lgkmcnt(2)
	v_fmac_f32_e32 v127, v139, v133
	s_set_gpr_idx_on s8, gpr_idx(SRC0)
	v_mov_b32_e32 v133, v34
	s_set_gpr_idx_off
	v_fmac_f32_e32 v127, v140, v134
	s_add_u32 s8, s8, 8
	s_waitcnt lgkmcnt(1)
	v_fmac_f32_e32 v127, v141, v135
	v_add_u32_e32 v128, s8, v130
	v_fmac_f32_e32 v127, v137, v136
	s_addc_u32 s9, s9, 0
	s_add_i32 s12, s12, 32
	s_add_i32 s13, s8, -7
	v_cmp_eq_u32_e32 vcc, 26, v128
	s_waitcnt lgkmcnt(0)
	v_fmac_f32_e32 v127, v138, v131
	v_mov_b32_e32 v128, s13
	s_or_b64 s[10:11], vcc, s[10:11]
	v_fmac_f32_e32 v127, v133, v132
	s_andn2_b64 exec, exec, s[10:11]
	s_cbranch_execnz .LBB93_153
; %bb.154:
	s_or_b64 exec, exec, s[10:11]
.LBB93_155:
	s_or_b64 exec, exec, s[2:3]
	v_and_b32_e32 v64, 7, v129
	v_cmp_ne_u32_e32 vcc, 0, v64
	s_and_saveexec_b64 s[8:9], vcc
	s_cbranch_execz .LBB93_159
; %bb.156:
	v_mov_b32_e32 v65, 0x80
	v_lshl_add_u32 v65, v128, 2, v65
	v_mov_b32_e32 v129, 0
	s_mov_b64 s[10:11], 0
.LBB93_157:                             ; =>This Inner Loop Header: Depth=1
	v_cmp_eq_u32_e32 vcc, 1, v128
	v_cndmask_b32_e32 v130, v34, v35, vcc
	v_add_u32_e32 v64, -1, v64
	v_cmp_eq_u32_e32 vcc, 2, v128
	v_cndmask_b32_e32 v130, v130, v36, vcc
	v_cmp_eq_u32_e32 vcc, 0, v64
	v_cmp_eq_u32_e64 s[2:3], 3, v128
	v_cndmask_b32_e64 v130, v130, v37, s[2:3]
	s_or_b64 s[10:11], vcc, s[10:11]
	v_cmp_eq_u32_e32 vcc, 4, v128
	v_cndmask_b32_e32 v130, v130, v38, vcc
	v_cmp_eq_u32_e32 vcc, 5, v128
	v_cndmask_b32_e32 v130, v130, v39, vcc
	v_cmp_eq_u32_e32 vcc, 6, v128
	v_cndmask_b32_e32 v130, v130, v40, vcc
	v_cmp_eq_u32_e32 vcc, 7, v128
	v_cndmask_b32_e32 v130, v130, v41, vcc
	v_cmp_eq_u32_e32 vcc, 8, v128
	v_cndmask_b32_e32 v130, v130, v42, vcc
	v_cmp_eq_u32_e32 vcc, 9, v128
	v_cndmask_b32_e32 v130, v130, v43, vcc
	v_cmp_eq_u32_e32 vcc, 10, v128
	v_cndmask_b32_e32 v130, v130, v44, vcc
	v_cmp_eq_u32_e32 vcc, 11, v128
	v_cndmask_b32_e32 v130, v130, v45, vcc
	v_cmp_eq_u32_e32 vcc, 12, v128
	v_cndmask_b32_e32 v130, v130, v46, vcc
	v_cmp_eq_u32_e32 vcc, 13, v128
	v_cndmask_b32_e32 v130, v130, v47, vcc
	v_cmp_eq_u32_e32 vcc, 14, v128
	v_cndmask_b32_e32 v130, v130, v48, vcc
	v_cmp_eq_u32_e32 vcc, 15, v128
	v_cndmask_b32_e32 v130, v130, v49, vcc
	v_cmp_eq_u32_e32 vcc, 16, v128
	v_cndmask_b32_e32 v130, v130, v50, vcc
	v_cmp_eq_u32_e32 vcc, 17, v128
	v_cndmask_b32_e32 v130, v130, v51, vcc
	v_cmp_eq_u32_e32 vcc, 18, v128
	v_cndmask_b32_e32 v130, v130, v52, vcc
	v_cmp_eq_u32_e32 vcc, 19, v128
	v_cndmask_b32_e32 v130, v130, v53, vcc
	v_cmp_eq_u32_e32 vcc, 20, v128
	v_cndmask_b32_e32 v130, v130, v54, vcc
	v_cmp_eq_u32_e32 vcc, 21, v128
	v_cndmask_b32_e32 v130, v130, v55, vcc
	v_cmp_eq_u32_e32 vcc, 22, v128
	v_cndmask_b32_e32 v130, v130, v56, vcc
	v_cmp_eq_u32_e32 vcc, 23, v128
	v_cndmask_b32_e32 v130, v130, v57, vcc
	v_cmp_eq_u32_e32 vcc, 24, v128
	v_cndmask_b32_e32 v130, v130, v58, vcc
	v_cmp_eq_u32_e32 vcc, 25, v128
	ds_read_b32 v131, v65
	v_cndmask_b32_e32 v130, v130, v59, vcc
	v_cmp_eq_u32_e32 vcc, 26, v128
	v_cndmask_b32_e32 v130, v130, v60, vcc
	v_cmp_eq_u32_e32 vcc, 27, v128
	;; [unrolled: 2-line block ×4, first 2 shown]
	v_add_co_u32_e64 v128, s[2:3], 1, v128
	v_cndmask_b32_e32 v130, v130, v63, vcc
	v_add_u32_e32 v65, 4, v65
	v_addc_co_u32_e64 v129, s[2:3], 0, v129, s[2:3]
	s_waitcnt lgkmcnt(0)
	v_fmac_f32_e32 v127, v130, v131
	s_andn2_b64 exec, exec, s[10:11]
	s_cbranch_execnz .LBB93_157
; %bb.158:
	s_or_b64 exec, exec, s[10:11]
.LBB93_159:
	s_or_b64 exec, exec, s[8:9]
.LBB93_160:
	s_or_b64 exec, exec, s[6:7]
	v_mov_b32_e32 v52, 0
	ds_read_b32 v52, v52 offset:72
	s_waitcnt lgkmcnt(0)
	v_mul_f32_e32 v52, v127, v52
.LBB93_161:
	s_or_b64 exec, exec, s[4:5]
	v_cmp_lt_u32_e64 s[2:3], 17, v0
	ds_write_b32 v126, v51
	s_waitcnt lgkmcnt(0)
	; wave barrier
	s_and_saveexec_b64 s[4:5], s[2:3]
	s_cbranch_execz .LBB93_177
; %bb.162:
	s_andn2_b64 vcc, exec, s[62:63]
	s_cbranch_vccnz .LBB93_164
; %bb.163:
	v_cmp_eq_u32_e32 vcc, 1, v0
	v_cndmask_b32_e32 v127, v34, v35, vcc
	v_cmp_eq_u32_e32 vcc, 2, v0
	v_cndmask_b32_e32 v127, v127, v36, vcc
	;; [unrolled: 2-line block ×25, first 2 shown]
	v_cmp_eq_u32_e32 vcc, 26, v0
	ds_read_b32 v128, v126
	v_cndmask_b32_e32 v127, v127, v60, vcc
	v_cmp_eq_u32_e32 vcc, 27, v0
	v_cndmask_b32_e32 v127, v127, v61, vcc
	v_cmp_eq_u32_e32 vcc, 28, v0
	v_cndmask_b32_e32 v127, v127, v62, vcc
	v_cmp_eq_u32_e32 vcc, 29, v0
	v_cndmask_b32_e32 v127, v127, v63, vcc
	s_waitcnt lgkmcnt(0)
	v_mul_f32_e32 v127, v127, v128
	s_cbranch_execz .LBB93_165
	s_branch .LBB93_166
.LBB93_164:
                                        ; implicit-def: $vgpr127
.LBB93_165:
	ds_read_b32 v127, v126
.LBB93_166:
	s_and_saveexec_b64 s[6:7], s[0:1]
	s_cbranch_execz .LBB93_176
; %bb.167:
	v_subrev_u32_e32 v130, 19, v0
	v_mov_b32_e32 v128, 18
	v_subrev_u32_e32 v129, 18, v0
	v_cmp_lt_u32_e32 vcc, 6, v130
	s_and_saveexec_b64 s[0:1], vcc
	s_cbranch_execz .LBB93_171
; %bb.168:
	v_and_b32_e32 v128, -8, v129
	v_sub_u32_e32 v130, 0, v128
	s_mov_b64 s[8:9], 25
	s_movk_i32 s12, 0xc8
	s_mov_b64 s[10:11], 0
.LBB93_169:                             ; =>This Inner Loop Header: Depth=1
	s_add_i32 s13, s8, -7
	v_mov_b32_e32 v128, s12
	s_add_i32 s14, s8, -6
	s_set_gpr_idx_on s13, gpr_idx(SRC0)
	v_mov_b32_e32 v139, v34
	s_set_gpr_idx_off
	ds_read2_b64 v[131:134], v128 offset1:1
	s_add_i32 s15, s8, -5
	s_set_gpr_idx_on s14, gpr_idx(SRC0)
	v_mov_b32_e32 v140, v34
	s_set_gpr_idx_off
	s_add_i32 s16, s8, -4
	s_set_gpr_idx_on s15, gpr_idx(SRC0)
	v_mov_b32_e32 v141, v34
	s_set_gpr_idx_off
	;; [unrolled: 4-line block ×4, first 2 shown]
	ds_read2_b64 v[135:138], v128 offset0:2 offset1:3
	s_add_i32 s19, s8, -1
	s_waitcnt lgkmcnt(1)
	v_fmac_f32_e32 v127, v139, v131
	s_set_gpr_idx_on s18, gpr_idx(SRC0)
	v_mov_b32_e32 v131, v34
	s_set_gpr_idx_off
	v_fmac_f32_e32 v127, v140, v132
	s_set_gpr_idx_on s19, gpr_idx(SRC0)
	v_mov_b32_e32 v132, v34
	s_set_gpr_idx_off
	;; [unrolled: 4-line block ×3, first 2 shown]
	v_fmac_f32_e32 v127, v142, v134
	s_add_u32 s8, s8, 8
	s_waitcnt lgkmcnt(0)
	v_fmac_f32_e32 v127, v143, v135
	v_add_u32_e32 v128, s8, v130
	v_fmac_f32_e32 v127, v131, v136
	s_addc_u32 s9, s9, 0
	s_add_i32 s12, s12, 32
	s_add_i32 s13, s8, -7
	v_cmp_eq_u32_e32 vcc, 25, v128
	v_fmac_f32_e32 v127, v132, v137
	v_mov_b32_e32 v128, s13
	s_or_b64 s[10:11], vcc, s[10:11]
	v_fmac_f32_e32 v127, v133, v138
	s_andn2_b64 exec, exec, s[10:11]
	s_cbranch_execnz .LBB93_169
; %bb.170:
	s_or_b64 exec, exec, s[10:11]
.LBB93_171:
	s_or_b64 exec, exec, s[0:1]
	v_and_b32_e32 v64, 7, v129
	v_cmp_ne_u32_e32 vcc, 0, v64
	s_and_saveexec_b64 s[8:9], vcc
	s_cbranch_execz .LBB93_175
; %bb.172:
	v_mov_b32_e32 v65, 0x80
	v_lshl_add_u32 v65, v128, 2, v65
	v_mov_b32_e32 v129, 0
	s_mov_b64 s[10:11], 0
.LBB93_173:                             ; =>This Inner Loop Header: Depth=1
	v_cmp_eq_u32_e32 vcc, 1, v128
	v_cndmask_b32_e32 v130, v34, v35, vcc
	v_add_u32_e32 v64, -1, v64
	v_cmp_eq_u32_e32 vcc, 2, v128
	v_cndmask_b32_e32 v130, v130, v36, vcc
	v_cmp_eq_u32_e32 vcc, 0, v64
	v_cmp_eq_u32_e64 s[0:1], 3, v128
	v_cndmask_b32_e64 v130, v130, v37, s[0:1]
	s_or_b64 s[10:11], vcc, s[10:11]
	v_cmp_eq_u32_e32 vcc, 4, v128
	v_cndmask_b32_e32 v130, v130, v38, vcc
	v_cmp_eq_u32_e32 vcc, 5, v128
	v_cndmask_b32_e32 v130, v130, v39, vcc
	;; [unrolled: 2-line block ×21, first 2 shown]
	v_cmp_eq_u32_e32 vcc, 25, v128
	ds_read_b32 v131, v65
	v_cndmask_b32_e32 v130, v130, v59, vcc
	v_cmp_eq_u32_e32 vcc, 26, v128
	v_cndmask_b32_e32 v130, v130, v60, vcc
	v_cmp_eq_u32_e32 vcc, 27, v128
	;; [unrolled: 2-line block ×4, first 2 shown]
	v_add_co_u32_e64 v128, s[0:1], 1, v128
	v_cndmask_b32_e32 v130, v130, v63, vcc
	v_add_u32_e32 v65, 4, v65
	v_addc_co_u32_e64 v129, s[0:1], 0, v129, s[0:1]
	s_waitcnt lgkmcnt(0)
	v_fmac_f32_e32 v127, v130, v131
	s_andn2_b64 exec, exec, s[10:11]
	s_cbranch_execnz .LBB93_173
; %bb.174:
	s_or_b64 exec, exec, s[10:11]
.LBB93_175:
	s_or_b64 exec, exec, s[8:9]
.LBB93_176:
	s_or_b64 exec, exec, s[6:7]
	v_mov_b32_e32 v51, 0
	ds_read_b32 v51, v51 offset:68
	s_waitcnt lgkmcnt(0)
	v_mul_f32_e32 v51, v127, v51
.LBB93_177:
	s_or_b64 exec, exec, s[4:5]
	v_cmp_lt_u32_e64 s[0:1], 16, v0
	ds_write_b32 v126, v50
	s_waitcnt lgkmcnt(0)
	; wave barrier
	s_and_saveexec_b64 s[4:5], s[0:1]
	s_cbranch_execz .LBB93_193
; %bb.178:
	s_andn2_b64 vcc, exec, s[62:63]
	s_cbranch_vccnz .LBB93_180
; %bb.179:
	v_cmp_eq_u32_e32 vcc, 1, v0
	v_cndmask_b32_e32 v127, v34, v35, vcc
	v_cmp_eq_u32_e32 vcc, 2, v0
	v_cndmask_b32_e32 v127, v127, v36, vcc
	;; [unrolled: 2-line block ×25, first 2 shown]
	v_cmp_eq_u32_e32 vcc, 26, v0
	ds_read_b32 v128, v126
	v_cndmask_b32_e32 v127, v127, v60, vcc
	v_cmp_eq_u32_e32 vcc, 27, v0
	v_cndmask_b32_e32 v127, v127, v61, vcc
	v_cmp_eq_u32_e32 vcc, 28, v0
	;; [unrolled: 2-line block ×3, first 2 shown]
	v_cndmask_b32_e32 v127, v127, v63, vcc
	s_waitcnt lgkmcnt(0)
	v_mul_f32_e32 v127, v127, v128
	s_cbranch_execz .LBB93_181
	s_branch .LBB93_182
.LBB93_180:
                                        ; implicit-def: $vgpr127
.LBB93_181:
	ds_read_b32 v127, v126
.LBB93_182:
	s_and_saveexec_b64 s[6:7], s[2:3]
	s_cbranch_execz .LBB93_192
; %bb.183:
	v_subrev_u32_e32 v130, 18, v0
	v_mov_b32_e32 v128, 17
	v_subrev_u32_e32 v129, 17, v0
	v_cmp_lt_u32_e32 vcc, 6, v130
	s_and_saveexec_b64 s[2:3], vcc
	s_cbranch_execz .LBB93_187
; %bb.184:
	v_and_b32_e32 v128, -8, v129
	v_sub_u32_e32 v130, 0, v128
	s_mov_b64 s[8:9], 24
	s_movk_i32 s12, 0xc4
	s_mov_b64 s[10:11], 0
.LBB93_185:                             ; =>This Inner Loop Header: Depth=1
	s_add_i32 s13, s8, -7
	v_mov_b32_e32 v128, s12
	s_add_i32 s14, s8, -6
	s_set_gpr_idx_on s13, gpr_idx(SRC0)
	v_mov_b32_e32 v137, v34
	s_set_gpr_idx_off
	ds_read2_b32 v[131:132], v128 offset1:1
	s_add_i32 s15, s8, -5
	s_set_gpr_idx_on s14, gpr_idx(SRC0)
	v_mov_b32_e32 v138, v34
	s_set_gpr_idx_off
	s_add_i32 s16, s8, -4
	s_set_gpr_idx_on s15, gpr_idx(SRC0)
	v_mov_b32_e32 v139, v34
	s_set_gpr_idx_off
	ds_read2_b32 v[133:134], v128 offset0:2 offset1:3
	s_add_i32 s17, s8, -3
	s_set_gpr_idx_on s16, gpr_idx(SRC0)
	v_mov_b32_e32 v140, v34
	s_set_gpr_idx_off
	s_add_i32 s18, s8, -2
	s_set_gpr_idx_on s17, gpr_idx(SRC0)
	v_mov_b32_e32 v141, v34
	s_set_gpr_idx_off
	ds_read2_b32 v[135:136], v128 offset0:4 offset1:5
	s_add_i32 s19, s8, -1
	s_waitcnt lgkmcnt(2)
	v_fmac_f32_e32 v127, v137, v131
	s_set_gpr_idx_on s18, gpr_idx(SRC0)
	v_mov_b32_e32 v137, v34
	s_set_gpr_idx_off
	v_fmac_f32_e32 v127, v138, v132
	s_set_gpr_idx_on s19, gpr_idx(SRC0)
	v_mov_b32_e32 v138, v34
	s_set_gpr_idx_off
	ds_read2_b32 v[131:132], v128 offset0:6 offset1:7
	s_waitcnt lgkmcnt(2)
	v_fmac_f32_e32 v127, v139, v133
	s_set_gpr_idx_on s8, gpr_idx(SRC0)
	v_mov_b32_e32 v133, v34
	s_set_gpr_idx_off
	v_fmac_f32_e32 v127, v140, v134
	s_add_u32 s8, s8, 8
	s_waitcnt lgkmcnt(1)
	v_fmac_f32_e32 v127, v141, v135
	v_add_u32_e32 v128, s8, v130
	v_fmac_f32_e32 v127, v137, v136
	s_addc_u32 s9, s9, 0
	s_add_i32 s12, s12, 32
	s_add_i32 s13, s8, -7
	v_cmp_eq_u32_e32 vcc, 24, v128
	s_waitcnt lgkmcnt(0)
	v_fmac_f32_e32 v127, v138, v131
	v_mov_b32_e32 v128, s13
	s_or_b64 s[10:11], vcc, s[10:11]
	v_fmac_f32_e32 v127, v133, v132
	s_andn2_b64 exec, exec, s[10:11]
	s_cbranch_execnz .LBB93_185
; %bb.186:
	s_or_b64 exec, exec, s[10:11]
.LBB93_187:
	s_or_b64 exec, exec, s[2:3]
	v_and_b32_e32 v64, 7, v129
	v_cmp_ne_u32_e32 vcc, 0, v64
	s_and_saveexec_b64 s[8:9], vcc
	s_cbranch_execz .LBB93_191
; %bb.188:
	v_mov_b32_e32 v65, 0x80
	v_lshl_add_u32 v65, v128, 2, v65
	v_mov_b32_e32 v129, 0
	s_mov_b64 s[10:11], 0
.LBB93_189:                             ; =>This Inner Loop Header: Depth=1
	v_cmp_eq_u32_e32 vcc, 1, v128
	v_cndmask_b32_e32 v130, v34, v35, vcc
	v_add_u32_e32 v64, -1, v64
	v_cmp_eq_u32_e32 vcc, 2, v128
	v_cndmask_b32_e32 v130, v130, v36, vcc
	v_cmp_eq_u32_e32 vcc, 0, v64
	v_cmp_eq_u32_e64 s[2:3], 3, v128
	v_cndmask_b32_e64 v130, v130, v37, s[2:3]
	s_or_b64 s[10:11], vcc, s[10:11]
	v_cmp_eq_u32_e32 vcc, 4, v128
	v_cndmask_b32_e32 v130, v130, v38, vcc
	v_cmp_eq_u32_e32 vcc, 5, v128
	v_cndmask_b32_e32 v130, v130, v39, vcc
	;; [unrolled: 2-line block ×21, first 2 shown]
	v_cmp_eq_u32_e32 vcc, 25, v128
	ds_read_b32 v131, v65
	v_cndmask_b32_e32 v130, v130, v59, vcc
	v_cmp_eq_u32_e32 vcc, 26, v128
	v_cndmask_b32_e32 v130, v130, v60, vcc
	v_cmp_eq_u32_e32 vcc, 27, v128
	;; [unrolled: 2-line block ×4, first 2 shown]
	v_add_co_u32_e64 v128, s[2:3], 1, v128
	v_cndmask_b32_e32 v130, v130, v63, vcc
	v_add_u32_e32 v65, 4, v65
	v_addc_co_u32_e64 v129, s[2:3], 0, v129, s[2:3]
	s_waitcnt lgkmcnt(0)
	v_fmac_f32_e32 v127, v130, v131
	s_andn2_b64 exec, exec, s[10:11]
	s_cbranch_execnz .LBB93_189
; %bb.190:
	s_or_b64 exec, exec, s[10:11]
.LBB93_191:
	s_or_b64 exec, exec, s[8:9]
.LBB93_192:
	s_or_b64 exec, exec, s[6:7]
	v_mov_b32_e32 v50, 0
	ds_read_b32 v50, v50 offset:64
	s_waitcnt lgkmcnt(0)
	v_mul_f32_e32 v50, v127, v50
.LBB93_193:
	s_or_b64 exec, exec, s[4:5]
	v_cmp_lt_u32_e64 s[2:3], 15, v0
	ds_write_b32 v126, v49
	s_waitcnt lgkmcnt(0)
	; wave barrier
	s_and_saveexec_b64 s[4:5], s[2:3]
	s_cbranch_execz .LBB93_209
; %bb.194:
	s_andn2_b64 vcc, exec, s[62:63]
	s_cbranch_vccnz .LBB93_196
; %bb.195:
	v_cmp_eq_u32_e32 vcc, 1, v0
	v_cndmask_b32_e32 v127, v34, v35, vcc
	v_cmp_eq_u32_e32 vcc, 2, v0
	v_cndmask_b32_e32 v127, v127, v36, vcc
	;; [unrolled: 2-line block ×25, first 2 shown]
	v_cmp_eq_u32_e32 vcc, 26, v0
	ds_read_b32 v128, v126
	v_cndmask_b32_e32 v127, v127, v60, vcc
	v_cmp_eq_u32_e32 vcc, 27, v0
	v_cndmask_b32_e32 v127, v127, v61, vcc
	v_cmp_eq_u32_e32 vcc, 28, v0
	v_cndmask_b32_e32 v127, v127, v62, vcc
	v_cmp_eq_u32_e32 vcc, 29, v0
	v_cndmask_b32_e32 v127, v127, v63, vcc
	s_waitcnt lgkmcnt(0)
	v_mul_f32_e32 v127, v127, v128
	s_cbranch_execz .LBB93_197
	s_branch .LBB93_198
.LBB93_196:
                                        ; implicit-def: $vgpr127
.LBB93_197:
	ds_read_b32 v127, v126
.LBB93_198:
	s_and_saveexec_b64 s[6:7], s[0:1]
	s_cbranch_execz .LBB93_208
; %bb.199:
	v_subrev_u32_e32 v128, 17, v0
	v_cmp_lt_u32_e32 vcc, 6, v128
	v_mov_b32_e32 v128, 16
	s_and_saveexec_b64 s[0:1], vcc
	s_cbranch_execz .LBB93_203
; %bb.200:
	v_and_b32_e32 v128, 24, v0
	v_sub_u32_e32 v129, 0, v128
	s_mov_b64 s[8:9], 23
	s_movk_i32 s12, 0xc0
	s_mov_b64 s[10:11], 0
.LBB93_201:                             ; =>This Inner Loop Header: Depth=1
	s_add_i32 s13, s8, -7
	v_mov_b32_e32 v128, s12
	s_add_i32 s14, s8, -6
	s_set_gpr_idx_on s13, gpr_idx(SRC0)
	v_mov_b32_e32 v138, v34
	s_set_gpr_idx_off
	s_add_i32 s15, s8, -5
	ds_read_b128 v[130:133], v128
	ds_read_b128 v[134:137], v128 offset:16
	s_set_gpr_idx_on s14, gpr_idx(SRC0)
	v_mov_b32_e32 v128, v34
	s_set_gpr_idx_off
	s_add_i32 s16, s8, -4
	s_set_gpr_idx_on s15, gpr_idx(SRC0)
	v_mov_b32_e32 v139, v34
	s_set_gpr_idx_off
	s_add_i32 s17, s8, -3
	;; [unrolled: 4-line block ×4, first 2 shown]
	s_waitcnt lgkmcnt(1)
	v_fmac_f32_e32 v127, v138, v130
	s_set_gpr_idx_on s18, gpr_idx(SRC0)
	v_mov_b32_e32 v130, v34
	s_set_gpr_idx_off
	v_fmac_f32_e32 v127, v128, v131
	s_set_gpr_idx_on s19, gpr_idx(SRC0)
	v_mov_b32_e32 v131, v34
	s_set_gpr_idx_off
	;; [unrolled: 4-line block ×3, first 2 shown]
	v_fmac_f32_e32 v127, v140, v133
	s_add_u32 s8, s8, 8
	s_waitcnt lgkmcnt(0)
	v_fmac_f32_e32 v127, v141, v134
	v_add_u32_e32 v128, s8, v129
	v_fmac_f32_e32 v127, v130, v135
	s_addc_u32 s9, s9, 0
	s_add_i32 s12, s12, 32
	s_add_i32 s13, s8, -7
	v_cmp_eq_u32_e32 vcc, 7, v128
	v_fmac_f32_e32 v127, v131, v136
	v_mov_b32_e32 v128, s13
	s_or_b64 s[10:11], vcc, s[10:11]
	v_fmac_f32_e32 v127, v132, v137
	s_andn2_b64 exec, exec, s[10:11]
	s_cbranch_execnz .LBB93_201
; %bb.202:
	s_or_b64 exec, exec, s[10:11]
.LBB93_203:
	s_or_b64 exec, exec, s[0:1]
	v_and_b32_e32 v64, 7, v0
	v_cmp_ne_u32_e32 vcc, 0, v64
	s_and_saveexec_b64 s[8:9], vcc
	s_cbranch_execz .LBB93_207
; %bb.204:
	v_mov_b32_e32 v65, 0x80
	v_lshl_add_u32 v65, v128, 2, v65
	v_mov_b32_e32 v129, 0
	s_mov_b64 s[10:11], 0
.LBB93_205:                             ; =>This Inner Loop Header: Depth=1
	v_cmp_eq_u32_e32 vcc, 1, v128
	v_cndmask_b32_e32 v130, v34, v35, vcc
	v_add_u32_e32 v64, -1, v64
	v_cmp_eq_u32_e32 vcc, 2, v128
	v_cndmask_b32_e32 v130, v130, v36, vcc
	v_cmp_eq_u32_e32 vcc, 0, v64
	v_cmp_eq_u32_e64 s[0:1], 3, v128
	v_cndmask_b32_e64 v130, v130, v37, s[0:1]
	s_or_b64 s[10:11], vcc, s[10:11]
	v_cmp_eq_u32_e32 vcc, 4, v128
	v_cndmask_b32_e32 v130, v130, v38, vcc
	v_cmp_eq_u32_e32 vcc, 5, v128
	v_cndmask_b32_e32 v130, v130, v39, vcc
	;; [unrolled: 2-line block ×21, first 2 shown]
	v_cmp_eq_u32_e32 vcc, 25, v128
	ds_read_b32 v131, v65
	v_cndmask_b32_e32 v130, v130, v59, vcc
	v_cmp_eq_u32_e32 vcc, 26, v128
	v_cndmask_b32_e32 v130, v130, v60, vcc
	v_cmp_eq_u32_e32 vcc, 27, v128
	;; [unrolled: 2-line block ×4, first 2 shown]
	v_add_co_u32_e64 v128, s[0:1], 1, v128
	v_cndmask_b32_e32 v130, v130, v63, vcc
	v_add_u32_e32 v65, 4, v65
	v_addc_co_u32_e64 v129, s[0:1], 0, v129, s[0:1]
	s_waitcnt lgkmcnt(0)
	v_fmac_f32_e32 v127, v130, v131
	s_andn2_b64 exec, exec, s[10:11]
	s_cbranch_execnz .LBB93_205
; %bb.206:
	s_or_b64 exec, exec, s[10:11]
.LBB93_207:
	s_or_b64 exec, exec, s[8:9]
.LBB93_208:
	s_or_b64 exec, exec, s[6:7]
	v_mov_b32_e32 v49, 0
	ds_read_b32 v49, v49 offset:60
	s_waitcnt lgkmcnt(0)
	v_mul_f32_e32 v49, v127, v49
.LBB93_209:
	s_or_b64 exec, exec, s[4:5]
	v_cmp_lt_u32_e64 s[0:1], 14, v0
	ds_write_b32 v126, v48
	s_waitcnt lgkmcnt(0)
	; wave barrier
	s_and_saveexec_b64 s[4:5], s[0:1]
	s_cbranch_execz .LBB93_225
; %bb.210:
	s_andn2_b64 vcc, exec, s[62:63]
	s_cbranch_vccnz .LBB93_212
; %bb.211:
	v_cmp_eq_u32_e32 vcc, 1, v0
	v_cndmask_b32_e32 v127, v34, v35, vcc
	v_cmp_eq_u32_e32 vcc, 2, v0
	v_cndmask_b32_e32 v127, v127, v36, vcc
	;; [unrolled: 2-line block ×25, first 2 shown]
	v_cmp_eq_u32_e32 vcc, 26, v0
	ds_read_b32 v128, v126
	v_cndmask_b32_e32 v127, v127, v60, vcc
	v_cmp_eq_u32_e32 vcc, 27, v0
	v_cndmask_b32_e32 v127, v127, v61, vcc
	v_cmp_eq_u32_e32 vcc, 28, v0
	;; [unrolled: 2-line block ×3, first 2 shown]
	v_cndmask_b32_e32 v127, v127, v63, vcc
	s_waitcnt lgkmcnt(0)
	v_mul_f32_e32 v127, v127, v128
	s_cbranch_execz .LBB93_213
	s_branch .LBB93_214
.LBB93_212:
                                        ; implicit-def: $vgpr127
.LBB93_213:
	ds_read_b32 v127, v126
.LBB93_214:
	s_and_saveexec_b64 s[6:7], s[2:3]
	s_cbranch_execz .LBB93_224
; %bb.215:
	v_add_u32_e32 v128, -16, v0
	v_add_u32_e32 v129, -15, v0
	v_cmp_lt_u32_e32 vcc, 6, v128
	v_mov_b32_e32 v128, 15
	s_and_saveexec_b64 s[2:3], vcc
	s_cbranch_execz .LBB93_219
; %bb.216:
	v_and_b32_e32 v128, -8, v129
	v_sub_u32_e32 v130, 0, v128
	s_mov_b64 s[8:9], 22
	s_movk_i32 s12, 0xbc
	s_mov_b64 s[10:11], 0
.LBB93_217:                             ; =>This Inner Loop Header: Depth=1
	s_add_i32 s13, s8, -7
	v_mov_b32_e32 v128, s12
	s_add_i32 s14, s8, -6
	s_set_gpr_idx_on s13, gpr_idx(SRC0)
	v_mov_b32_e32 v137, v34
	s_set_gpr_idx_off
	ds_read2_b32 v[131:132], v128 offset1:1
	s_add_i32 s15, s8, -5
	s_set_gpr_idx_on s14, gpr_idx(SRC0)
	v_mov_b32_e32 v138, v34
	s_set_gpr_idx_off
	s_add_i32 s16, s8, -4
	s_set_gpr_idx_on s15, gpr_idx(SRC0)
	v_mov_b32_e32 v139, v34
	s_set_gpr_idx_off
	ds_read2_b32 v[133:134], v128 offset0:2 offset1:3
	s_add_i32 s17, s8, -3
	s_set_gpr_idx_on s16, gpr_idx(SRC0)
	v_mov_b32_e32 v140, v34
	s_set_gpr_idx_off
	s_add_i32 s18, s8, -2
	s_set_gpr_idx_on s17, gpr_idx(SRC0)
	v_mov_b32_e32 v141, v34
	s_set_gpr_idx_off
	ds_read2_b32 v[135:136], v128 offset0:4 offset1:5
	s_add_i32 s19, s8, -1
	s_waitcnt lgkmcnt(2)
	v_fmac_f32_e32 v127, v137, v131
	s_set_gpr_idx_on s18, gpr_idx(SRC0)
	v_mov_b32_e32 v137, v34
	s_set_gpr_idx_off
	v_fmac_f32_e32 v127, v138, v132
	s_set_gpr_idx_on s19, gpr_idx(SRC0)
	v_mov_b32_e32 v138, v34
	s_set_gpr_idx_off
	ds_read2_b32 v[131:132], v128 offset0:6 offset1:7
	s_waitcnt lgkmcnt(2)
	v_fmac_f32_e32 v127, v139, v133
	s_set_gpr_idx_on s8, gpr_idx(SRC0)
	v_mov_b32_e32 v133, v34
	s_set_gpr_idx_off
	v_fmac_f32_e32 v127, v140, v134
	s_add_u32 s8, s8, 8
	s_waitcnt lgkmcnt(1)
	v_fmac_f32_e32 v127, v141, v135
	v_add_u32_e32 v128, s8, v130
	v_fmac_f32_e32 v127, v137, v136
	s_addc_u32 s9, s9, 0
	s_add_i32 s12, s12, 32
	s_add_i32 s13, s8, -7
	v_cmp_eq_u32_e32 vcc, 22, v128
	s_waitcnt lgkmcnt(0)
	v_fmac_f32_e32 v127, v138, v131
	v_mov_b32_e32 v128, s13
	s_or_b64 s[10:11], vcc, s[10:11]
	v_fmac_f32_e32 v127, v133, v132
	s_andn2_b64 exec, exec, s[10:11]
	s_cbranch_execnz .LBB93_217
; %bb.218:
	s_or_b64 exec, exec, s[10:11]
.LBB93_219:
	s_or_b64 exec, exec, s[2:3]
	v_and_b32_e32 v64, 7, v129
	v_cmp_ne_u32_e32 vcc, 0, v64
	s_and_saveexec_b64 s[8:9], vcc
	s_cbranch_execz .LBB93_223
; %bb.220:
	v_mov_b32_e32 v65, 0x80
	v_lshl_add_u32 v65, v128, 2, v65
	v_mov_b32_e32 v129, 0
	s_mov_b64 s[10:11], 0
.LBB93_221:                             ; =>This Inner Loop Header: Depth=1
	v_cmp_eq_u32_e32 vcc, 1, v128
	v_cndmask_b32_e32 v130, v34, v35, vcc
	v_add_u32_e32 v64, -1, v64
	v_cmp_eq_u32_e32 vcc, 2, v128
	v_cndmask_b32_e32 v130, v130, v36, vcc
	v_cmp_eq_u32_e32 vcc, 0, v64
	v_cmp_eq_u32_e64 s[2:3], 3, v128
	v_cndmask_b32_e64 v130, v130, v37, s[2:3]
	s_or_b64 s[10:11], vcc, s[10:11]
	v_cmp_eq_u32_e32 vcc, 4, v128
	v_cndmask_b32_e32 v130, v130, v38, vcc
	v_cmp_eq_u32_e32 vcc, 5, v128
	v_cndmask_b32_e32 v130, v130, v39, vcc
	;; [unrolled: 2-line block ×21, first 2 shown]
	v_cmp_eq_u32_e32 vcc, 25, v128
	ds_read_b32 v131, v65
	v_cndmask_b32_e32 v130, v130, v59, vcc
	v_cmp_eq_u32_e32 vcc, 26, v128
	v_cndmask_b32_e32 v130, v130, v60, vcc
	v_cmp_eq_u32_e32 vcc, 27, v128
	;; [unrolled: 2-line block ×4, first 2 shown]
	v_add_co_u32_e64 v128, s[2:3], 1, v128
	v_cndmask_b32_e32 v130, v130, v63, vcc
	v_add_u32_e32 v65, 4, v65
	v_addc_co_u32_e64 v129, s[2:3], 0, v129, s[2:3]
	s_waitcnt lgkmcnt(0)
	v_fmac_f32_e32 v127, v130, v131
	s_andn2_b64 exec, exec, s[10:11]
	s_cbranch_execnz .LBB93_221
; %bb.222:
	s_or_b64 exec, exec, s[10:11]
.LBB93_223:
	s_or_b64 exec, exec, s[8:9]
.LBB93_224:
	s_or_b64 exec, exec, s[6:7]
	v_mov_b32_e32 v48, 0
	ds_read_b32 v48, v48 offset:56
	s_waitcnt lgkmcnt(0)
	v_mul_f32_e32 v48, v127, v48
.LBB93_225:
	s_or_b64 exec, exec, s[4:5]
	v_cmp_lt_u32_e64 s[2:3], 13, v0
	ds_write_b32 v126, v47
	s_waitcnt lgkmcnt(0)
	; wave barrier
	s_and_saveexec_b64 s[4:5], s[2:3]
	s_cbranch_execz .LBB93_241
; %bb.226:
	s_andn2_b64 vcc, exec, s[62:63]
	s_cbranch_vccnz .LBB93_228
; %bb.227:
	v_cmp_eq_u32_e32 vcc, 1, v0
	v_cndmask_b32_e32 v127, v34, v35, vcc
	v_cmp_eq_u32_e32 vcc, 2, v0
	v_cndmask_b32_e32 v127, v127, v36, vcc
	;; [unrolled: 2-line block ×25, first 2 shown]
	v_cmp_eq_u32_e32 vcc, 26, v0
	ds_read_b32 v128, v126
	v_cndmask_b32_e32 v127, v127, v60, vcc
	v_cmp_eq_u32_e32 vcc, 27, v0
	v_cndmask_b32_e32 v127, v127, v61, vcc
	v_cmp_eq_u32_e32 vcc, 28, v0
	;; [unrolled: 2-line block ×3, first 2 shown]
	v_cndmask_b32_e32 v127, v127, v63, vcc
	s_waitcnt lgkmcnt(0)
	v_mul_f32_e32 v127, v127, v128
	s_cbranch_execz .LBB93_229
	s_branch .LBB93_230
.LBB93_228:
                                        ; implicit-def: $vgpr127
.LBB93_229:
	ds_read_b32 v127, v126
.LBB93_230:
	s_and_saveexec_b64 s[6:7], s[0:1]
	s_cbranch_execz .LBB93_240
; %bb.231:
	v_add_u32_e32 v128, -15, v0
	v_add_u32_e32 v129, -14, v0
	v_cmp_lt_u32_e32 vcc, 6, v128
	v_mov_b32_e32 v128, 14
	s_and_saveexec_b64 s[0:1], vcc
	s_cbranch_execz .LBB93_235
; %bb.232:
	v_and_b32_e32 v128, -8, v129
	v_sub_u32_e32 v130, 0, v128
	s_mov_b64 s[8:9], 21
	s_movk_i32 s12, 0xb8
	s_mov_b64 s[10:11], 0
.LBB93_233:                             ; =>This Inner Loop Header: Depth=1
	s_add_i32 s13, s8, -7
	v_mov_b32_e32 v128, s12
	s_add_i32 s14, s8, -6
	s_set_gpr_idx_on s13, gpr_idx(SRC0)
	v_mov_b32_e32 v139, v34
	s_set_gpr_idx_off
	ds_read2_b64 v[131:134], v128 offset1:1
	s_add_i32 s15, s8, -5
	s_set_gpr_idx_on s14, gpr_idx(SRC0)
	v_mov_b32_e32 v140, v34
	s_set_gpr_idx_off
	s_add_i32 s16, s8, -4
	s_set_gpr_idx_on s15, gpr_idx(SRC0)
	v_mov_b32_e32 v141, v34
	s_set_gpr_idx_off
	;; [unrolled: 4-line block ×4, first 2 shown]
	ds_read2_b64 v[135:138], v128 offset0:2 offset1:3
	s_add_i32 s19, s8, -1
	s_waitcnt lgkmcnt(1)
	v_fmac_f32_e32 v127, v139, v131
	s_set_gpr_idx_on s18, gpr_idx(SRC0)
	v_mov_b32_e32 v131, v34
	s_set_gpr_idx_off
	v_fmac_f32_e32 v127, v140, v132
	s_set_gpr_idx_on s19, gpr_idx(SRC0)
	v_mov_b32_e32 v132, v34
	s_set_gpr_idx_off
	v_fmac_f32_e32 v127, v141, v133
	s_set_gpr_idx_on s8, gpr_idx(SRC0)
	v_mov_b32_e32 v133, v34
	s_set_gpr_idx_off
	v_fmac_f32_e32 v127, v142, v134
	s_add_u32 s8, s8, 8
	s_waitcnt lgkmcnt(0)
	v_fmac_f32_e32 v127, v143, v135
	v_add_u32_e32 v128, s8, v130
	v_fmac_f32_e32 v127, v131, v136
	s_addc_u32 s9, s9, 0
	s_add_i32 s12, s12, 32
	s_add_i32 s13, s8, -7
	v_cmp_eq_u32_e32 vcc, 21, v128
	v_fmac_f32_e32 v127, v132, v137
	v_mov_b32_e32 v128, s13
	s_or_b64 s[10:11], vcc, s[10:11]
	v_fmac_f32_e32 v127, v133, v138
	s_andn2_b64 exec, exec, s[10:11]
	s_cbranch_execnz .LBB93_233
; %bb.234:
	s_or_b64 exec, exec, s[10:11]
.LBB93_235:
	s_or_b64 exec, exec, s[0:1]
	v_and_b32_e32 v64, 7, v129
	v_cmp_ne_u32_e32 vcc, 0, v64
	s_and_saveexec_b64 s[8:9], vcc
	s_cbranch_execz .LBB93_239
; %bb.236:
	v_mov_b32_e32 v65, 0x80
	v_lshl_add_u32 v65, v128, 2, v65
	v_mov_b32_e32 v129, 0
	s_mov_b64 s[10:11], 0
.LBB93_237:                             ; =>This Inner Loop Header: Depth=1
	v_cmp_eq_u32_e32 vcc, 1, v128
	v_cndmask_b32_e32 v130, v34, v35, vcc
	v_add_u32_e32 v64, -1, v64
	v_cmp_eq_u32_e32 vcc, 2, v128
	v_cndmask_b32_e32 v130, v130, v36, vcc
	v_cmp_eq_u32_e32 vcc, 0, v64
	v_cmp_eq_u32_e64 s[0:1], 3, v128
	v_cndmask_b32_e64 v130, v130, v37, s[0:1]
	s_or_b64 s[10:11], vcc, s[10:11]
	v_cmp_eq_u32_e32 vcc, 4, v128
	v_cndmask_b32_e32 v130, v130, v38, vcc
	v_cmp_eq_u32_e32 vcc, 5, v128
	v_cndmask_b32_e32 v130, v130, v39, vcc
	;; [unrolled: 2-line block ×21, first 2 shown]
	v_cmp_eq_u32_e32 vcc, 25, v128
	ds_read_b32 v131, v65
	v_cndmask_b32_e32 v130, v130, v59, vcc
	v_cmp_eq_u32_e32 vcc, 26, v128
	v_cndmask_b32_e32 v130, v130, v60, vcc
	v_cmp_eq_u32_e32 vcc, 27, v128
	;; [unrolled: 2-line block ×4, first 2 shown]
	v_add_co_u32_e64 v128, s[0:1], 1, v128
	v_cndmask_b32_e32 v130, v130, v63, vcc
	v_add_u32_e32 v65, 4, v65
	v_addc_co_u32_e64 v129, s[0:1], 0, v129, s[0:1]
	s_waitcnt lgkmcnt(0)
	v_fmac_f32_e32 v127, v130, v131
	s_andn2_b64 exec, exec, s[10:11]
	s_cbranch_execnz .LBB93_237
; %bb.238:
	s_or_b64 exec, exec, s[10:11]
.LBB93_239:
	s_or_b64 exec, exec, s[8:9]
.LBB93_240:
	s_or_b64 exec, exec, s[6:7]
	v_mov_b32_e32 v47, 0
	ds_read_b32 v47, v47 offset:52
	s_waitcnt lgkmcnt(0)
	v_mul_f32_e32 v47, v127, v47
.LBB93_241:
	s_or_b64 exec, exec, s[4:5]
	v_cmp_lt_u32_e64 s[0:1], 12, v0
	ds_write_b32 v126, v46
	s_waitcnt lgkmcnt(0)
	; wave barrier
	s_and_saveexec_b64 s[4:5], s[0:1]
	s_cbranch_execz .LBB93_257
; %bb.242:
	s_andn2_b64 vcc, exec, s[62:63]
	s_cbranch_vccnz .LBB93_244
; %bb.243:
	v_cmp_eq_u32_e32 vcc, 1, v0
	v_cndmask_b32_e32 v127, v34, v35, vcc
	v_cmp_eq_u32_e32 vcc, 2, v0
	v_cndmask_b32_e32 v127, v127, v36, vcc
	;; [unrolled: 2-line block ×25, first 2 shown]
	v_cmp_eq_u32_e32 vcc, 26, v0
	ds_read_b32 v128, v126
	v_cndmask_b32_e32 v127, v127, v60, vcc
	v_cmp_eq_u32_e32 vcc, 27, v0
	v_cndmask_b32_e32 v127, v127, v61, vcc
	v_cmp_eq_u32_e32 vcc, 28, v0
	;; [unrolled: 2-line block ×3, first 2 shown]
	v_cndmask_b32_e32 v127, v127, v63, vcc
	s_waitcnt lgkmcnt(0)
	v_mul_f32_e32 v127, v127, v128
	s_cbranch_execz .LBB93_245
	s_branch .LBB93_246
.LBB93_244:
                                        ; implicit-def: $vgpr127
.LBB93_245:
	ds_read_b32 v127, v126
.LBB93_246:
	s_and_saveexec_b64 s[6:7], s[2:3]
	s_cbranch_execz .LBB93_256
; %bb.247:
	v_add_u32_e32 v128, -14, v0
	v_add_u32_e32 v129, -13, v0
	v_cmp_lt_u32_e32 vcc, 6, v128
	v_mov_b32_e32 v128, 13
	s_and_saveexec_b64 s[2:3], vcc
	s_cbranch_execz .LBB93_251
; %bb.248:
	v_and_b32_e32 v128, -8, v129
	v_sub_u32_e32 v130, 0, v128
	s_mov_b64 s[8:9], 20
	s_movk_i32 s12, 0xb4
	s_mov_b64 s[10:11], 0
.LBB93_249:                             ; =>This Inner Loop Header: Depth=1
	s_add_i32 s13, s8, -7
	v_mov_b32_e32 v128, s12
	s_add_i32 s14, s8, -6
	s_set_gpr_idx_on s13, gpr_idx(SRC0)
	v_mov_b32_e32 v137, v34
	s_set_gpr_idx_off
	ds_read2_b32 v[131:132], v128 offset1:1
	s_add_i32 s15, s8, -5
	s_set_gpr_idx_on s14, gpr_idx(SRC0)
	v_mov_b32_e32 v138, v34
	s_set_gpr_idx_off
	s_add_i32 s16, s8, -4
	s_set_gpr_idx_on s15, gpr_idx(SRC0)
	v_mov_b32_e32 v139, v34
	s_set_gpr_idx_off
	ds_read2_b32 v[133:134], v128 offset0:2 offset1:3
	s_add_i32 s17, s8, -3
	s_set_gpr_idx_on s16, gpr_idx(SRC0)
	v_mov_b32_e32 v140, v34
	s_set_gpr_idx_off
	s_add_i32 s18, s8, -2
	s_set_gpr_idx_on s17, gpr_idx(SRC0)
	v_mov_b32_e32 v141, v34
	s_set_gpr_idx_off
	ds_read2_b32 v[135:136], v128 offset0:4 offset1:5
	s_add_i32 s19, s8, -1
	s_waitcnt lgkmcnt(2)
	v_fmac_f32_e32 v127, v137, v131
	s_set_gpr_idx_on s18, gpr_idx(SRC0)
	v_mov_b32_e32 v137, v34
	s_set_gpr_idx_off
	v_fmac_f32_e32 v127, v138, v132
	s_set_gpr_idx_on s19, gpr_idx(SRC0)
	v_mov_b32_e32 v138, v34
	s_set_gpr_idx_off
	ds_read2_b32 v[131:132], v128 offset0:6 offset1:7
	s_waitcnt lgkmcnt(2)
	v_fmac_f32_e32 v127, v139, v133
	s_set_gpr_idx_on s8, gpr_idx(SRC0)
	v_mov_b32_e32 v133, v34
	s_set_gpr_idx_off
	v_fmac_f32_e32 v127, v140, v134
	s_add_u32 s8, s8, 8
	s_waitcnt lgkmcnt(1)
	v_fmac_f32_e32 v127, v141, v135
	v_add_u32_e32 v128, s8, v130
	v_fmac_f32_e32 v127, v137, v136
	s_addc_u32 s9, s9, 0
	s_add_i32 s12, s12, 32
	s_add_i32 s13, s8, -7
	v_cmp_eq_u32_e32 vcc, 20, v128
	s_waitcnt lgkmcnt(0)
	v_fmac_f32_e32 v127, v138, v131
	v_mov_b32_e32 v128, s13
	s_or_b64 s[10:11], vcc, s[10:11]
	v_fmac_f32_e32 v127, v133, v132
	s_andn2_b64 exec, exec, s[10:11]
	s_cbranch_execnz .LBB93_249
; %bb.250:
	s_or_b64 exec, exec, s[10:11]
.LBB93_251:
	s_or_b64 exec, exec, s[2:3]
	v_and_b32_e32 v64, 7, v129
	v_cmp_ne_u32_e32 vcc, 0, v64
	s_and_saveexec_b64 s[8:9], vcc
	s_cbranch_execz .LBB93_255
; %bb.252:
	v_mov_b32_e32 v65, 0x80
	v_lshl_add_u32 v65, v128, 2, v65
	v_mov_b32_e32 v129, 0
	s_mov_b64 s[10:11], 0
.LBB93_253:                             ; =>This Inner Loop Header: Depth=1
	v_cmp_eq_u32_e32 vcc, 1, v128
	v_cndmask_b32_e32 v130, v34, v35, vcc
	v_add_u32_e32 v64, -1, v64
	v_cmp_eq_u32_e32 vcc, 2, v128
	v_cndmask_b32_e32 v130, v130, v36, vcc
	v_cmp_eq_u32_e32 vcc, 0, v64
	v_cmp_eq_u32_e64 s[2:3], 3, v128
	v_cndmask_b32_e64 v130, v130, v37, s[2:3]
	s_or_b64 s[10:11], vcc, s[10:11]
	v_cmp_eq_u32_e32 vcc, 4, v128
	v_cndmask_b32_e32 v130, v130, v38, vcc
	v_cmp_eq_u32_e32 vcc, 5, v128
	v_cndmask_b32_e32 v130, v130, v39, vcc
	;; [unrolled: 2-line block ×21, first 2 shown]
	v_cmp_eq_u32_e32 vcc, 25, v128
	ds_read_b32 v131, v65
	v_cndmask_b32_e32 v130, v130, v59, vcc
	v_cmp_eq_u32_e32 vcc, 26, v128
	v_cndmask_b32_e32 v130, v130, v60, vcc
	v_cmp_eq_u32_e32 vcc, 27, v128
	;; [unrolled: 2-line block ×4, first 2 shown]
	v_add_co_u32_e64 v128, s[2:3], 1, v128
	v_cndmask_b32_e32 v130, v130, v63, vcc
	v_add_u32_e32 v65, 4, v65
	v_addc_co_u32_e64 v129, s[2:3], 0, v129, s[2:3]
	s_waitcnt lgkmcnt(0)
	v_fmac_f32_e32 v127, v130, v131
	s_andn2_b64 exec, exec, s[10:11]
	s_cbranch_execnz .LBB93_253
; %bb.254:
	s_or_b64 exec, exec, s[10:11]
.LBB93_255:
	s_or_b64 exec, exec, s[8:9]
.LBB93_256:
	s_or_b64 exec, exec, s[6:7]
	v_mov_b32_e32 v46, 0
	ds_read_b32 v46, v46 offset:48
	s_waitcnt lgkmcnt(0)
	v_mul_f32_e32 v46, v127, v46
.LBB93_257:
	s_or_b64 exec, exec, s[4:5]
	v_cmp_lt_u32_e64 s[2:3], 11, v0
	ds_write_b32 v126, v45
	s_waitcnt lgkmcnt(0)
	; wave barrier
	s_and_saveexec_b64 s[4:5], s[2:3]
	s_cbranch_execz .LBB93_273
; %bb.258:
	s_andn2_b64 vcc, exec, s[62:63]
	s_cbranch_vccnz .LBB93_260
; %bb.259:
	v_cmp_eq_u32_e32 vcc, 1, v0
	v_cndmask_b32_e32 v127, v34, v35, vcc
	v_cmp_eq_u32_e32 vcc, 2, v0
	v_cndmask_b32_e32 v127, v127, v36, vcc
	;; [unrolled: 2-line block ×25, first 2 shown]
	v_cmp_eq_u32_e32 vcc, 26, v0
	ds_read_b32 v128, v126
	v_cndmask_b32_e32 v127, v127, v60, vcc
	v_cmp_eq_u32_e32 vcc, 27, v0
	v_cndmask_b32_e32 v127, v127, v61, vcc
	v_cmp_eq_u32_e32 vcc, 28, v0
	;; [unrolled: 2-line block ×3, first 2 shown]
	v_cndmask_b32_e32 v127, v127, v63, vcc
	s_waitcnt lgkmcnt(0)
	v_mul_f32_e32 v127, v127, v128
	s_cbranch_execz .LBB93_261
	s_branch .LBB93_262
.LBB93_260:
                                        ; implicit-def: $vgpr127
.LBB93_261:
	ds_read_b32 v127, v126
.LBB93_262:
	s_and_saveexec_b64 s[6:7], s[0:1]
	s_cbranch_execz .LBB93_272
; %bb.263:
	v_add_u32_e32 v128, -13, v0
	v_add_u32_e32 v129, -12, v0
	v_cmp_lt_u32_e32 vcc, 6, v128
	v_mov_b32_e32 v128, 12
	s_and_saveexec_b64 s[0:1], vcc
	s_cbranch_execz .LBB93_267
; %bb.264:
	v_and_b32_e32 v128, -8, v129
	v_sub_u32_e32 v130, 0, v128
	s_mov_b64 s[8:9], 19
	s_movk_i32 s12, 0xb0
	s_mov_b64 s[10:11], 0
.LBB93_265:                             ; =>This Inner Loop Header: Depth=1
	s_add_i32 s13, s8, -7
	v_mov_b32_e32 v128, s12
	s_add_i32 s14, s8, -6
	s_set_gpr_idx_on s13, gpr_idx(SRC0)
	v_mov_b32_e32 v139, v34
	s_set_gpr_idx_off
	s_add_i32 s15, s8, -5
	ds_read_b128 v[131:134], v128
	ds_read_b128 v[135:138], v128 offset:16
	s_set_gpr_idx_on s14, gpr_idx(SRC0)
	v_mov_b32_e32 v128, v34
	s_set_gpr_idx_off
	s_add_i32 s16, s8, -4
	s_set_gpr_idx_on s15, gpr_idx(SRC0)
	v_mov_b32_e32 v140, v34
	s_set_gpr_idx_off
	s_add_i32 s17, s8, -3
	;; [unrolled: 4-line block ×4, first 2 shown]
	s_waitcnt lgkmcnt(1)
	v_fmac_f32_e32 v127, v139, v131
	s_set_gpr_idx_on s18, gpr_idx(SRC0)
	v_mov_b32_e32 v131, v34
	s_set_gpr_idx_off
	v_fmac_f32_e32 v127, v128, v132
	s_set_gpr_idx_on s19, gpr_idx(SRC0)
	v_mov_b32_e32 v132, v34
	s_set_gpr_idx_off
	;; [unrolled: 4-line block ×3, first 2 shown]
	v_fmac_f32_e32 v127, v141, v134
	s_add_u32 s8, s8, 8
	s_waitcnt lgkmcnt(0)
	v_fmac_f32_e32 v127, v142, v135
	v_add_u32_e32 v128, s8, v130
	v_fmac_f32_e32 v127, v131, v136
	s_addc_u32 s9, s9, 0
	s_add_i32 s12, s12, 32
	s_add_i32 s13, s8, -7
	v_cmp_eq_u32_e32 vcc, 19, v128
	v_fmac_f32_e32 v127, v132, v137
	v_mov_b32_e32 v128, s13
	s_or_b64 s[10:11], vcc, s[10:11]
	v_fmac_f32_e32 v127, v133, v138
	s_andn2_b64 exec, exec, s[10:11]
	s_cbranch_execnz .LBB93_265
; %bb.266:
	s_or_b64 exec, exec, s[10:11]
.LBB93_267:
	s_or_b64 exec, exec, s[0:1]
	v_and_b32_e32 v64, 7, v129
	v_cmp_ne_u32_e32 vcc, 0, v64
	s_and_saveexec_b64 s[8:9], vcc
	s_cbranch_execz .LBB93_271
; %bb.268:
	v_mov_b32_e32 v65, 0x80
	v_lshl_add_u32 v65, v128, 2, v65
	v_mov_b32_e32 v129, 0
	s_mov_b64 s[10:11], 0
.LBB93_269:                             ; =>This Inner Loop Header: Depth=1
	v_cmp_eq_u32_e32 vcc, 1, v128
	v_cndmask_b32_e32 v130, v34, v35, vcc
	v_add_u32_e32 v64, -1, v64
	v_cmp_eq_u32_e32 vcc, 2, v128
	v_cndmask_b32_e32 v130, v130, v36, vcc
	v_cmp_eq_u32_e32 vcc, 0, v64
	v_cmp_eq_u32_e64 s[0:1], 3, v128
	v_cndmask_b32_e64 v130, v130, v37, s[0:1]
	s_or_b64 s[10:11], vcc, s[10:11]
	v_cmp_eq_u32_e32 vcc, 4, v128
	v_cndmask_b32_e32 v130, v130, v38, vcc
	v_cmp_eq_u32_e32 vcc, 5, v128
	v_cndmask_b32_e32 v130, v130, v39, vcc
	;; [unrolled: 2-line block ×21, first 2 shown]
	v_cmp_eq_u32_e32 vcc, 25, v128
	ds_read_b32 v131, v65
	v_cndmask_b32_e32 v130, v130, v59, vcc
	v_cmp_eq_u32_e32 vcc, 26, v128
	v_cndmask_b32_e32 v130, v130, v60, vcc
	v_cmp_eq_u32_e32 vcc, 27, v128
	;; [unrolled: 2-line block ×4, first 2 shown]
	v_add_co_u32_e64 v128, s[0:1], 1, v128
	v_cndmask_b32_e32 v130, v130, v63, vcc
	v_add_u32_e32 v65, 4, v65
	v_addc_co_u32_e64 v129, s[0:1], 0, v129, s[0:1]
	s_waitcnt lgkmcnt(0)
	v_fmac_f32_e32 v127, v130, v131
	s_andn2_b64 exec, exec, s[10:11]
	s_cbranch_execnz .LBB93_269
; %bb.270:
	s_or_b64 exec, exec, s[10:11]
.LBB93_271:
	s_or_b64 exec, exec, s[8:9]
.LBB93_272:
	s_or_b64 exec, exec, s[6:7]
	v_mov_b32_e32 v45, 0
	ds_read_b32 v45, v45 offset:44
	s_waitcnt lgkmcnt(0)
	v_mul_f32_e32 v45, v127, v45
.LBB93_273:
	s_or_b64 exec, exec, s[4:5]
	v_cmp_lt_u32_e64 s[0:1], 10, v0
	ds_write_b32 v126, v44
	s_waitcnt lgkmcnt(0)
	; wave barrier
	s_and_saveexec_b64 s[4:5], s[0:1]
	s_cbranch_execz .LBB93_289
; %bb.274:
	s_andn2_b64 vcc, exec, s[62:63]
	s_cbranch_vccnz .LBB93_276
; %bb.275:
	v_cmp_eq_u32_e32 vcc, 1, v0
	v_cndmask_b32_e32 v127, v34, v35, vcc
	v_cmp_eq_u32_e32 vcc, 2, v0
	v_cndmask_b32_e32 v127, v127, v36, vcc
	v_cmp_eq_u32_e32 vcc, 3, v0
	v_cndmask_b32_e32 v127, v127, v37, vcc
	v_cmp_eq_u32_e32 vcc, 4, v0
	v_cndmask_b32_e32 v127, v127, v38, vcc
	v_cmp_eq_u32_e32 vcc, 5, v0
	v_cndmask_b32_e32 v127, v127, v39, vcc
	v_cmp_eq_u32_e32 vcc, 6, v0
	v_cndmask_b32_e32 v127, v127, v40, vcc
	v_cmp_eq_u32_e32 vcc, 7, v0
	v_cndmask_b32_e32 v127, v127, v41, vcc
	v_cmp_eq_u32_e32 vcc, 8, v0
	v_cndmask_b32_e32 v127, v127, v42, vcc
	v_cmp_eq_u32_e32 vcc, 9, v0
	v_cndmask_b32_e32 v127, v127, v43, vcc
	v_cmp_eq_u32_e32 vcc, 10, v0
	v_cndmask_b32_e32 v127, v127, v44, vcc
	v_cmp_eq_u32_e32 vcc, 11, v0
	v_cndmask_b32_e32 v127, v127, v45, vcc
	v_cmp_eq_u32_e32 vcc, 12, v0
	v_cndmask_b32_e32 v127, v127, v46, vcc
	v_cmp_eq_u32_e32 vcc, 13, v0
	v_cndmask_b32_e32 v127, v127, v47, vcc
	v_cmp_eq_u32_e32 vcc, 14, v0
	v_cndmask_b32_e32 v127, v127, v48, vcc
	v_cmp_eq_u32_e32 vcc, 15, v0
	v_cndmask_b32_e32 v127, v127, v49, vcc
	v_cmp_eq_u32_e32 vcc, 16, v0
	v_cndmask_b32_e32 v127, v127, v50, vcc
	v_cmp_eq_u32_e32 vcc, 17, v0
	v_cndmask_b32_e32 v127, v127, v51, vcc
	v_cmp_eq_u32_e32 vcc, 18, v0
	v_cndmask_b32_e32 v127, v127, v52, vcc
	v_cmp_eq_u32_e32 vcc, 19, v0
	v_cndmask_b32_e32 v127, v127, v53, vcc
	v_cmp_eq_u32_e32 vcc, 20, v0
	v_cndmask_b32_e32 v127, v127, v54, vcc
	v_cmp_eq_u32_e32 vcc, 21, v0
	v_cndmask_b32_e32 v127, v127, v55, vcc
	v_cmp_eq_u32_e32 vcc, 22, v0
	v_cndmask_b32_e32 v127, v127, v56, vcc
	v_cmp_eq_u32_e32 vcc, 23, v0
	v_cndmask_b32_e32 v127, v127, v57, vcc
	v_cmp_eq_u32_e32 vcc, 24, v0
	v_cndmask_b32_e32 v127, v127, v58, vcc
	v_cmp_eq_u32_e32 vcc, 25, v0
	v_cndmask_b32_e32 v127, v127, v59, vcc
	v_cmp_eq_u32_e32 vcc, 26, v0
	ds_read_b32 v128, v126
	v_cndmask_b32_e32 v127, v127, v60, vcc
	v_cmp_eq_u32_e32 vcc, 27, v0
	v_cndmask_b32_e32 v127, v127, v61, vcc
	v_cmp_eq_u32_e32 vcc, 28, v0
	;; [unrolled: 2-line block ×3, first 2 shown]
	v_cndmask_b32_e32 v127, v127, v63, vcc
	s_waitcnt lgkmcnt(0)
	v_mul_f32_e32 v127, v127, v128
	s_cbranch_execz .LBB93_277
	s_branch .LBB93_278
.LBB93_276:
                                        ; implicit-def: $vgpr127
.LBB93_277:
	ds_read_b32 v127, v126
.LBB93_278:
	s_and_saveexec_b64 s[6:7], s[2:3]
	s_cbranch_execz .LBB93_288
; %bb.279:
	v_add_u32_e32 v128, -12, v0
	v_add_u32_e32 v129, -11, v0
	v_cmp_lt_u32_e32 vcc, 6, v128
	v_mov_b32_e32 v128, 11
	s_and_saveexec_b64 s[2:3], vcc
	s_cbranch_execz .LBB93_283
; %bb.280:
	v_and_b32_e32 v128, -8, v129
	v_sub_u32_e32 v130, 0, v128
	s_mov_b64 s[8:9], 18
	s_movk_i32 s12, 0xac
	s_mov_b64 s[10:11], 0
.LBB93_281:                             ; =>This Inner Loop Header: Depth=1
	s_add_i32 s13, s8, -7
	v_mov_b32_e32 v128, s12
	s_add_i32 s14, s8, -6
	s_set_gpr_idx_on s13, gpr_idx(SRC0)
	v_mov_b32_e32 v137, v34
	s_set_gpr_idx_off
	ds_read2_b32 v[131:132], v128 offset1:1
	s_add_i32 s15, s8, -5
	s_set_gpr_idx_on s14, gpr_idx(SRC0)
	v_mov_b32_e32 v138, v34
	s_set_gpr_idx_off
	s_add_i32 s16, s8, -4
	s_set_gpr_idx_on s15, gpr_idx(SRC0)
	v_mov_b32_e32 v139, v34
	s_set_gpr_idx_off
	ds_read2_b32 v[133:134], v128 offset0:2 offset1:3
	s_add_i32 s17, s8, -3
	s_set_gpr_idx_on s16, gpr_idx(SRC0)
	v_mov_b32_e32 v140, v34
	s_set_gpr_idx_off
	s_add_i32 s18, s8, -2
	s_set_gpr_idx_on s17, gpr_idx(SRC0)
	v_mov_b32_e32 v141, v34
	s_set_gpr_idx_off
	ds_read2_b32 v[135:136], v128 offset0:4 offset1:5
	s_add_i32 s19, s8, -1
	s_waitcnt lgkmcnt(2)
	v_fmac_f32_e32 v127, v137, v131
	s_set_gpr_idx_on s18, gpr_idx(SRC0)
	v_mov_b32_e32 v137, v34
	s_set_gpr_idx_off
	v_fmac_f32_e32 v127, v138, v132
	s_set_gpr_idx_on s19, gpr_idx(SRC0)
	v_mov_b32_e32 v138, v34
	s_set_gpr_idx_off
	ds_read2_b32 v[131:132], v128 offset0:6 offset1:7
	s_waitcnt lgkmcnt(2)
	v_fmac_f32_e32 v127, v139, v133
	s_set_gpr_idx_on s8, gpr_idx(SRC0)
	v_mov_b32_e32 v133, v34
	s_set_gpr_idx_off
	v_fmac_f32_e32 v127, v140, v134
	s_add_u32 s8, s8, 8
	s_waitcnt lgkmcnt(1)
	v_fmac_f32_e32 v127, v141, v135
	v_add_u32_e32 v128, s8, v130
	v_fmac_f32_e32 v127, v137, v136
	s_addc_u32 s9, s9, 0
	s_add_i32 s12, s12, 32
	s_add_i32 s13, s8, -7
	v_cmp_eq_u32_e32 vcc, 18, v128
	s_waitcnt lgkmcnt(0)
	v_fmac_f32_e32 v127, v138, v131
	v_mov_b32_e32 v128, s13
	s_or_b64 s[10:11], vcc, s[10:11]
	v_fmac_f32_e32 v127, v133, v132
	s_andn2_b64 exec, exec, s[10:11]
	s_cbranch_execnz .LBB93_281
; %bb.282:
	s_or_b64 exec, exec, s[10:11]
.LBB93_283:
	s_or_b64 exec, exec, s[2:3]
	v_and_b32_e32 v64, 7, v129
	v_cmp_ne_u32_e32 vcc, 0, v64
	s_and_saveexec_b64 s[8:9], vcc
	s_cbranch_execz .LBB93_287
; %bb.284:
	v_mov_b32_e32 v65, 0x80
	v_lshl_add_u32 v65, v128, 2, v65
	v_mov_b32_e32 v129, 0
	s_mov_b64 s[10:11], 0
.LBB93_285:                             ; =>This Inner Loop Header: Depth=1
	v_cmp_eq_u32_e32 vcc, 1, v128
	v_cndmask_b32_e32 v130, v34, v35, vcc
	v_add_u32_e32 v64, -1, v64
	v_cmp_eq_u32_e32 vcc, 2, v128
	v_cndmask_b32_e32 v130, v130, v36, vcc
	v_cmp_eq_u32_e32 vcc, 0, v64
	v_cmp_eq_u32_e64 s[2:3], 3, v128
	v_cndmask_b32_e64 v130, v130, v37, s[2:3]
	s_or_b64 s[10:11], vcc, s[10:11]
	v_cmp_eq_u32_e32 vcc, 4, v128
	v_cndmask_b32_e32 v130, v130, v38, vcc
	v_cmp_eq_u32_e32 vcc, 5, v128
	v_cndmask_b32_e32 v130, v130, v39, vcc
	;; [unrolled: 2-line block ×21, first 2 shown]
	v_cmp_eq_u32_e32 vcc, 25, v128
	ds_read_b32 v131, v65
	v_cndmask_b32_e32 v130, v130, v59, vcc
	v_cmp_eq_u32_e32 vcc, 26, v128
	v_cndmask_b32_e32 v130, v130, v60, vcc
	v_cmp_eq_u32_e32 vcc, 27, v128
	;; [unrolled: 2-line block ×4, first 2 shown]
	v_add_co_u32_e64 v128, s[2:3], 1, v128
	v_cndmask_b32_e32 v130, v130, v63, vcc
	v_add_u32_e32 v65, 4, v65
	v_addc_co_u32_e64 v129, s[2:3], 0, v129, s[2:3]
	s_waitcnt lgkmcnt(0)
	v_fmac_f32_e32 v127, v130, v131
	s_andn2_b64 exec, exec, s[10:11]
	s_cbranch_execnz .LBB93_285
; %bb.286:
	s_or_b64 exec, exec, s[10:11]
.LBB93_287:
	s_or_b64 exec, exec, s[8:9]
.LBB93_288:
	s_or_b64 exec, exec, s[6:7]
	v_mov_b32_e32 v44, 0
	ds_read_b32 v44, v44 offset:40
	s_waitcnt lgkmcnt(0)
	v_mul_f32_e32 v44, v127, v44
.LBB93_289:
	s_or_b64 exec, exec, s[4:5]
	v_cmp_lt_u32_e64 s[2:3], 9, v0
	ds_write_b32 v126, v43
	s_waitcnt lgkmcnt(0)
	; wave barrier
	s_and_saveexec_b64 s[4:5], s[2:3]
	s_cbranch_execz .LBB93_305
; %bb.290:
	s_andn2_b64 vcc, exec, s[62:63]
	s_cbranch_vccnz .LBB93_292
; %bb.291:
	v_cmp_eq_u32_e32 vcc, 1, v0
	v_cndmask_b32_e32 v127, v34, v35, vcc
	v_cmp_eq_u32_e32 vcc, 2, v0
	v_cndmask_b32_e32 v127, v127, v36, vcc
	;; [unrolled: 2-line block ×25, first 2 shown]
	v_cmp_eq_u32_e32 vcc, 26, v0
	ds_read_b32 v128, v126
	v_cndmask_b32_e32 v127, v127, v60, vcc
	v_cmp_eq_u32_e32 vcc, 27, v0
	v_cndmask_b32_e32 v127, v127, v61, vcc
	v_cmp_eq_u32_e32 vcc, 28, v0
	;; [unrolled: 2-line block ×3, first 2 shown]
	v_cndmask_b32_e32 v127, v127, v63, vcc
	s_waitcnt lgkmcnt(0)
	v_mul_f32_e32 v127, v127, v128
	s_cbranch_execz .LBB93_293
	s_branch .LBB93_294
.LBB93_292:
                                        ; implicit-def: $vgpr127
.LBB93_293:
	ds_read_b32 v127, v126
.LBB93_294:
	s_and_saveexec_b64 s[6:7], s[0:1]
	s_cbranch_execz .LBB93_304
; %bb.295:
	v_add_u32_e32 v128, -11, v0
	v_add_u32_e32 v129, -10, v0
	v_cmp_lt_u32_e32 vcc, 6, v128
	v_mov_b32_e32 v128, 10
	s_and_saveexec_b64 s[0:1], vcc
	s_cbranch_execz .LBB93_299
; %bb.296:
	v_and_b32_e32 v128, -8, v129
	v_sub_u32_e32 v130, 0, v128
	s_mov_b64 s[8:9], 17
	s_movk_i32 s12, 0xa8
	s_mov_b64 s[10:11], 0
.LBB93_297:                             ; =>This Inner Loop Header: Depth=1
	s_add_i32 s13, s8, -7
	v_mov_b32_e32 v128, s12
	s_add_i32 s14, s8, -6
	s_set_gpr_idx_on s13, gpr_idx(SRC0)
	v_mov_b32_e32 v139, v34
	s_set_gpr_idx_off
	ds_read2_b64 v[131:134], v128 offset1:1
	s_add_i32 s15, s8, -5
	s_set_gpr_idx_on s14, gpr_idx(SRC0)
	v_mov_b32_e32 v140, v34
	s_set_gpr_idx_off
	s_add_i32 s16, s8, -4
	s_set_gpr_idx_on s15, gpr_idx(SRC0)
	v_mov_b32_e32 v141, v34
	s_set_gpr_idx_off
	;; [unrolled: 4-line block ×4, first 2 shown]
	ds_read2_b64 v[135:138], v128 offset0:2 offset1:3
	s_add_i32 s19, s8, -1
	s_waitcnt lgkmcnt(1)
	v_fmac_f32_e32 v127, v139, v131
	s_set_gpr_idx_on s18, gpr_idx(SRC0)
	v_mov_b32_e32 v131, v34
	s_set_gpr_idx_off
	v_fmac_f32_e32 v127, v140, v132
	s_set_gpr_idx_on s19, gpr_idx(SRC0)
	v_mov_b32_e32 v132, v34
	s_set_gpr_idx_off
	;; [unrolled: 4-line block ×3, first 2 shown]
	v_fmac_f32_e32 v127, v142, v134
	s_add_u32 s8, s8, 8
	s_waitcnt lgkmcnt(0)
	v_fmac_f32_e32 v127, v143, v135
	v_add_u32_e32 v128, s8, v130
	v_fmac_f32_e32 v127, v131, v136
	s_addc_u32 s9, s9, 0
	s_add_i32 s12, s12, 32
	s_add_i32 s13, s8, -7
	v_cmp_eq_u32_e32 vcc, 17, v128
	v_fmac_f32_e32 v127, v132, v137
	v_mov_b32_e32 v128, s13
	s_or_b64 s[10:11], vcc, s[10:11]
	v_fmac_f32_e32 v127, v133, v138
	s_andn2_b64 exec, exec, s[10:11]
	s_cbranch_execnz .LBB93_297
; %bb.298:
	s_or_b64 exec, exec, s[10:11]
.LBB93_299:
	s_or_b64 exec, exec, s[0:1]
	v_and_b32_e32 v64, 7, v129
	v_cmp_ne_u32_e32 vcc, 0, v64
	s_and_saveexec_b64 s[8:9], vcc
	s_cbranch_execz .LBB93_303
; %bb.300:
	v_mov_b32_e32 v65, 0x80
	v_lshl_add_u32 v65, v128, 2, v65
	v_mov_b32_e32 v129, 0
	s_mov_b64 s[10:11], 0
.LBB93_301:                             ; =>This Inner Loop Header: Depth=1
	v_cmp_eq_u32_e32 vcc, 1, v128
	v_cndmask_b32_e32 v130, v34, v35, vcc
	v_add_u32_e32 v64, -1, v64
	v_cmp_eq_u32_e32 vcc, 2, v128
	v_cndmask_b32_e32 v130, v130, v36, vcc
	v_cmp_eq_u32_e32 vcc, 0, v64
	v_cmp_eq_u32_e64 s[0:1], 3, v128
	v_cndmask_b32_e64 v130, v130, v37, s[0:1]
	s_or_b64 s[10:11], vcc, s[10:11]
	v_cmp_eq_u32_e32 vcc, 4, v128
	v_cndmask_b32_e32 v130, v130, v38, vcc
	v_cmp_eq_u32_e32 vcc, 5, v128
	v_cndmask_b32_e32 v130, v130, v39, vcc
	;; [unrolled: 2-line block ×21, first 2 shown]
	v_cmp_eq_u32_e32 vcc, 25, v128
	ds_read_b32 v131, v65
	v_cndmask_b32_e32 v130, v130, v59, vcc
	v_cmp_eq_u32_e32 vcc, 26, v128
	v_cndmask_b32_e32 v130, v130, v60, vcc
	v_cmp_eq_u32_e32 vcc, 27, v128
	;; [unrolled: 2-line block ×4, first 2 shown]
	v_add_co_u32_e64 v128, s[0:1], 1, v128
	v_cndmask_b32_e32 v130, v130, v63, vcc
	v_add_u32_e32 v65, 4, v65
	v_addc_co_u32_e64 v129, s[0:1], 0, v129, s[0:1]
	s_waitcnt lgkmcnt(0)
	v_fmac_f32_e32 v127, v130, v131
	s_andn2_b64 exec, exec, s[10:11]
	s_cbranch_execnz .LBB93_301
; %bb.302:
	s_or_b64 exec, exec, s[10:11]
.LBB93_303:
	s_or_b64 exec, exec, s[8:9]
.LBB93_304:
	s_or_b64 exec, exec, s[6:7]
	v_mov_b32_e32 v43, 0
	ds_read_b32 v43, v43 offset:36
	s_waitcnt lgkmcnt(0)
	v_mul_f32_e32 v43, v127, v43
.LBB93_305:
	s_or_b64 exec, exec, s[4:5]
	v_cmp_lt_u32_e64 s[0:1], 8, v0
	ds_write_b32 v126, v42
	s_waitcnt lgkmcnt(0)
	; wave barrier
	s_and_saveexec_b64 s[4:5], s[0:1]
	s_cbranch_execz .LBB93_321
; %bb.306:
	s_andn2_b64 vcc, exec, s[62:63]
	s_cbranch_vccnz .LBB93_308
; %bb.307:
	v_cmp_eq_u32_e32 vcc, 1, v0
	v_cndmask_b32_e32 v127, v34, v35, vcc
	v_cmp_eq_u32_e32 vcc, 2, v0
	v_cndmask_b32_e32 v127, v127, v36, vcc
	;; [unrolled: 2-line block ×25, first 2 shown]
	v_cmp_eq_u32_e32 vcc, 26, v0
	ds_read_b32 v128, v126
	v_cndmask_b32_e32 v127, v127, v60, vcc
	v_cmp_eq_u32_e32 vcc, 27, v0
	v_cndmask_b32_e32 v127, v127, v61, vcc
	v_cmp_eq_u32_e32 vcc, 28, v0
	;; [unrolled: 2-line block ×3, first 2 shown]
	v_cndmask_b32_e32 v127, v127, v63, vcc
	s_waitcnt lgkmcnt(0)
	v_mul_f32_e32 v127, v127, v128
	s_cbranch_execz .LBB93_309
	s_branch .LBB93_310
.LBB93_308:
                                        ; implicit-def: $vgpr127
.LBB93_309:
	ds_read_b32 v127, v126
.LBB93_310:
	s_and_saveexec_b64 s[6:7], s[2:3]
	s_cbranch_execz .LBB93_320
; %bb.311:
	v_add_u32_e32 v128, -10, v0
	v_add_u32_e32 v129, -9, v0
	v_cmp_lt_u32_e32 vcc, 6, v128
	v_mov_b32_e32 v128, 9
	s_and_saveexec_b64 s[2:3], vcc
	s_cbranch_execz .LBB93_315
; %bb.312:
	v_and_b32_e32 v128, -8, v129
	v_sub_u32_e32 v130, 0, v128
	s_mov_b64 s[8:9], 16
	s_movk_i32 s12, 0xa4
	s_mov_b64 s[10:11], 0
.LBB93_313:                             ; =>This Inner Loop Header: Depth=1
	s_add_i32 s13, s8, -7
	v_mov_b32_e32 v128, s12
	s_add_i32 s14, s8, -6
	s_set_gpr_idx_on s13, gpr_idx(SRC0)
	v_mov_b32_e32 v137, v34
	s_set_gpr_idx_off
	ds_read2_b32 v[131:132], v128 offset1:1
	s_add_i32 s15, s8, -5
	s_set_gpr_idx_on s14, gpr_idx(SRC0)
	v_mov_b32_e32 v138, v34
	s_set_gpr_idx_off
	s_add_i32 s16, s8, -4
	s_set_gpr_idx_on s15, gpr_idx(SRC0)
	v_mov_b32_e32 v139, v34
	s_set_gpr_idx_off
	ds_read2_b32 v[133:134], v128 offset0:2 offset1:3
	s_add_i32 s17, s8, -3
	s_set_gpr_idx_on s16, gpr_idx(SRC0)
	v_mov_b32_e32 v140, v34
	s_set_gpr_idx_off
	s_add_i32 s18, s8, -2
	s_set_gpr_idx_on s17, gpr_idx(SRC0)
	v_mov_b32_e32 v141, v34
	s_set_gpr_idx_off
	ds_read2_b32 v[135:136], v128 offset0:4 offset1:5
	s_add_i32 s19, s8, -1
	s_waitcnt lgkmcnt(2)
	v_fmac_f32_e32 v127, v137, v131
	s_set_gpr_idx_on s18, gpr_idx(SRC0)
	v_mov_b32_e32 v137, v34
	s_set_gpr_idx_off
	v_fmac_f32_e32 v127, v138, v132
	s_set_gpr_idx_on s19, gpr_idx(SRC0)
	v_mov_b32_e32 v138, v34
	s_set_gpr_idx_off
	ds_read2_b32 v[131:132], v128 offset0:6 offset1:7
	s_waitcnt lgkmcnt(2)
	v_fmac_f32_e32 v127, v139, v133
	s_set_gpr_idx_on s8, gpr_idx(SRC0)
	v_mov_b32_e32 v133, v34
	s_set_gpr_idx_off
	v_fmac_f32_e32 v127, v140, v134
	s_add_u32 s8, s8, 8
	s_waitcnt lgkmcnt(1)
	v_fmac_f32_e32 v127, v141, v135
	v_add_u32_e32 v128, s8, v130
	v_fmac_f32_e32 v127, v137, v136
	s_addc_u32 s9, s9, 0
	s_add_i32 s12, s12, 32
	s_add_i32 s13, s8, -7
	v_cmp_eq_u32_e32 vcc, 16, v128
	s_waitcnt lgkmcnt(0)
	v_fmac_f32_e32 v127, v138, v131
	v_mov_b32_e32 v128, s13
	s_or_b64 s[10:11], vcc, s[10:11]
	v_fmac_f32_e32 v127, v133, v132
	s_andn2_b64 exec, exec, s[10:11]
	s_cbranch_execnz .LBB93_313
; %bb.314:
	s_or_b64 exec, exec, s[10:11]
.LBB93_315:
	s_or_b64 exec, exec, s[2:3]
	v_and_b32_e32 v64, 7, v129
	v_cmp_ne_u32_e32 vcc, 0, v64
	s_and_saveexec_b64 s[8:9], vcc
	s_cbranch_execz .LBB93_319
; %bb.316:
	v_mov_b32_e32 v65, 0x80
	v_lshl_add_u32 v65, v128, 2, v65
	v_mov_b32_e32 v129, 0
	s_mov_b64 s[10:11], 0
.LBB93_317:                             ; =>This Inner Loop Header: Depth=1
	v_cmp_eq_u32_e32 vcc, 1, v128
	v_cndmask_b32_e32 v130, v34, v35, vcc
	v_add_u32_e32 v64, -1, v64
	v_cmp_eq_u32_e32 vcc, 2, v128
	v_cndmask_b32_e32 v130, v130, v36, vcc
	v_cmp_eq_u32_e32 vcc, 0, v64
	v_cmp_eq_u32_e64 s[2:3], 3, v128
	v_cndmask_b32_e64 v130, v130, v37, s[2:3]
	s_or_b64 s[10:11], vcc, s[10:11]
	v_cmp_eq_u32_e32 vcc, 4, v128
	v_cndmask_b32_e32 v130, v130, v38, vcc
	v_cmp_eq_u32_e32 vcc, 5, v128
	v_cndmask_b32_e32 v130, v130, v39, vcc
	;; [unrolled: 2-line block ×21, first 2 shown]
	v_cmp_eq_u32_e32 vcc, 25, v128
	ds_read_b32 v131, v65
	v_cndmask_b32_e32 v130, v130, v59, vcc
	v_cmp_eq_u32_e32 vcc, 26, v128
	v_cndmask_b32_e32 v130, v130, v60, vcc
	v_cmp_eq_u32_e32 vcc, 27, v128
	;; [unrolled: 2-line block ×4, first 2 shown]
	v_add_co_u32_e64 v128, s[2:3], 1, v128
	v_cndmask_b32_e32 v130, v130, v63, vcc
	v_add_u32_e32 v65, 4, v65
	v_addc_co_u32_e64 v129, s[2:3], 0, v129, s[2:3]
	s_waitcnt lgkmcnt(0)
	v_fmac_f32_e32 v127, v130, v131
	s_andn2_b64 exec, exec, s[10:11]
	s_cbranch_execnz .LBB93_317
; %bb.318:
	s_or_b64 exec, exec, s[10:11]
.LBB93_319:
	s_or_b64 exec, exec, s[8:9]
.LBB93_320:
	s_or_b64 exec, exec, s[6:7]
	v_mov_b32_e32 v42, 0
	ds_read_b32 v42, v42 offset:32
	s_waitcnt lgkmcnt(0)
	v_mul_f32_e32 v42, v127, v42
.LBB93_321:
	s_or_b64 exec, exec, s[4:5]
	v_cmp_lt_u32_e64 s[2:3], 7, v0
	ds_write_b32 v126, v41
	s_waitcnt lgkmcnt(0)
	; wave barrier
	s_and_saveexec_b64 s[4:5], s[2:3]
	s_cbranch_execz .LBB93_337
; %bb.322:
	s_andn2_b64 vcc, exec, s[62:63]
	s_cbranch_vccnz .LBB93_324
; %bb.323:
	v_cmp_eq_u32_e32 vcc, 1, v0
	v_cndmask_b32_e32 v127, v34, v35, vcc
	v_cmp_eq_u32_e32 vcc, 2, v0
	v_cndmask_b32_e32 v127, v127, v36, vcc
	;; [unrolled: 2-line block ×25, first 2 shown]
	v_cmp_eq_u32_e32 vcc, 26, v0
	ds_read_b32 v128, v126
	v_cndmask_b32_e32 v127, v127, v60, vcc
	v_cmp_eq_u32_e32 vcc, 27, v0
	v_cndmask_b32_e32 v127, v127, v61, vcc
	v_cmp_eq_u32_e32 vcc, 28, v0
	;; [unrolled: 2-line block ×3, first 2 shown]
	v_cndmask_b32_e32 v127, v127, v63, vcc
	s_waitcnt lgkmcnt(0)
	v_mul_f32_e32 v127, v127, v128
	s_cbranch_execz .LBB93_325
	s_branch .LBB93_326
.LBB93_324:
                                        ; implicit-def: $vgpr127
.LBB93_325:
	ds_read_b32 v127, v126
.LBB93_326:
	s_and_saveexec_b64 s[6:7], s[0:1]
	s_cbranch_execz .LBB93_336
; %bb.327:
	v_add_u32_e32 v128, -9, v0
	v_cmp_lt_u32_e32 vcc, 6, v128
	v_mov_b32_e32 v128, 8
	s_and_saveexec_b64 s[0:1], vcc
	s_cbranch_execz .LBB93_331
; %bb.328:
	v_and_b32_e32 v128, 24, v0
	v_sub_u32_e32 v129, 0, v128
	s_mov_b64 s[8:9], 15
	s_movk_i32 s12, 0xa0
	s_mov_b64 s[10:11], 0
.LBB93_329:                             ; =>This Inner Loop Header: Depth=1
	s_add_i32 s13, s8, -7
	v_mov_b32_e32 v128, s12
	s_add_i32 s14, s8, -6
	s_set_gpr_idx_on s13, gpr_idx(SRC0)
	v_mov_b32_e32 v138, v34
	s_set_gpr_idx_off
	s_add_i32 s15, s8, -5
	ds_read_b128 v[130:133], v128
	ds_read_b128 v[134:137], v128 offset:16
	s_set_gpr_idx_on s14, gpr_idx(SRC0)
	v_mov_b32_e32 v128, v34
	s_set_gpr_idx_off
	s_add_i32 s16, s8, -4
	s_set_gpr_idx_on s15, gpr_idx(SRC0)
	v_mov_b32_e32 v139, v34
	s_set_gpr_idx_off
	s_add_i32 s17, s8, -3
	;; [unrolled: 4-line block ×4, first 2 shown]
	s_waitcnt lgkmcnt(1)
	v_fmac_f32_e32 v127, v138, v130
	s_set_gpr_idx_on s18, gpr_idx(SRC0)
	v_mov_b32_e32 v130, v34
	s_set_gpr_idx_off
	v_fmac_f32_e32 v127, v128, v131
	s_set_gpr_idx_on s19, gpr_idx(SRC0)
	v_mov_b32_e32 v131, v34
	s_set_gpr_idx_off
	;; [unrolled: 4-line block ×3, first 2 shown]
	v_fmac_f32_e32 v127, v140, v133
	s_add_u32 s8, s8, 8
	s_waitcnt lgkmcnt(0)
	v_fmac_f32_e32 v127, v141, v134
	v_add_u32_e32 v128, s8, v129
	v_fmac_f32_e32 v127, v130, v135
	s_addc_u32 s9, s9, 0
	s_add_i32 s12, s12, 32
	s_add_i32 s13, s8, -7
	v_cmp_eq_u32_e32 vcc, 7, v128
	v_fmac_f32_e32 v127, v131, v136
	v_mov_b32_e32 v128, s13
	s_or_b64 s[10:11], vcc, s[10:11]
	v_fmac_f32_e32 v127, v132, v137
	s_andn2_b64 exec, exec, s[10:11]
	s_cbranch_execnz .LBB93_329
; %bb.330:
	s_or_b64 exec, exec, s[10:11]
.LBB93_331:
	s_or_b64 exec, exec, s[0:1]
	v_and_b32_e32 v64, 7, v0
	v_cmp_ne_u32_e32 vcc, 0, v64
	s_and_saveexec_b64 s[8:9], vcc
	s_cbranch_execz .LBB93_335
; %bb.332:
	v_mov_b32_e32 v65, 0x80
	v_lshl_add_u32 v65, v128, 2, v65
	v_mov_b32_e32 v129, 0
	s_mov_b64 s[10:11], 0
.LBB93_333:                             ; =>This Inner Loop Header: Depth=1
	v_cmp_eq_u32_e32 vcc, 1, v128
	v_cndmask_b32_e32 v130, v34, v35, vcc
	v_add_u32_e32 v64, -1, v64
	v_cmp_eq_u32_e32 vcc, 2, v128
	v_cndmask_b32_e32 v130, v130, v36, vcc
	v_cmp_eq_u32_e32 vcc, 0, v64
	v_cmp_eq_u32_e64 s[0:1], 3, v128
	v_cndmask_b32_e64 v130, v130, v37, s[0:1]
	s_or_b64 s[10:11], vcc, s[10:11]
	v_cmp_eq_u32_e32 vcc, 4, v128
	v_cndmask_b32_e32 v130, v130, v38, vcc
	v_cmp_eq_u32_e32 vcc, 5, v128
	v_cndmask_b32_e32 v130, v130, v39, vcc
	;; [unrolled: 2-line block ×21, first 2 shown]
	v_cmp_eq_u32_e32 vcc, 25, v128
	ds_read_b32 v131, v65
	v_cndmask_b32_e32 v130, v130, v59, vcc
	v_cmp_eq_u32_e32 vcc, 26, v128
	v_cndmask_b32_e32 v130, v130, v60, vcc
	v_cmp_eq_u32_e32 vcc, 27, v128
	v_cndmask_b32_e32 v130, v130, v61, vcc
	v_cmp_eq_u32_e32 vcc, 28, v128
	v_cndmask_b32_e32 v130, v130, v62, vcc
	v_cmp_eq_u32_e32 vcc, 29, v128
	v_add_co_u32_e64 v128, s[0:1], 1, v128
	v_cndmask_b32_e32 v130, v130, v63, vcc
	v_add_u32_e32 v65, 4, v65
	v_addc_co_u32_e64 v129, s[0:1], 0, v129, s[0:1]
	s_waitcnt lgkmcnt(0)
	v_fmac_f32_e32 v127, v130, v131
	s_andn2_b64 exec, exec, s[10:11]
	s_cbranch_execnz .LBB93_333
; %bb.334:
	s_or_b64 exec, exec, s[10:11]
.LBB93_335:
	s_or_b64 exec, exec, s[8:9]
.LBB93_336:
	s_or_b64 exec, exec, s[6:7]
	v_mov_b32_e32 v41, 0
	ds_read_b32 v41, v41 offset:28
	s_waitcnt lgkmcnt(0)
	v_mul_f32_e32 v41, v127, v41
.LBB93_337:
	s_or_b64 exec, exec, s[4:5]
	v_cmp_lt_u32_e64 s[0:1], 6, v0
	ds_write_b32 v126, v40
	s_waitcnt lgkmcnt(0)
	; wave barrier
	s_and_saveexec_b64 s[4:5], s[0:1]
	s_cbranch_execz .LBB93_353
; %bb.338:
	s_andn2_b64 vcc, exec, s[62:63]
	s_cbranch_vccnz .LBB93_340
; %bb.339:
	v_cmp_eq_u32_e32 vcc, 1, v0
	v_cndmask_b32_e32 v127, v34, v35, vcc
	v_cmp_eq_u32_e32 vcc, 2, v0
	v_cndmask_b32_e32 v127, v127, v36, vcc
	;; [unrolled: 2-line block ×25, first 2 shown]
	v_cmp_eq_u32_e32 vcc, 26, v0
	ds_read_b32 v128, v126
	v_cndmask_b32_e32 v127, v127, v60, vcc
	v_cmp_eq_u32_e32 vcc, 27, v0
	v_cndmask_b32_e32 v127, v127, v61, vcc
	v_cmp_eq_u32_e32 vcc, 28, v0
	;; [unrolled: 2-line block ×3, first 2 shown]
	v_cndmask_b32_e32 v127, v127, v63, vcc
	s_waitcnt lgkmcnt(0)
	v_mul_f32_e32 v127, v127, v128
	s_cbranch_execz .LBB93_341
	s_branch .LBB93_342
.LBB93_340:
                                        ; implicit-def: $vgpr127
.LBB93_341:
	ds_read_b32 v127, v126
.LBB93_342:
	s_and_saveexec_b64 s[6:7], s[2:3]
	s_cbranch_execz .LBB93_352
; %bb.343:
	v_add_u32_e32 v128, -8, v0
	v_add_u32_e32 v129, -7, v0
	v_cmp_lt_u32_e32 vcc, 6, v128
	v_mov_b32_e32 v128, 7
	s_and_saveexec_b64 s[2:3], vcc
	s_cbranch_execz .LBB93_347
; %bb.344:
	v_and_b32_e32 v128, -8, v129
	v_sub_u32_e32 v130, 0, v128
	s_mov_b64 s[8:9], 14
	s_movk_i32 s12, 0x9c
	s_mov_b64 s[10:11], 0
.LBB93_345:                             ; =>This Inner Loop Header: Depth=1
	s_add_i32 s13, s8, -7
	v_mov_b32_e32 v128, s12
	s_add_i32 s14, s8, -6
	s_set_gpr_idx_on s13, gpr_idx(SRC0)
	v_mov_b32_e32 v137, v34
	s_set_gpr_idx_off
	ds_read2_b32 v[131:132], v128 offset1:1
	s_add_i32 s15, s8, -5
	s_set_gpr_idx_on s14, gpr_idx(SRC0)
	v_mov_b32_e32 v138, v34
	s_set_gpr_idx_off
	s_add_i32 s16, s8, -4
	s_set_gpr_idx_on s15, gpr_idx(SRC0)
	v_mov_b32_e32 v139, v34
	s_set_gpr_idx_off
	ds_read2_b32 v[133:134], v128 offset0:2 offset1:3
	s_add_i32 s17, s8, -3
	s_set_gpr_idx_on s16, gpr_idx(SRC0)
	v_mov_b32_e32 v140, v34
	s_set_gpr_idx_off
	s_add_i32 s18, s8, -2
	s_set_gpr_idx_on s17, gpr_idx(SRC0)
	v_mov_b32_e32 v141, v34
	s_set_gpr_idx_off
	ds_read2_b32 v[135:136], v128 offset0:4 offset1:5
	s_add_i32 s19, s8, -1
	s_waitcnt lgkmcnt(2)
	v_fmac_f32_e32 v127, v137, v131
	s_set_gpr_idx_on s18, gpr_idx(SRC0)
	v_mov_b32_e32 v137, v34
	s_set_gpr_idx_off
	v_fmac_f32_e32 v127, v138, v132
	s_set_gpr_idx_on s19, gpr_idx(SRC0)
	v_mov_b32_e32 v138, v34
	s_set_gpr_idx_off
	ds_read2_b32 v[131:132], v128 offset0:6 offset1:7
	s_waitcnt lgkmcnt(2)
	v_fmac_f32_e32 v127, v139, v133
	s_set_gpr_idx_on s8, gpr_idx(SRC0)
	v_mov_b32_e32 v133, v34
	s_set_gpr_idx_off
	v_fmac_f32_e32 v127, v140, v134
	s_add_u32 s8, s8, 8
	s_waitcnt lgkmcnt(1)
	v_fmac_f32_e32 v127, v141, v135
	v_add_u32_e32 v128, s8, v130
	v_fmac_f32_e32 v127, v137, v136
	s_addc_u32 s9, s9, 0
	s_add_i32 s12, s12, 32
	s_add_i32 s13, s8, -7
	v_cmp_eq_u32_e32 vcc, 14, v128
	s_waitcnt lgkmcnt(0)
	v_fmac_f32_e32 v127, v138, v131
	v_mov_b32_e32 v128, s13
	s_or_b64 s[10:11], vcc, s[10:11]
	v_fmac_f32_e32 v127, v133, v132
	s_andn2_b64 exec, exec, s[10:11]
	s_cbranch_execnz .LBB93_345
; %bb.346:
	s_or_b64 exec, exec, s[10:11]
.LBB93_347:
	s_or_b64 exec, exec, s[2:3]
	v_and_b32_e32 v64, 7, v129
	v_cmp_ne_u32_e32 vcc, 0, v64
	s_and_saveexec_b64 s[8:9], vcc
	s_cbranch_execz .LBB93_351
; %bb.348:
	v_mov_b32_e32 v65, 0x80
	v_lshl_add_u32 v65, v128, 2, v65
	v_mov_b32_e32 v129, 0
	s_mov_b64 s[10:11], 0
.LBB93_349:                             ; =>This Inner Loop Header: Depth=1
	v_cmp_eq_u32_e32 vcc, 1, v128
	v_cndmask_b32_e32 v130, v34, v35, vcc
	v_add_u32_e32 v64, -1, v64
	v_cmp_eq_u32_e32 vcc, 2, v128
	v_cndmask_b32_e32 v130, v130, v36, vcc
	v_cmp_eq_u32_e32 vcc, 0, v64
	v_cmp_eq_u32_e64 s[2:3], 3, v128
	v_cndmask_b32_e64 v130, v130, v37, s[2:3]
	s_or_b64 s[10:11], vcc, s[10:11]
	v_cmp_eq_u32_e32 vcc, 4, v128
	v_cndmask_b32_e32 v130, v130, v38, vcc
	v_cmp_eq_u32_e32 vcc, 5, v128
	v_cndmask_b32_e32 v130, v130, v39, vcc
	;; [unrolled: 2-line block ×21, first 2 shown]
	v_cmp_eq_u32_e32 vcc, 25, v128
	ds_read_b32 v131, v65
	v_cndmask_b32_e32 v130, v130, v59, vcc
	v_cmp_eq_u32_e32 vcc, 26, v128
	v_cndmask_b32_e32 v130, v130, v60, vcc
	v_cmp_eq_u32_e32 vcc, 27, v128
	;; [unrolled: 2-line block ×4, first 2 shown]
	v_add_co_u32_e64 v128, s[2:3], 1, v128
	v_cndmask_b32_e32 v130, v130, v63, vcc
	v_add_u32_e32 v65, 4, v65
	v_addc_co_u32_e64 v129, s[2:3], 0, v129, s[2:3]
	s_waitcnt lgkmcnt(0)
	v_fmac_f32_e32 v127, v130, v131
	s_andn2_b64 exec, exec, s[10:11]
	s_cbranch_execnz .LBB93_349
; %bb.350:
	s_or_b64 exec, exec, s[10:11]
.LBB93_351:
	s_or_b64 exec, exec, s[8:9]
.LBB93_352:
	s_or_b64 exec, exec, s[6:7]
	v_mov_b32_e32 v40, 0
	ds_read_b32 v40, v40 offset:24
	s_waitcnt lgkmcnt(0)
	v_mul_f32_e32 v40, v127, v40
.LBB93_353:
	s_or_b64 exec, exec, s[4:5]
	v_cmp_lt_u32_e64 s[2:3], 5, v0
	ds_write_b32 v126, v39
	s_waitcnt lgkmcnt(0)
	; wave barrier
	s_and_saveexec_b64 s[4:5], s[2:3]
	s_cbranch_execz .LBB93_369
; %bb.354:
	s_andn2_b64 vcc, exec, s[62:63]
	s_cbranch_vccnz .LBB93_356
; %bb.355:
	v_cmp_eq_u32_e32 vcc, 1, v0
	v_cndmask_b32_e32 v127, v34, v35, vcc
	v_cmp_eq_u32_e32 vcc, 2, v0
	v_cndmask_b32_e32 v127, v127, v36, vcc
	;; [unrolled: 2-line block ×25, first 2 shown]
	v_cmp_eq_u32_e32 vcc, 26, v0
	ds_read_b32 v128, v126
	v_cndmask_b32_e32 v127, v127, v60, vcc
	v_cmp_eq_u32_e32 vcc, 27, v0
	v_cndmask_b32_e32 v127, v127, v61, vcc
	v_cmp_eq_u32_e32 vcc, 28, v0
	v_cndmask_b32_e32 v127, v127, v62, vcc
	v_cmp_eq_u32_e32 vcc, 29, v0
	v_cndmask_b32_e32 v127, v127, v63, vcc
	s_waitcnt lgkmcnt(0)
	v_mul_f32_e32 v127, v127, v128
	s_cbranch_execz .LBB93_357
	s_branch .LBB93_358
.LBB93_356:
                                        ; implicit-def: $vgpr127
.LBB93_357:
	ds_read_b32 v127, v126
.LBB93_358:
	s_and_saveexec_b64 s[6:7], s[0:1]
	s_cbranch_execz .LBB93_368
; %bb.359:
	v_add_u32_e32 v130, -7, v0
	v_add_u32_e32 v129, -6, v0
	v_mov_b32_e32 v128, 6
	v_cmp_lt_u32_e32 vcc, 6, v130
	s_and_saveexec_b64 s[0:1], vcc
	s_cbranch_execz .LBB93_363
; %bb.360:
	v_and_b32_e32 v128, -8, v129
	v_sub_u32_e32 v130, 0, v128
	s_mov_b64 s[8:9], 13
	s_movk_i32 s12, 0x98
	s_mov_b64 s[10:11], 0
.LBB93_361:                             ; =>This Inner Loop Header: Depth=1
	s_add_i32 s13, s8, -7
	v_mov_b32_e32 v128, s12
	s_add_i32 s14, s8, -6
	s_set_gpr_idx_on s13, gpr_idx(SRC0)
	v_mov_b32_e32 v139, v34
	s_set_gpr_idx_off
	ds_read2_b64 v[131:134], v128 offset1:1
	s_add_i32 s15, s8, -5
	s_set_gpr_idx_on s14, gpr_idx(SRC0)
	v_mov_b32_e32 v140, v34
	s_set_gpr_idx_off
	s_add_i32 s16, s8, -4
	s_set_gpr_idx_on s15, gpr_idx(SRC0)
	v_mov_b32_e32 v141, v34
	s_set_gpr_idx_off
	s_add_i32 s17, s8, -3
	s_set_gpr_idx_on s16, gpr_idx(SRC0)
	v_mov_b32_e32 v142, v34
	s_set_gpr_idx_off
	s_add_i32 s18, s8, -2
	s_set_gpr_idx_on s17, gpr_idx(SRC0)
	v_mov_b32_e32 v143, v34
	s_set_gpr_idx_off
	ds_read2_b64 v[135:138], v128 offset0:2 offset1:3
	s_add_i32 s19, s8, -1
	s_waitcnt lgkmcnt(1)
	v_fmac_f32_e32 v127, v139, v131
	s_set_gpr_idx_on s18, gpr_idx(SRC0)
	v_mov_b32_e32 v131, v34
	s_set_gpr_idx_off
	v_fmac_f32_e32 v127, v140, v132
	s_set_gpr_idx_on s19, gpr_idx(SRC0)
	v_mov_b32_e32 v132, v34
	s_set_gpr_idx_off
	;; [unrolled: 4-line block ×3, first 2 shown]
	v_fmac_f32_e32 v127, v142, v134
	s_add_u32 s8, s8, 8
	s_waitcnt lgkmcnt(0)
	v_fmac_f32_e32 v127, v143, v135
	v_add_u32_e32 v128, s8, v130
	v_fmac_f32_e32 v127, v131, v136
	s_addc_u32 s9, s9, 0
	s_add_i32 s12, s12, 32
	s_add_i32 s13, s8, -7
	v_cmp_eq_u32_e32 vcc, 13, v128
	v_fmac_f32_e32 v127, v132, v137
	v_mov_b32_e32 v128, s13
	s_or_b64 s[10:11], vcc, s[10:11]
	v_fmac_f32_e32 v127, v133, v138
	s_andn2_b64 exec, exec, s[10:11]
	s_cbranch_execnz .LBB93_361
; %bb.362:
	s_or_b64 exec, exec, s[10:11]
.LBB93_363:
	s_or_b64 exec, exec, s[0:1]
	v_and_b32_e32 v64, 7, v129
	v_cmp_ne_u32_e32 vcc, 0, v64
	s_and_saveexec_b64 s[8:9], vcc
	s_cbranch_execz .LBB93_367
; %bb.364:
	v_mov_b32_e32 v65, 0x80
	v_lshl_add_u32 v65, v128, 2, v65
	v_mov_b32_e32 v129, 0
	s_mov_b64 s[10:11], 0
.LBB93_365:                             ; =>This Inner Loop Header: Depth=1
	v_cmp_eq_u32_e32 vcc, 1, v128
	v_cndmask_b32_e32 v130, v34, v35, vcc
	v_add_u32_e32 v64, -1, v64
	v_cmp_eq_u32_e32 vcc, 2, v128
	v_cndmask_b32_e32 v130, v130, v36, vcc
	v_cmp_eq_u32_e32 vcc, 0, v64
	v_cmp_eq_u32_e64 s[0:1], 3, v128
	v_cndmask_b32_e64 v130, v130, v37, s[0:1]
	s_or_b64 s[10:11], vcc, s[10:11]
	v_cmp_eq_u32_e32 vcc, 4, v128
	v_cndmask_b32_e32 v130, v130, v38, vcc
	v_cmp_eq_u32_e32 vcc, 5, v128
	v_cndmask_b32_e32 v130, v130, v39, vcc
	;; [unrolled: 2-line block ×21, first 2 shown]
	v_cmp_eq_u32_e32 vcc, 25, v128
	ds_read_b32 v131, v65
	v_cndmask_b32_e32 v130, v130, v59, vcc
	v_cmp_eq_u32_e32 vcc, 26, v128
	v_cndmask_b32_e32 v130, v130, v60, vcc
	v_cmp_eq_u32_e32 vcc, 27, v128
	;; [unrolled: 2-line block ×4, first 2 shown]
	v_add_co_u32_e64 v128, s[0:1], 1, v128
	v_cndmask_b32_e32 v130, v130, v63, vcc
	v_add_u32_e32 v65, 4, v65
	v_addc_co_u32_e64 v129, s[0:1], 0, v129, s[0:1]
	s_waitcnt lgkmcnt(0)
	v_fmac_f32_e32 v127, v130, v131
	s_andn2_b64 exec, exec, s[10:11]
	s_cbranch_execnz .LBB93_365
; %bb.366:
	s_or_b64 exec, exec, s[10:11]
.LBB93_367:
	s_or_b64 exec, exec, s[8:9]
.LBB93_368:
	s_or_b64 exec, exec, s[6:7]
	v_mov_b32_e32 v39, 0
	ds_read_b32 v39, v39 offset:20
	s_waitcnt lgkmcnt(0)
	v_mul_f32_e32 v39, v127, v39
.LBB93_369:
	s_or_b64 exec, exec, s[4:5]
	v_cmp_lt_u32_e64 s[0:1], 4, v0
	ds_write_b32 v126, v38
	s_waitcnt lgkmcnt(0)
	; wave barrier
	s_and_saveexec_b64 s[4:5], s[0:1]
	s_cbranch_execz .LBB93_385
; %bb.370:
	s_andn2_b64 vcc, exec, s[62:63]
	s_cbranch_vccnz .LBB93_372
; %bb.371:
	v_cmp_eq_u32_e32 vcc, 1, v0
	v_cndmask_b32_e32 v127, v34, v35, vcc
	v_cmp_eq_u32_e32 vcc, 2, v0
	v_cndmask_b32_e32 v127, v127, v36, vcc
	v_cmp_eq_u32_e32 vcc, 3, v0
	v_cndmask_b32_e32 v127, v127, v37, vcc
	v_cmp_eq_u32_e32 vcc, 4, v0
	v_cndmask_b32_e32 v127, v127, v38, vcc
	v_cmp_eq_u32_e32 vcc, 5, v0
	v_cndmask_b32_e32 v127, v127, v39, vcc
	v_cmp_eq_u32_e32 vcc, 6, v0
	v_cndmask_b32_e32 v127, v127, v40, vcc
	v_cmp_eq_u32_e32 vcc, 7, v0
	v_cndmask_b32_e32 v127, v127, v41, vcc
	v_cmp_eq_u32_e32 vcc, 8, v0
	v_cndmask_b32_e32 v127, v127, v42, vcc
	v_cmp_eq_u32_e32 vcc, 9, v0
	v_cndmask_b32_e32 v127, v127, v43, vcc
	v_cmp_eq_u32_e32 vcc, 10, v0
	v_cndmask_b32_e32 v127, v127, v44, vcc
	v_cmp_eq_u32_e32 vcc, 11, v0
	v_cndmask_b32_e32 v127, v127, v45, vcc
	v_cmp_eq_u32_e32 vcc, 12, v0
	v_cndmask_b32_e32 v127, v127, v46, vcc
	v_cmp_eq_u32_e32 vcc, 13, v0
	v_cndmask_b32_e32 v127, v127, v47, vcc
	v_cmp_eq_u32_e32 vcc, 14, v0
	v_cndmask_b32_e32 v127, v127, v48, vcc
	v_cmp_eq_u32_e32 vcc, 15, v0
	v_cndmask_b32_e32 v127, v127, v49, vcc
	v_cmp_eq_u32_e32 vcc, 16, v0
	v_cndmask_b32_e32 v127, v127, v50, vcc
	v_cmp_eq_u32_e32 vcc, 17, v0
	v_cndmask_b32_e32 v127, v127, v51, vcc
	v_cmp_eq_u32_e32 vcc, 18, v0
	v_cndmask_b32_e32 v127, v127, v52, vcc
	v_cmp_eq_u32_e32 vcc, 19, v0
	v_cndmask_b32_e32 v127, v127, v53, vcc
	v_cmp_eq_u32_e32 vcc, 20, v0
	v_cndmask_b32_e32 v127, v127, v54, vcc
	v_cmp_eq_u32_e32 vcc, 21, v0
	v_cndmask_b32_e32 v127, v127, v55, vcc
	v_cmp_eq_u32_e32 vcc, 22, v0
	v_cndmask_b32_e32 v127, v127, v56, vcc
	v_cmp_eq_u32_e32 vcc, 23, v0
	v_cndmask_b32_e32 v127, v127, v57, vcc
	v_cmp_eq_u32_e32 vcc, 24, v0
	v_cndmask_b32_e32 v127, v127, v58, vcc
	v_cmp_eq_u32_e32 vcc, 25, v0
	v_cndmask_b32_e32 v127, v127, v59, vcc
	v_cmp_eq_u32_e32 vcc, 26, v0
	ds_read_b32 v128, v126
	v_cndmask_b32_e32 v127, v127, v60, vcc
	v_cmp_eq_u32_e32 vcc, 27, v0
	v_cndmask_b32_e32 v127, v127, v61, vcc
	v_cmp_eq_u32_e32 vcc, 28, v0
	;; [unrolled: 2-line block ×3, first 2 shown]
	v_cndmask_b32_e32 v127, v127, v63, vcc
	s_waitcnt lgkmcnt(0)
	v_mul_f32_e32 v127, v127, v128
	s_cbranch_execz .LBB93_373
	s_branch .LBB93_374
.LBB93_372:
                                        ; implicit-def: $vgpr127
.LBB93_373:
	ds_read_b32 v127, v126
.LBB93_374:
	s_and_saveexec_b64 s[6:7], s[2:3]
	s_cbranch_execz .LBB93_384
; %bb.375:
	v_add_u32_e32 v128, -6, v0
	v_add_u32_e32 v129, -5, v0
	v_cmp_lt_u32_e32 vcc, 6, v128
	v_mov_b32_e32 v128, 5
	s_and_saveexec_b64 s[2:3], vcc
	s_cbranch_execz .LBB93_379
; %bb.376:
	v_and_b32_e32 v128, -8, v129
	v_sub_u32_e32 v130, 0, v128
	s_mov_b64 s[8:9], 12
	s_movk_i32 s12, 0x94
	s_mov_b64 s[10:11], 0
.LBB93_377:                             ; =>This Inner Loop Header: Depth=1
	s_add_i32 s13, s8, -7
	v_mov_b32_e32 v128, s12
	s_add_i32 s14, s8, -6
	s_set_gpr_idx_on s13, gpr_idx(SRC0)
	v_mov_b32_e32 v137, v34
	s_set_gpr_idx_off
	ds_read2_b32 v[131:132], v128 offset1:1
	s_add_i32 s15, s8, -5
	s_set_gpr_idx_on s14, gpr_idx(SRC0)
	v_mov_b32_e32 v138, v34
	s_set_gpr_idx_off
	s_add_i32 s16, s8, -4
	s_set_gpr_idx_on s15, gpr_idx(SRC0)
	v_mov_b32_e32 v139, v34
	s_set_gpr_idx_off
	ds_read2_b32 v[133:134], v128 offset0:2 offset1:3
	s_add_i32 s17, s8, -3
	s_set_gpr_idx_on s16, gpr_idx(SRC0)
	v_mov_b32_e32 v140, v34
	s_set_gpr_idx_off
	s_add_i32 s18, s8, -2
	s_set_gpr_idx_on s17, gpr_idx(SRC0)
	v_mov_b32_e32 v141, v34
	s_set_gpr_idx_off
	ds_read2_b32 v[135:136], v128 offset0:4 offset1:5
	s_add_i32 s19, s8, -1
	s_waitcnt lgkmcnt(2)
	v_fmac_f32_e32 v127, v137, v131
	s_set_gpr_idx_on s18, gpr_idx(SRC0)
	v_mov_b32_e32 v137, v34
	s_set_gpr_idx_off
	v_fmac_f32_e32 v127, v138, v132
	s_set_gpr_idx_on s19, gpr_idx(SRC0)
	v_mov_b32_e32 v138, v34
	s_set_gpr_idx_off
	ds_read2_b32 v[131:132], v128 offset0:6 offset1:7
	s_waitcnt lgkmcnt(2)
	v_fmac_f32_e32 v127, v139, v133
	s_set_gpr_idx_on s8, gpr_idx(SRC0)
	v_mov_b32_e32 v133, v34
	s_set_gpr_idx_off
	v_fmac_f32_e32 v127, v140, v134
	s_add_u32 s8, s8, 8
	s_waitcnt lgkmcnt(1)
	v_fmac_f32_e32 v127, v141, v135
	v_add_u32_e32 v128, s8, v130
	v_fmac_f32_e32 v127, v137, v136
	s_addc_u32 s9, s9, 0
	s_add_i32 s12, s12, 32
	s_add_i32 s13, s8, -7
	v_cmp_eq_u32_e32 vcc, 12, v128
	s_waitcnt lgkmcnt(0)
	v_fmac_f32_e32 v127, v138, v131
	v_mov_b32_e32 v128, s13
	s_or_b64 s[10:11], vcc, s[10:11]
	v_fmac_f32_e32 v127, v133, v132
	s_andn2_b64 exec, exec, s[10:11]
	s_cbranch_execnz .LBB93_377
; %bb.378:
	s_or_b64 exec, exec, s[10:11]
.LBB93_379:
	s_or_b64 exec, exec, s[2:3]
	v_and_b32_e32 v64, 7, v129
	v_cmp_ne_u32_e32 vcc, 0, v64
	s_and_saveexec_b64 s[8:9], vcc
	s_cbranch_execz .LBB93_383
; %bb.380:
	v_mov_b32_e32 v65, 0x80
	v_lshl_add_u32 v65, v128, 2, v65
	v_mov_b32_e32 v129, 0
	s_mov_b64 s[10:11], 0
.LBB93_381:                             ; =>This Inner Loop Header: Depth=1
	v_cmp_eq_u32_e32 vcc, 1, v128
	v_cndmask_b32_e32 v130, v34, v35, vcc
	v_add_u32_e32 v64, -1, v64
	v_cmp_eq_u32_e32 vcc, 2, v128
	v_cndmask_b32_e32 v130, v130, v36, vcc
	v_cmp_eq_u32_e32 vcc, 0, v64
	v_cmp_eq_u32_e64 s[2:3], 3, v128
	v_cndmask_b32_e64 v130, v130, v37, s[2:3]
	s_or_b64 s[10:11], vcc, s[10:11]
	v_cmp_eq_u32_e32 vcc, 4, v128
	v_cndmask_b32_e32 v130, v130, v38, vcc
	v_cmp_eq_u32_e32 vcc, 5, v128
	v_cndmask_b32_e32 v130, v130, v39, vcc
	;; [unrolled: 2-line block ×21, first 2 shown]
	v_cmp_eq_u32_e32 vcc, 25, v128
	ds_read_b32 v131, v65
	v_cndmask_b32_e32 v130, v130, v59, vcc
	v_cmp_eq_u32_e32 vcc, 26, v128
	v_cndmask_b32_e32 v130, v130, v60, vcc
	v_cmp_eq_u32_e32 vcc, 27, v128
	v_cndmask_b32_e32 v130, v130, v61, vcc
	v_cmp_eq_u32_e32 vcc, 28, v128
	v_cndmask_b32_e32 v130, v130, v62, vcc
	v_cmp_eq_u32_e32 vcc, 29, v128
	v_add_co_u32_e64 v128, s[2:3], 1, v128
	v_cndmask_b32_e32 v130, v130, v63, vcc
	v_add_u32_e32 v65, 4, v65
	v_addc_co_u32_e64 v129, s[2:3], 0, v129, s[2:3]
	s_waitcnt lgkmcnt(0)
	v_fmac_f32_e32 v127, v130, v131
	s_andn2_b64 exec, exec, s[10:11]
	s_cbranch_execnz .LBB93_381
; %bb.382:
	s_or_b64 exec, exec, s[10:11]
.LBB93_383:
	s_or_b64 exec, exec, s[8:9]
.LBB93_384:
	s_or_b64 exec, exec, s[6:7]
	v_mov_b32_e32 v38, 0
	ds_read_b32 v38, v38 offset:16
	s_waitcnt lgkmcnt(0)
	v_mul_f32_e32 v38, v127, v38
.LBB93_385:
	s_or_b64 exec, exec, s[4:5]
	v_cmp_lt_u32_e64 s[2:3], 3, v0
	ds_write_b32 v126, v37
	s_waitcnt lgkmcnt(0)
	; wave barrier
	s_and_saveexec_b64 s[4:5], s[2:3]
	s_cbranch_execz .LBB93_401
; %bb.386:
	s_andn2_b64 vcc, exec, s[62:63]
	s_cbranch_vccnz .LBB93_388
; %bb.387:
	v_cmp_eq_u32_e32 vcc, 1, v0
	v_cndmask_b32_e32 v127, v34, v35, vcc
	v_cmp_eq_u32_e32 vcc, 2, v0
	v_cndmask_b32_e32 v127, v127, v36, vcc
	;; [unrolled: 2-line block ×25, first 2 shown]
	v_cmp_eq_u32_e32 vcc, 26, v0
	ds_read_b32 v128, v126
	v_cndmask_b32_e32 v127, v127, v60, vcc
	v_cmp_eq_u32_e32 vcc, 27, v0
	v_cndmask_b32_e32 v127, v127, v61, vcc
	v_cmp_eq_u32_e32 vcc, 28, v0
	;; [unrolled: 2-line block ×3, first 2 shown]
	v_cndmask_b32_e32 v127, v127, v63, vcc
	s_waitcnt lgkmcnt(0)
	v_mul_f32_e32 v127, v127, v128
	s_cbranch_execz .LBB93_389
	s_branch .LBB93_390
.LBB93_388:
                                        ; implicit-def: $vgpr127
.LBB93_389:
	ds_read_b32 v127, v126
.LBB93_390:
	s_and_saveexec_b64 s[6:7], s[0:1]
	s_cbranch_execz .LBB93_400
; %bb.391:
	v_add_u32_e32 v128, -5, v0
	v_add_u32_e32 v129, -4, v0
	v_cmp_lt_u32_e32 vcc, 6, v128
	v_mov_b32_e32 v128, 4
	s_and_saveexec_b64 s[0:1], vcc
	s_cbranch_execz .LBB93_395
; %bb.392:
	v_and_b32_e32 v128, -8, v129
	v_sub_u32_e32 v130, 0, v128
	s_mov_b64 s[8:9], 5
	s_movk_i32 s12, 0x90
	s_mov_b64 s[10:11], 0
.LBB93_393:                             ; =>This Inner Loop Header: Depth=1
	s_add_i32 s13, s8, -1
	v_mov_b32_e32 v128, s12
	s_set_gpr_idx_on s13, gpr_idx(SRC0)
	v_mov_b32_e32 v139, v34
	s_set_gpr_idx_off
	s_add_i32 s14, s8, 1
	ds_read_b128 v[131:134], v128
	ds_read_b128 v[135:138], v128 offset:16
	s_set_gpr_idx_on s8, gpr_idx(SRC0)
	v_mov_b32_e32 v140, v34
	s_set_gpr_idx_off
	s_add_i32 s15, s8, 2
	s_set_gpr_idx_on s14, gpr_idx(SRC0)
	v_mov_b32_e32 v141, v34
	s_set_gpr_idx_off
	s_add_i32 s16, s8, 3
	;; [unrolled: 4-line block ×4, first 2 shown]
	s_waitcnt lgkmcnt(1)
	v_fmac_f32_e32 v127, v139, v131
	s_set_gpr_idx_on s17, gpr_idx(SRC0)
	v_mov_b32_e32 v131, v34
	s_set_gpr_idx_off
	s_add_i32 s19, s8, 6
	v_fmac_f32_e32 v127, v140, v132
	s_set_gpr_idx_on s18, gpr_idx(SRC0)
	v_mov_b32_e32 v132, v34
	s_set_gpr_idx_off
	v_fmac_f32_e32 v127, v141, v133
	s_set_gpr_idx_on s19, gpr_idx(SRC0)
	v_mov_b32_e32 v133, v34
	s_set_gpr_idx_off
	v_fmac_f32_e32 v127, v142, v134
	s_add_u32 s8, s8, 8
	s_waitcnt lgkmcnt(0)
	v_fmac_f32_e32 v127, v143, v135
	v_add_u32_e32 v128, s8, v130
	v_fmac_f32_e32 v127, v131, v136
	s_addc_u32 s9, s9, 0
	s_add_i32 s12, s12, 32
	s_add_i32 s13, s8, -1
	v_cmp_eq_u32_e32 vcc, 5, v128
	v_fmac_f32_e32 v127, v132, v137
	v_mov_b32_e32 v128, s13
	s_or_b64 s[10:11], vcc, s[10:11]
	v_fmac_f32_e32 v127, v133, v138
	s_andn2_b64 exec, exec, s[10:11]
	s_cbranch_execnz .LBB93_393
; %bb.394:
	s_or_b64 exec, exec, s[10:11]
.LBB93_395:
	s_or_b64 exec, exec, s[0:1]
	v_and_b32_e32 v64, 7, v129
	v_cmp_ne_u32_e32 vcc, 0, v64
	s_and_saveexec_b64 s[8:9], vcc
	s_cbranch_execz .LBB93_399
; %bb.396:
	v_mov_b32_e32 v65, 0x80
	v_lshl_add_u32 v65, v128, 2, v65
	v_mov_b32_e32 v129, 0
	s_mov_b64 s[10:11], 0
.LBB93_397:                             ; =>This Inner Loop Header: Depth=1
	v_cmp_eq_u32_e32 vcc, 1, v128
	v_cndmask_b32_e32 v130, v34, v35, vcc
	v_add_u32_e32 v64, -1, v64
	v_cmp_eq_u32_e32 vcc, 2, v128
	v_cndmask_b32_e32 v130, v130, v36, vcc
	v_cmp_eq_u32_e32 vcc, 0, v64
	v_cmp_eq_u32_e64 s[0:1], 3, v128
	v_cndmask_b32_e64 v130, v130, v37, s[0:1]
	s_or_b64 s[10:11], vcc, s[10:11]
	v_cmp_eq_u32_e32 vcc, 4, v128
	v_cndmask_b32_e32 v130, v130, v38, vcc
	v_cmp_eq_u32_e32 vcc, 5, v128
	v_cndmask_b32_e32 v130, v130, v39, vcc
	;; [unrolled: 2-line block ×21, first 2 shown]
	v_cmp_eq_u32_e32 vcc, 25, v128
	ds_read_b32 v131, v65
	v_cndmask_b32_e32 v130, v130, v59, vcc
	v_cmp_eq_u32_e32 vcc, 26, v128
	v_cndmask_b32_e32 v130, v130, v60, vcc
	v_cmp_eq_u32_e32 vcc, 27, v128
	;; [unrolled: 2-line block ×4, first 2 shown]
	v_add_co_u32_e64 v128, s[0:1], 1, v128
	v_cndmask_b32_e32 v130, v130, v63, vcc
	v_add_u32_e32 v65, 4, v65
	v_addc_co_u32_e64 v129, s[0:1], 0, v129, s[0:1]
	s_waitcnt lgkmcnt(0)
	v_fmac_f32_e32 v127, v130, v131
	s_andn2_b64 exec, exec, s[10:11]
	s_cbranch_execnz .LBB93_397
; %bb.398:
	s_or_b64 exec, exec, s[10:11]
.LBB93_399:
	s_or_b64 exec, exec, s[8:9]
.LBB93_400:
	s_or_b64 exec, exec, s[6:7]
	v_mov_b32_e32 v37, 0
	ds_read_b32 v37, v37 offset:12
	s_waitcnt lgkmcnt(0)
	v_mul_f32_e32 v37, v127, v37
.LBB93_401:
	s_or_b64 exec, exec, s[4:5]
	v_cmp_lt_u32_e64 s[0:1], 2, v0
	ds_write_b32 v126, v36
	s_waitcnt lgkmcnt(0)
	; wave barrier
	s_and_saveexec_b64 s[4:5], s[0:1]
	s_cbranch_execz .LBB93_417
; %bb.402:
	s_andn2_b64 vcc, exec, s[62:63]
	s_cbranch_vccnz .LBB93_404
; %bb.403:
	v_cmp_eq_u32_e32 vcc, 1, v0
	v_cndmask_b32_e32 v127, v34, v35, vcc
	v_cmp_eq_u32_e32 vcc, 2, v0
	v_cndmask_b32_e32 v127, v127, v36, vcc
	;; [unrolled: 2-line block ×25, first 2 shown]
	v_cmp_eq_u32_e32 vcc, 26, v0
	ds_read_b32 v128, v126
	v_cndmask_b32_e32 v127, v127, v60, vcc
	v_cmp_eq_u32_e32 vcc, 27, v0
	v_cndmask_b32_e32 v127, v127, v61, vcc
	v_cmp_eq_u32_e32 vcc, 28, v0
	;; [unrolled: 2-line block ×3, first 2 shown]
	v_cndmask_b32_e32 v127, v127, v63, vcc
	s_waitcnt lgkmcnt(0)
	v_mul_f32_e32 v127, v127, v128
	s_cbranch_execz .LBB93_405
	s_branch .LBB93_406
.LBB93_404:
                                        ; implicit-def: $vgpr127
.LBB93_405:
	ds_read_b32 v127, v126
.LBB93_406:
	s_and_saveexec_b64 s[6:7], s[2:3]
	s_cbranch_execz .LBB93_416
; %bb.407:
	v_add_u32_e32 v128, -4, v0
	v_add_u32_e32 v129, -3, v0
	v_cmp_lt_u32_e32 vcc, 6, v128
	v_mov_b32_e32 v128, 3
	s_and_saveexec_b64 s[2:3], vcc
	s_cbranch_execz .LBB93_411
; %bb.408:
	v_and_b32_e32 v128, -8, v129
	v_sub_u32_e32 v130, 0, v128
	s_mov_b64 s[8:9], 10
	s_movk_i32 s12, 0x8c
	s_mov_b64 s[10:11], 0
.LBB93_409:                             ; =>This Inner Loop Header: Depth=1
	s_add_i32 s13, s8, -7
	v_mov_b32_e32 v128, s12
	s_add_i32 s14, s8, -6
	s_set_gpr_idx_on s13, gpr_idx(SRC0)
	v_mov_b32_e32 v137, v34
	s_set_gpr_idx_off
	ds_read2_b32 v[131:132], v128 offset1:1
	s_add_i32 s15, s8, -5
	s_set_gpr_idx_on s14, gpr_idx(SRC0)
	v_mov_b32_e32 v138, v34
	s_set_gpr_idx_off
	s_add_i32 s16, s8, -4
	s_set_gpr_idx_on s15, gpr_idx(SRC0)
	v_mov_b32_e32 v139, v34
	s_set_gpr_idx_off
	ds_read2_b32 v[133:134], v128 offset0:2 offset1:3
	s_add_i32 s17, s8, -3
	s_set_gpr_idx_on s16, gpr_idx(SRC0)
	v_mov_b32_e32 v140, v34
	s_set_gpr_idx_off
	s_add_i32 s18, s8, -2
	s_set_gpr_idx_on s17, gpr_idx(SRC0)
	v_mov_b32_e32 v141, v34
	s_set_gpr_idx_off
	ds_read2_b32 v[135:136], v128 offset0:4 offset1:5
	s_add_i32 s19, s8, -1
	s_waitcnt lgkmcnt(2)
	v_fmac_f32_e32 v127, v137, v131
	s_set_gpr_idx_on s18, gpr_idx(SRC0)
	v_mov_b32_e32 v137, v34
	s_set_gpr_idx_off
	v_fmac_f32_e32 v127, v138, v132
	s_set_gpr_idx_on s19, gpr_idx(SRC0)
	v_mov_b32_e32 v138, v34
	s_set_gpr_idx_off
	ds_read2_b32 v[131:132], v128 offset0:6 offset1:7
	s_waitcnt lgkmcnt(2)
	v_fmac_f32_e32 v127, v139, v133
	s_set_gpr_idx_on s8, gpr_idx(SRC0)
	v_mov_b32_e32 v133, v34
	s_set_gpr_idx_off
	v_fmac_f32_e32 v127, v140, v134
	s_add_u32 s8, s8, 8
	s_waitcnt lgkmcnt(1)
	v_fmac_f32_e32 v127, v141, v135
	v_add_u32_e32 v128, s8, v130
	v_fmac_f32_e32 v127, v137, v136
	s_addc_u32 s9, s9, 0
	s_add_i32 s12, s12, 32
	s_add_i32 s13, s8, -7
	v_cmp_eq_u32_e32 vcc, 10, v128
	s_waitcnt lgkmcnt(0)
	v_fmac_f32_e32 v127, v138, v131
	v_mov_b32_e32 v128, s13
	s_or_b64 s[10:11], vcc, s[10:11]
	v_fmac_f32_e32 v127, v133, v132
	s_andn2_b64 exec, exec, s[10:11]
	s_cbranch_execnz .LBB93_409
; %bb.410:
	s_or_b64 exec, exec, s[10:11]
.LBB93_411:
	s_or_b64 exec, exec, s[2:3]
	v_and_b32_e32 v64, 7, v129
	v_cmp_ne_u32_e32 vcc, 0, v64
	s_and_saveexec_b64 s[8:9], vcc
	s_cbranch_execz .LBB93_415
; %bb.412:
	v_mov_b32_e32 v65, 0x80
	v_lshl_add_u32 v65, v128, 2, v65
	v_mov_b32_e32 v129, 0
	s_mov_b64 s[10:11], 0
.LBB93_413:                             ; =>This Inner Loop Header: Depth=1
	v_cmp_eq_u32_e32 vcc, 1, v128
	v_cndmask_b32_e32 v130, v34, v35, vcc
	v_add_u32_e32 v64, -1, v64
	v_cmp_eq_u32_e32 vcc, 2, v128
	v_cndmask_b32_e32 v130, v130, v36, vcc
	v_cmp_eq_u32_e32 vcc, 0, v64
	v_cmp_eq_u32_e64 s[2:3], 3, v128
	v_cndmask_b32_e64 v130, v130, v37, s[2:3]
	s_or_b64 s[10:11], vcc, s[10:11]
	v_cmp_eq_u32_e32 vcc, 4, v128
	v_cndmask_b32_e32 v130, v130, v38, vcc
	v_cmp_eq_u32_e32 vcc, 5, v128
	v_cndmask_b32_e32 v130, v130, v39, vcc
	;; [unrolled: 2-line block ×21, first 2 shown]
	v_cmp_eq_u32_e32 vcc, 25, v128
	ds_read_b32 v131, v65
	v_cndmask_b32_e32 v130, v130, v59, vcc
	v_cmp_eq_u32_e32 vcc, 26, v128
	v_cndmask_b32_e32 v130, v130, v60, vcc
	v_cmp_eq_u32_e32 vcc, 27, v128
	;; [unrolled: 2-line block ×4, first 2 shown]
	v_add_co_u32_e64 v128, s[2:3], 1, v128
	v_cndmask_b32_e32 v130, v130, v63, vcc
	v_add_u32_e32 v65, 4, v65
	v_addc_co_u32_e64 v129, s[2:3], 0, v129, s[2:3]
	s_waitcnt lgkmcnt(0)
	v_fmac_f32_e32 v127, v130, v131
	s_andn2_b64 exec, exec, s[10:11]
	s_cbranch_execnz .LBB93_413
; %bb.414:
	s_or_b64 exec, exec, s[10:11]
.LBB93_415:
	s_or_b64 exec, exec, s[8:9]
.LBB93_416:
	s_or_b64 exec, exec, s[6:7]
	v_mov_b32_e32 v36, 0
	ds_read_b32 v36, v36 offset:8
	s_waitcnt lgkmcnt(0)
	v_mul_f32_e32 v36, v127, v36
.LBB93_417:
	s_or_b64 exec, exec, s[4:5]
	v_cmp_lt_u32_e64 s[2:3], 1, v0
	ds_write_b32 v126, v35
	s_waitcnt lgkmcnt(0)
	; wave barrier
	s_and_saveexec_b64 s[4:5], s[2:3]
	s_cbranch_execz .LBB93_433
; %bb.418:
	s_andn2_b64 vcc, exec, s[62:63]
	s_cbranch_vccnz .LBB93_420
; %bb.419:
	v_cmp_eq_u32_e32 vcc, 1, v0
	v_cndmask_b32_e32 v127, v34, v35, vcc
	v_cmp_eq_u32_e32 vcc, 2, v0
	v_cndmask_b32_e32 v127, v127, v36, vcc
	;; [unrolled: 2-line block ×25, first 2 shown]
	v_cmp_eq_u32_e32 vcc, 26, v0
	ds_read_b32 v128, v126
	v_cndmask_b32_e32 v127, v127, v60, vcc
	v_cmp_eq_u32_e32 vcc, 27, v0
	v_cndmask_b32_e32 v127, v127, v61, vcc
	v_cmp_eq_u32_e32 vcc, 28, v0
	;; [unrolled: 2-line block ×3, first 2 shown]
	v_cndmask_b32_e32 v127, v127, v63, vcc
	s_waitcnt lgkmcnt(0)
	v_mul_f32_e32 v127, v127, v128
	s_cbranch_execz .LBB93_421
	s_branch .LBB93_422
.LBB93_420:
                                        ; implicit-def: $vgpr127
.LBB93_421:
	ds_read_b32 v127, v126
.LBB93_422:
	s_and_saveexec_b64 s[6:7], s[0:1]
	s_cbranch_execz .LBB93_432
; %bb.423:
	v_add_u32_e32 v128, -3, v0
	v_add_u32_e32 v129, -2, v0
	v_cmp_lt_u32_e32 vcc, 6, v128
	v_mov_b32_e32 v128, 2
	s_and_saveexec_b64 s[0:1], vcc
	s_cbranch_execz .LBB93_427
; %bb.424:
	v_and_b32_e32 v128, -8, v129
	v_sub_u32_e32 v130, 0, v128
	s_mov_b64 s[8:9], 9
	s_movk_i32 s12, 0x88
	s_mov_b64 s[10:11], 0
.LBB93_425:                             ; =>This Inner Loop Header: Depth=1
	s_add_i32 s13, s8, -7
	v_mov_b32_e32 v128, s12
	s_add_i32 s14, s8, -6
	s_set_gpr_idx_on s13, gpr_idx(SRC0)
	v_mov_b32_e32 v139, v34
	s_set_gpr_idx_off
	ds_read2_b64 v[131:134], v128 offset1:1
	s_add_i32 s15, s8, -5
	s_set_gpr_idx_on s14, gpr_idx(SRC0)
	v_mov_b32_e32 v140, v34
	s_set_gpr_idx_off
	s_add_i32 s16, s8, -4
	s_set_gpr_idx_on s15, gpr_idx(SRC0)
	v_mov_b32_e32 v141, v34
	s_set_gpr_idx_off
	;; [unrolled: 4-line block ×4, first 2 shown]
	ds_read2_b64 v[135:138], v128 offset0:2 offset1:3
	s_add_i32 s19, s8, -1
	s_waitcnt lgkmcnt(1)
	v_fmac_f32_e32 v127, v139, v131
	s_set_gpr_idx_on s18, gpr_idx(SRC0)
	v_mov_b32_e32 v131, v34
	s_set_gpr_idx_off
	v_fmac_f32_e32 v127, v140, v132
	s_set_gpr_idx_on s19, gpr_idx(SRC0)
	v_mov_b32_e32 v132, v34
	s_set_gpr_idx_off
	;; [unrolled: 4-line block ×3, first 2 shown]
	v_fmac_f32_e32 v127, v142, v134
	s_add_u32 s8, s8, 8
	s_waitcnt lgkmcnt(0)
	v_fmac_f32_e32 v127, v143, v135
	v_add_u32_e32 v128, s8, v130
	v_fmac_f32_e32 v127, v131, v136
	s_addc_u32 s9, s9, 0
	s_add_i32 s12, s12, 32
	s_add_i32 s13, s8, -7
	v_cmp_eq_u32_e32 vcc, 9, v128
	v_fmac_f32_e32 v127, v132, v137
	v_mov_b32_e32 v128, s13
	s_or_b64 s[10:11], vcc, s[10:11]
	v_fmac_f32_e32 v127, v133, v138
	s_andn2_b64 exec, exec, s[10:11]
	s_cbranch_execnz .LBB93_425
; %bb.426:
	s_or_b64 exec, exec, s[10:11]
.LBB93_427:
	s_or_b64 exec, exec, s[0:1]
	v_and_b32_e32 v64, 7, v129
	v_cmp_ne_u32_e32 vcc, 0, v64
	s_and_saveexec_b64 s[8:9], vcc
	s_cbranch_execz .LBB93_431
; %bb.428:
	v_mov_b32_e32 v65, 0x80
	v_lshl_add_u32 v65, v128, 2, v65
	v_mov_b32_e32 v129, 0
	s_mov_b64 s[10:11], 0
.LBB93_429:                             ; =>This Inner Loop Header: Depth=1
	v_cmp_eq_u32_e32 vcc, 1, v128
	v_cndmask_b32_e32 v130, v34, v35, vcc
	v_add_u32_e32 v64, -1, v64
	v_cmp_eq_u32_e32 vcc, 2, v128
	v_cndmask_b32_e32 v130, v130, v36, vcc
	v_cmp_eq_u32_e32 vcc, 0, v64
	v_cmp_eq_u32_e64 s[0:1], 3, v128
	v_cndmask_b32_e64 v130, v130, v37, s[0:1]
	s_or_b64 s[10:11], vcc, s[10:11]
	v_cmp_eq_u32_e32 vcc, 4, v128
	v_cndmask_b32_e32 v130, v130, v38, vcc
	v_cmp_eq_u32_e32 vcc, 5, v128
	v_cndmask_b32_e32 v130, v130, v39, vcc
	v_cmp_eq_u32_e32 vcc, 6, v128
	v_cndmask_b32_e32 v130, v130, v40, vcc
	v_cmp_eq_u32_e32 vcc, 7, v128
	v_cndmask_b32_e32 v130, v130, v41, vcc
	v_cmp_eq_u32_e32 vcc, 8, v128
	v_cndmask_b32_e32 v130, v130, v42, vcc
	v_cmp_eq_u32_e32 vcc, 9, v128
	v_cndmask_b32_e32 v130, v130, v43, vcc
	v_cmp_eq_u32_e32 vcc, 10, v128
	v_cndmask_b32_e32 v130, v130, v44, vcc
	v_cmp_eq_u32_e32 vcc, 11, v128
	v_cndmask_b32_e32 v130, v130, v45, vcc
	v_cmp_eq_u32_e32 vcc, 12, v128
	v_cndmask_b32_e32 v130, v130, v46, vcc
	v_cmp_eq_u32_e32 vcc, 13, v128
	v_cndmask_b32_e32 v130, v130, v47, vcc
	v_cmp_eq_u32_e32 vcc, 14, v128
	v_cndmask_b32_e32 v130, v130, v48, vcc
	v_cmp_eq_u32_e32 vcc, 15, v128
	v_cndmask_b32_e32 v130, v130, v49, vcc
	v_cmp_eq_u32_e32 vcc, 16, v128
	v_cndmask_b32_e32 v130, v130, v50, vcc
	v_cmp_eq_u32_e32 vcc, 17, v128
	v_cndmask_b32_e32 v130, v130, v51, vcc
	v_cmp_eq_u32_e32 vcc, 18, v128
	v_cndmask_b32_e32 v130, v130, v52, vcc
	v_cmp_eq_u32_e32 vcc, 19, v128
	v_cndmask_b32_e32 v130, v130, v53, vcc
	v_cmp_eq_u32_e32 vcc, 20, v128
	v_cndmask_b32_e32 v130, v130, v54, vcc
	v_cmp_eq_u32_e32 vcc, 21, v128
	v_cndmask_b32_e32 v130, v130, v55, vcc
	v_cmp_eq_u32_e32 vcc, 22, v128
	v_cndmask_b32_e32 v130, v130, v56, vcc
	v_cmp_eq_u32_e32 vcc, 23, v128
	v_cndmask_b32_e32 v130, v130, v57, vcc
	v_cmp_eq_u32_e32 vcc, 24, v128
	v_cndmask_b32_e32 v130, v130, v58, vcc
	v_cmp_eq_u32_e32 vcc, 25, v128
	ds_read_b32 v131, v65
	v_cndmask_b32_e32 v130, v130, v59, vcc
	v_cmp_eq_u32_e32 vcc, 26, v128
	v_cndmask_b32_e32 v130, v130, v60, vcc
	v_cmp_eq_u32_e32 vcc, 27, v128
	;; [unrolled: 2-line block ×4, first 2 shown]
	v_add_co_u32_e64 v128, s[0:1], 1, v128
	v_cndmask_b32_e32 v130, v130, v63, vcc
	v_add_u32_e32 v65, 4, v65
	v_addc_co_u32_e64 v129, s[0:1], 0, v129, s[0:1]
	s_waitcnt lgkmcnt(0)
	v_fmac_f32_e32 v127, v130, v131
	s_andn2_b64 exec, exec, s[10:11]
	s_cbranch_execnz .LBB93_429
; %bb.430:
	s_or_b64 exec, exec, s[10:11]
.LBB93_431:
	s_or_b64 exec, exec, s[8:9]
.LBB93_432:
	s_or_b64 exec, exec, s[6:7]
	v_mov_b32_e32 v35, 0
	ds_read_b32 v35, v35 offset:4
	s_waitcnt lgkmcnt(0)
	v_mul_f32_e32 v35, v127, v35
.LBB93_433:
	s_or_b64 exec, exec, s[4:5]
	v_cmp_ne_u32_e32 vcc, 0, v0
	ds_write_b32 v126, v34
	s_waitcnt lgkmcnt(0)
	; wave barrier
	s_and_saveexec_b64 s[4:5], vcc
	s_cbranch_execz .LBB93_449
; %bb.434:
	s_andn2_b64 vcc, exec, s[62:63]
	s_cbranch_vccnz .LBB93_436
; %bb.435:
	v_cmp_eq_u32_e32 vcc, 1, v0
	v_cndmask_b32_e32 v127, v34, v35, vcc
	v_cmp_eq_u32_e32 vcc, 2, v0
	v_cndmask_b32_e32 v127, v127, v36, vcc
	;; [unrolled: 2-line block ×25, first 2 shown]
	v_cmp_eq_u32_e32 vcc, 26, v0
	ds_read_b32 v128, v126
	v_cndmask_b32_e32 v127, v127, v60, vcc
	v_cmp_eq_u32_e32 vcc, 27, v0
	v_cndmask_b32_e32 v127, v127, v61, vcc
	v_cmp_eq_u32_e32 vcc, 28, v0
	;; [unrolled: 2-line block ×3, first 2 shown]
	v_cndmask_b32_e32 v127, v127, v63, vcc
	s_waitcnt lgkmcnt(0)
	v_mul_f32_e32 v127, v127, v128
	s_cbranch_execz .LBB93_437
	s_branch .LBB93_438
.LBB93_436:
                                        ; implicit-def: $vgpr127
.LBB93_437:
	ds_read_b32 v127, v126
.LBB93_438:
	s_and_saveexec_b64 s[6:7], s[2:3]
	s_cbranch_execz .LBB93_448
; %bb.439:
	v_add_u32_e32 v128, -2, v0
	v_add_u32_e32 v129, -1, v0
	v_cmp_lt_u32_e32 vcc, 6, v128
	v_mov_b32_e32 v128, 1
	s_and_saveexec_b64 s[0:1], vcc
	s_cbranch_execz .LBB93_443
; %bb.440:
	v_and_b32_e32 v128, -8, v129
	v_sub_u32_e32 v130, 0, v128
	s_mov_b64 s[2:3], 8
	s_movk_i32 s10, 0x84
	s_mov_b64 s[8:9], 0
.LBB93_441:                             ; =>This Inner Loop Header: Depth=1
	s_add_i32 s11, s2, -7
	v_mov_b32_e32 v128, s10
	s_add_i32 s12, s2, -6
	s_set_gpr_idx_on s11, gpr_idx(SRC0)
	v_mov_b32_e32 v137, v34
	s_set_gpr_idx_off
	ds_read2_b32 v[131:132], v128 offset1:1
	s_add_i32 s13, s2, -5
	s_set_gpr_idx_on s12, gpr_idx(SRC0)
	v_mov_b32_e32 v138, v34
	s_set_gpr_idx_off
	s_add_i32 s14, s2, -4
	s_set_gpr_idx_on s13, gpr_idx(SRC0)
	v_mov_b32_e32 v139, v34
	s_set_gpr_idx_off
	ds_read2_b32 v[133:134], v128 offset0:2 offset1:3
	s_add_i32 s15, s2, -3
	s_set_gpr_idx_on s14, gpr_idx(SRC0)
	v_mov_b32_e32 v140, v34
	s_set_gpr_idx_off
	s_add_i32 s16, s2, -2
	s_set_gpr_idx_on s15, gpr_idx(SRC0)
	v_mov_b32_e32 v141, v34
	s_set_gpr_idx_off
	ds_read2_b32 v[135:136], v128 offset0:4 offset1:5
	s_add_i32 s17, s2, -1
	s_waitcnt lgkmcnt(2)
	v_fmac_f32_e32 v127, v137, v131
	s_set_gpr_idx_on s16, gpr_idx(SRC0)
	v_mov_b32_e32 v137, v34
	s_set_gpr_idx_off
	v_fmac_f32_e32 v127, v138, v132
	s_set_gpr_idx_on s17, gpr_idx(SRC0)
	v_mov_b32_e32 v138, v34
	s_set_gpr_idx_off
	ds_read2_b32 v[131:132], v128 offset0:6 offset1:7
	s_waitcnt lgkmcnt(2)
	v_fmac_f32_e32 v127, v139, v133
	s_set_gpr_idx_on s2, gpr_idx(SRC0)
	v_mov_b32_e32 v133, v34
	s_set_gpr_idx_off
	v_fmac_f32_e32 v127, v140, v134
	s_add_u32 s2, s2, 8
	s_waitcnt lgkmcnt(1)
	v_fmac_f32_e32 v127, v141, v135
	v_add_u32_e32 v128, s2, v130
	v_fmac_f32_e32 v127, v137, v136
	s_addc_u32 s3, s3, 0
	s_add_i32 s10, s10, 32
	s_add_i32 s11, s2, -7
	v_cmp_eq_u32_e32 vcc, 8, v128
	s_waitcnt lgkmcnt(0)
	v_fmac_f32_e32 v127, v138, v131
	v_mov_b32_e32 v128, s11
	s_or_b64 s[8:9], vcc, s[8:9]
	v_fmac_f32_e32 v127, v133, v132
	s_andn2_b64 exec, exec, s[8:9]
	s_cbranch_execnz .LBB93_441
; %bb.442:
	s_or_b64 exec, exec, s[8:9]
.LBB93_443:
	s_or_b64 exec, exec, s[0:1]
	v_and_b32_e32 v64, 7, v129
	v_cmp_ne_u32_e32 vcc, 0, v64
	s_and_saveexec_b64 s[2:3], vcc
	s_cbranch_execz .LBB93_447
; %bb.444:
	v_mov_b32_e32 v65, 0x80
	v_lshl_add_u32 v65, v128, 2, v65
	v_mov_b32_e32 v129, 0
	s_mov_b64 s[8:9], 0
.LBB93_445:                             ; =>This Inner Loop Header: Depth=1
	v_cmp_eq_u32_e32 vcc, 1, v128
	v_cndmask_b32_e32 v130, v34, v35, vcc
	v_add_u32_e32 v64, -1, v64
	v_cmp_eq_u32_e32 vcc, 2, v128
	v_cndmask_b32_e32 v130, v130, v36, vcc
	v_cmp_eq_u32_e32 vcc, 0, v64
	v_cmp_eq_u32_e64 s[0:1], 3, v128
	v_cndmask_b32_e64 v130, v130, v37, s[0:1]
	s_or_b64 s[8:9], vcc, s[8:9]
	v_cmp_eq_u32_e32 vcc, 4, v128
	v_cndmask_b32_e32 v130, v130, v38, vcc
	v_cmp_eq_u32_e32 vcc, 5, v128
	v_cndmask_b32_e32 v130, v130, v39, vcc
	;; [unrolled: 2-line block ×21, first 2 shown]
	v_cmp_eq_u32_e32 vcc, 25, v128
	ds_read_b32 v131, v65
	v_cndmask_b32_e32 v130, v130, v59, vcc
	v_cmp_eq_u32_e32 vcc, 26, v128
	v_cndmask_b32_e32 v130, v130, v60, vcc
	v_cmp_eq_u32_e32 vcc, 27, v128
	v_cndmask_b32_e32 v130, v130, v61, vcc
	v_cmp_eq_u32_e32 vcc, 28, v128
	v_cndmask_b32_e32 v130, v130, v62, vcc
	v_cmp_eq_u32_e32 vcc, 29, v128
	v_add_co_u32_e64 v128, s[0:1], 1, v128
	v_cndmask_b32_e32 v130, v130, v63, vcc
	v_add_u32_e32 v65, 4, v65
	v_addc_co_u32_e64 v129, s[0:1], 0, v129, s[0:1]
	s_waitcnt lgkmcnt(0)
	v_fmac_f32_e32 v127, v130, v131
	s_andn2_b64 exec, exec, s[8:9]
	s_cbranch_execnz .LBB93_445
; %bb.446:
	s_or_b64 exec, exec, s[8:9]
.LBB93_447:
	s_or_b64 exec, exec, s[2:3]
.LBB93_448:
	s_or_b64 exec, exec, s[6:7]
	v_mov_b32_e32 v34, 0
	ds_read_b32 v34, v34
	s_waitcnt lgkmcnt(0)
	v_mul_f32_e32 v34, v127, v34
.LBB93_449:
	s_or_b64 exec, exec, s[4:5]
	s_branch .LBB93_743
.LBB93_450:
	v_cmp_eq_u32_e64 s[2:3], 0, v0
	s_waitcnt vmcnt(0) lgkmcnt(0)
	ds_write_b32 v126, v3
	s_waitcnt lgkmcnt(0)
	; wave barrier
	s_and_saveexec_b64 s[0:1], s[2:3]
	s_cbranch_execz .LBB93_456
; %bb.451:
	s_and_b64 vcc, exec, s[62:63]
	s_cbranch_vccz .LBB93_453
; %bb.452:
	v_cmp_eq_u32_e32 vcc, 1, v0
	v_cndmask_b32_e32 v3, v2, v3, vcc
	v_cmp_eq_u32_e32 vcc, 2, v0
	v_cndmask_b32_e32 v3, v3, v4, vcc
	;; [unrolled: 2-line block ×25, first 2 shown]
	v_cmp_eq_u32_e32 vcc, 26, v0
	ds_read_b32 v32, v126
	v_cndmask_b32_e32 v3, v3, v28, vcc
	v_cmp_eq_u32_e32 vcc, 27, v0
	v_cndmask_b32_e32 v3, v3, v29, vcc
	v_cmp_eq_u32_e32 vcc, 28, v0
	;; [unrolled: 2-line block ×3, first 2 shown]
	v_cndmask_b32_e32 v3, v3, v31, vcc
	s_waitcnt lgkmcnt(0)
	v_mul_f32_e32 v3, v3, v32
	s_cbranch_execz .LBB93_454
	s_branch .LBB93_455
.LBB93_453:
                                        ; implicit-def: $vgpr3
.LBB93_454:
	ds_read_b32 v3, v126
.LBB93_455:
	v_mov_b32_e32 v32, 0
	ds_read_b32 v32, v32 offset:4
	s_waitcnt lgkmcnt(0)
	v_mul_f32_e32 v3, v3, v32
.LBB93_456:
	s_or_b64 exec, exec, s[0:1]
	v_cndmask_b32_e64 v34, 0, 1, s[62:63]
	v_cmp_gt_u32_e32 vcc, 2, v0
	v_cmp_ne_u32_e64 s[0:1], 1, v34
	ds_write_b32 v126, v4
	s_waitcnt lgkmcnt(0)
	; wave barrier
	s_and_saveexec_b64 s[4:5], vcc
	s_cbranch_execz .LBB93_462
; %bb.457:
	s_and_b64 vcc, exec, s[0:1]
	s_cbranch_vccnz .LBB93_459
; %bb.458:
	v_cmp_eq_u32_e32 vcc, 1, v0
	v_cndmask_b32_e32 v32, v2, v3, vcc
	v_cmp_eq_u32_e32 vcc, 2, v0
	v_cndmask_b32_e32 v4, v32, v4, vcc
	;; [unrolled: 2-line block ×25, first 2 shown]
	v_cmp_eq_u32_e32 vcc, 26, v0
	ds_read_b32 v32, v126
	v_cndmask_b32_e32 v4, v4, v28, vcc
	v_cmp_eq_u32_e32 vcc, 27, v0
	v_cndmask_b32_e32 v4, v4, v29, vcc
	v_cmp_eq_u32_e32 vcc, 28, v0
	;; [unrolled: 2-line block ×3, first 2 shown]
	v_cndmask_b32_e32 v4, v4, v31, vcc
	s_waitcnt lgkmcnt(0)
	v_mul_f32_e32 v4, v4, v32
	s_cbranch_execz .LBB93_460
	s_branch .LBB93_461
.LBB93_459:
                                        ; implicit-def: $vgpr4
.LBB93_460:
	ds_read_b32 v4, v126
.LBB93_461:
	v_mov_b32_e32 v32, 0
	ds_read2_b32 v[32:33], v32 offset0:2 offset1:33
	s_waitcnt lgkmcnt(0)
	v_fma_f32 v33, v3, v33, v4
	v_cndmask_b32_e64 v4, v4, v33, s[2:3]
	v_mul_f32_e32 v4, v4, v32
.LBB93_462:
	s_or_b64 exec, exec, s[4:5]
	v_add_u32_e32 v34, 1, v0
	v_cmp_gt_u32_e64 s[4:5], 3, v0
	ds_write_b32 v126, v5
	s_waitcnt lgkmcnt(0)
	; wave barrier
	s_and_saveexec_b64 s[6:7], s[4:5]
	s_cbranch_execz .LBB93_470
; %bb.463:
	s_and_b64 vcc, exec, s[0:1]
	s_cbranch_vccnz .LBB93_465
; %bb.464:
	v_cmp_eq_u32_e32 vcc, 1, v0
	v_cndmask_b32_e32 v32, v2, v3, vcc
	v_cmp_eq_u32_e32 vcc, 2, v0
	v_cndmask_b32_e32 v32, v32, v4, vcc
	;; [unrolled: 2-line block ×25, first 2 shown]
	v_cmp_eq_u32_e32 vcc, 26, v0
	ds_read_b32 v33, v126
	v_cndmask_b32_e32 v32, v32, v28, vcc
	v_cmp_eq_u32_e32 vcc, 27, v0
	v_cndmask_b32_e32 v32, v32, v29, vcc
	v_cmp_eq_u32_e32 vcc, 28, v0
	;; [unrolled: 2-line block ×3, first 2 shown]
	v_cndmask_b32_e32 v32, v32, v31, vcc
	s_waitcnt lgkmcnt(0)
	v_mul_f32_e32 v32, v32, v33
	s_cbranch_execz .LBB93_466
	s_branch .LBB93_467
.LBB93_465:
                                        ; implicit-def: $vgpr32
.LBB93_466:
	ds_read_b32 v32, v126
.LBB93_467:
	v_cmp_ne_u32_e32 vcc, 2, v0
	s_and_saveexec_b64 s[8:9], vcc
	s_cbranch_execz .LBB93_469
; %bb.468:
	v_cmp_eq_u32_e32 vcc, 1, v34
	v_cndmask_b32_e32 v33, v2, v3, vcc
	v_cmp_eq_u32_e32 vcc, 2, v34
	v_cndmask_b32_e32 v33, v33, v4, vcc
	;; [unrolled: 2-line block ×25, first 2 shown]
	v_cmp_eq_u32_e32 vcc, 26, v34
	v_mov_b32_e32 v33, 0
	v_cndmask_b32_e32 v5, v5, v28, vcc
	v_cmp_eq_u32_e32 vcc, 27, v34
	ds_read_b32 v35, v126 offset:4
	ds_read_b32 v33, v33 offset:136
	v_cndmask_b32_e32 v5, v5, v29, vcc
	v_cmp_eq_u32_e32 vcc, 28, v34
	v_cndmask_b32_e32 v5, v5, v30, vcc
	v_cmp_eq_u32_e32 vcc, 29, v34
	v_cndmask_b32_e32 v5, v5, v31, vcc
	s_waitcnt lgkmcnt(1)
	v_fmac_f32_e32 v32, v5, v35
	s_waitcnt lgkmcnt(0)
	v_fma_f32 v5, v4, v33, v32
	v_cndmask_b32_e64 v32, v32, v5, s[2:3]
.LBB93_469:
	s_or_b64 exec, exec, s[8:9]
	v_mov_b32_e32 v5, 0
	ds_read_b32 v5, v5 offset:12
	s_waitcnt lgkmcnt(0)
	v_mul_f32_e32 v5, v32, v5
.LBB93_470:
	s_or_b64 exec, exec, s[6:7]
	v_cmp_gt_u32_e32 vcc, 4, v0
	ds_write_b32 v126, v6
	s_waitcnt lgkmcnt(0)
	; wave barrier
	s_and_saveexec_b64 s[8:9], vcc
	s_cbranch_execz .LBB93_480
; %bb.471:
	s_and_b64 vcc, exec, s[0:1]
	s_cbranch_vccnz .LBB93_473
; %bb.472:
	v_cmp_eq_u32_e32 vcc, 1, v0
	v_cndmask_b32_e32 v32, v2, v3, vcc
	v_cmp_eq_u32_e32 vcc, 2, v0
	v_cndmask_b32_e32 v32, v32, v4, vcc
	;; [unrolled: 2-line block ×25, first 2 shown]
	v_cmp_eq_u32_e32 vcc, 26, v0
	ds_read_b32 v33, v126
	v_cndmask_b32_e32 v32, v32, v28, vcc
	v_cmp_eq_u32_e32 vcc, 27, v0
	v_cndmask_b32_e32 v32, v32, v29, vcc
	v_cmp_eq_u32_e32 vcc, 28, v0
	;; [unrolled: 2-line block ×3, first 2 shown]
	v_cndmask_b32_e32 v32, v32, v31, vcc
	s_waitcnt lgkmcnt(0)
	v_mul_f32_e32 v35, v32, v33
	s_cbranch_execz .LBB93_474
	s_branch .LBB93_475
.LBB93_473:
                                        ; implicit-def: $vgpr35
.LBB93_474:
	ds_read_b32 v35, v126
.LBB93_475:
	v_cmp_ne_u32_e32 vcc, 3, v0
	s_and_saveexec_b64 s[10:11], vcc
	s_cbranch_execz .LBB93_479
; %bb.476:
	v_mov_b32_e32 v32, 0x84
	v_lshl_add_u32 v36, v0, 2, v32
	v_mov_b32_e32 v33, v1
	s_mov_b64 s[12:13], 0
	v_mov_b32_e32 v32, v0
.LBB93_477:                             ; =>This Inner Loop Header: Depth=1
	v_add_co_u32_e32 v32, vcc, 1, v32
	v_addc_co_u32_e32 v33, vcc, 0, v33, vcc
	v_cmp_eq_u32_e32 vcc, 1, v32
	v_cndmask_b32_e32 v38, v2, v3, vcc
	v_cmp_lt_u32_e32 vcc, 2, v32
	v_cmp_eq_u32_e64 s[6:7], 2, v32
	v_cndmask_b32_e64 v38, v38, v4, s[6:7]
	s_or_b64 s[12:13], vcc, s[12:13]
	v_cmp_eq_u32_e32 vcc, 3, v32
	v_cndmask_b32_e32 v38, v38, v5, vcc
	v_cmp_eq_u32_e32 vcc, 4, v32
	v_cndmask_b32_e32 v38, v38, v6, vcc
	;; [unrolled: 2-line block ×22, first 2 shown]
	v_cmp_eq_u32_e32 vcc, 25, v32
	ds_read_b32 v37, v36
	v_cndmask_b32_e32 v38, v38, v27, vcc
	v_cmp_eq_u32_e32 vcc, 26, v32
	v_cndmask_b32_e32 v38, v38, v28, vcc
	v_cmp_eq_u32_e32 vcc, 27, v32
	;; [unrolled: 2-line block ×4, first 2 shown]
	v_cndmask_b32_e32 v38, v38, v31, vcc
	v_add_u32_e32 v36, 4, v36
	s_waitcnt lgkmcnt(0)
	v_fmac_f32_e32 v35, v38, v37
	s_andn2_b64 exec, exec, s[12:13]
	s_cbranch_execnz .LBB93_477
; %bb.478:
	s_or_b64 exec, exec, s[12:13]
.LBB93_479:
	s_or_b64 exec, exec, s[10:11]
	v_mov_b32_e32 v6, 0
	ds_read_b32 v6, v6 offset:16
	s_waitcnt lgkmcnt(0)
	v_mul_f32_e32 v6, v35, v6
.LBB93_480:
	s_or_b64 exec, exec, s[8:9]
	v_cmp_gt_u32_e64 s[6:7], 5, v0
	ds_write_b32 v126, v7
	s_waitcnt lgkmcnt(0)
	; wave barrier
	s_and_saveexec_b64 s[10:11], s[6:7]
	s_cbranch_execz .LBB93_490
; %bb.481:
	s_and_b64 vcc, exec, s[0:1]
	s_cbranch_vccnz .LBB93_483
; %bb.482:
	v_cmp_eq_u32_e32 vcc, 1, v0
	v_cndmask_b32_e32 v32, v2, v3, vcc
	v_cmp_eq_u32_e32 vcc, 2, v0
	v_cndmask_b32_e32 v32, v32, v4, vcc
	;; [unrolled: 2-line block ×25, first 2 shown]
	v_cmp_eq_u32_e32 vcc, 26, v0
	ds_read_b32 v33, v126
	v_cndmask_b32_e32 v32, v32, v28, vcc
	v_cmp_eq_u32_e32 vcc, 27, v0
	v_cndmask_b32_e32 v32, v32, v29, vcc
	v_cmp_eq_u32_e32 vcc, 28, v0
	;; [unrolled: 2-line block ×3, first 2 shown]
	v_cndmask_b32_e32 v32, v32, v31, vcc
	s_waitcnt lgkmcnt(0)
	v_mul_f32_e32 v35, v32, v33
	s_cbranch_execz .LBB93_484
	s_branch .LBB93_485
.LBB93_483:
                                        ; implicit-def: $vgpr35
.LBB93_484:
	ds_read_b32 v35, v126
.LBB93_485:
	v_cmp_ne_u32_e32 vcc, 4, v0
	s_and_saveexec_b64 s[12:13], vcc
	s_cbranch_execz .LBB93_489
; %bb.486:
	v_mov_b32_e32 v32, 0x84
	v_lshl_add_u32 v36, v0, 2, v32
	v_mov_b32_e32 v33, v1
	s_mov_b64 s[14:15], 0
	v_mov_b32_e32 v32, v0
.LBB93_487:                             ; =>This Inner Loop Header: Depth=1
	v_add_co_u32_e32 v32, vcc, 1, v32
	v_addc_co_u32_e32 v33, vcc, 0, v33, vcc
	v_cmp_eq_u32_e32 vcc, 1, v32
	v_cndmask_b32_e32 v38, v2, v3, vcc
	v_cmp_lt_u32_e32 vcc, 3, v32
	v_cmp_eq_u32_e64 s[8:9], 2, v32
	v_cndmask_b32_e64 v38, v38, v4, s[8:9]
	s_or_b64 s[14:15], vcc, s[14:15]
	v_cmp_eq_u32_e32 vcc, 3, v32
	v_cndmask_b32_e32 v38, v38, v5, vcc
	v_cmp_eq_u32_e32 vcc, 4, v32
	v_cndmask_b32_e32 v38, v38, v6, vcc
	;; [unrolled: 2-line block ×22, first 2 shown]
	v_cmp_eq_u32_e32 vcc, 25, v32
	ds_read_b32 v37, v36
	v_cndmask_b32_e32 v38, v38, v27, vcc
	v_cmp_eq_u32_e32 vcc, 26, v32
	v_cndmask_b32_e32 v38, v38, v28, vcc
	v_cmp_eq_u32_e32 vcc, 27, v32
	;; [unrolled: 2-line block ×4, first 2 shown]
	v_cndmask_b32_e32 v38, v38, v31, vcc
	v_add_u32_e32 v36, 4, v36
	s_waitcnt lgkmcnt(0)
	v_fmac_f32_e32 v35, v38, v37
	s_andn2_b64 exec, exec, s[14:15]
	s_cbranch_execnz .LBB93_487
; %bb.488:
	s_or_b64 exec, exec, s[14:15]
.LBB93_489:
	s_or_b64 exec, exec, s[12:13]
	v_mov_b32_e32 v7, 0
	ds_read_b32 v7, v7 offset:20
	s_waitcnt lgkmcnt(0)
	v_mul_f32_e32 v7, v35, v7
.LBB93_490:
	s_or_b64 exec, exec, s[10:11]
	v_cmp_gt_u32_e32 vcc, 6, v0
	ds_write_b32 v126, v8
	s_waitcnt lgkmcnt(0)
	; wave barrier
	s_and_saveexec_b64 s[10:11], vcc
	s_cbranch_execz .LBB93_500
; %bb.491:
	s_and_b64 vcc, exec, s[0:1]
	s_cbranch_vccnz .LBB93_493
; %bb.492:
	v_cmp_eq_u32_e32 vcc, 1, v0
	v_cndmask_b32_e32 v32, v2, v3, vcc
	v_cmp_eq_u32_e32 vcc, 2, v0
	v_cndmask_b32_e32 v32, v32, v4, vcc
	;; [unrolled: 2-line block ×25, first 2 shown]
	v_cmp_eq_u32_e32 vcc, 26, v0
	ds_read_b32 v33, v126
	v_cndmask_b32_e32 v32, v32, v28, vcc
	v_cmp_eq_u32_e32 vcc, 27, v0
	v_cndmask_b32_e32 v32, v32, v29, vcc
	v_cmp_eq_u32_e32 vcc, 28, v0
	;; [unrolled: 2-line block ×3, first 2 shown]
	v_cndmask_b32_e32 v32, v32, v31, vcc
	s_waitcnt lgkmcnt(0)
	v_mul_f32_e32 v35, v32, v33
	s_cbranch_execz .LBB93_494
	s_branch .LBB93_495
.LBB93_493:
                                        ; implicit-def: $vgpr35
.LBB93_494:
	ds_read_b32 v35, v126
.LBB93_495:
	v_cmp_ne_u32_e32 vcc, 5, v0
	s_and_saveexec_b64 s[12:13], vcc
	s_cbranch_execz .LBB93_499
; %bb.496:
	v_mov_b32_e32 v32, 0x84
	v_lshl_add_u32 v36, v0, 2, v32
	v_mov_b32_e32 v33, v1
	s_mov_b64 s[14:15], 0
	v_mov_b32_e32 v32, v0
.LBB93_497:                             ; =>This Inner Loop Header: Depth=1
	v_add_co_u32_e32 v32, vcc, 1, v32
	v_addc_co_u32_e32 v33, vcc, 0, v33, vcc
	v_cmp_eq_u32_e32 vcc, 1, v32
	v_cndmask_b32_e32 v38, v2, v3, vcc
	v_cmp_lt_u32_e32 vcc, 4, v32
	v_cmp_eq_u32_e64 s[8:9], 2, v32
	v_cndmask_b32_e64 v38, v38, v4, s[8:9]
	s_or_b64 s[14:15], vcc, s[14:15]
	v_cmp_eq_u32_e32 vcc, 3, v32
	v_cndmask_b32_e32 v38, v38, v5, vcc
	v_cmp_eq_u32_e32 vcc, 4, v32
	v_cndmask_b32_e32 v38, v38, v6, vcc
	;; [unrolled: 2-line block ×22, first 2 shown]
	v_cmp_eq_u32_e32 vcc, 25, v32
	ds_read_b32 v37, v36
	v_cndmask_b32_e32 v38, v38, v27, vcc
	v_cmp_eq_u32_e32 vcc, 26, v32
	v_cndmask_b32_e32 v38, v38, v28, vcc
	v_cmp_eq_u32_e32 vcc, 27, v32
	;; [unrolled: 2-line block ×4, first 2 shown]
	v_cndmask_b32_e32 v38, v38, v31, vcc
	v_add_u32_e32 v36, 4, v36
	s_waitcnt lgkmcnt(0)
	v_fmac_f32_e32 v35, v38, v37
	s_andn2_b64 exec, exec, s[14:15]
	s_cbranch_execnz .LBB93_497
; %bb.498:
	s_or_b64 exec, exec, s[14:15]
.LBB93_499:
	s_or_b64 exec, exec, s[12:13]
	v_mov_b32_e32 v8, 0
	ds_read_b32 v8, v8 offset:24
	s_waitcnt lgkmcnt(0)
	v_mul_f32_e32 v8, v35, v8
.LBB93_500:
	s_or_b64 exec, exec, s[10:11]
	v_cmp_gt_u32_e64 s[8:9], 7, v0
	ds_write_b32 v126, v9
	s_waitcnt lgkmcnt(0)
	; wave barrier
	s_and_saveexec_b64 s[12:13], s[8:9]
	s_cbranch_execz .LBB93_510
; %bb.501:
	s_and_b64 vcc, exec, s[0:1]
	s_cbranch_vccnz .LBB93_503
; %bb.502:
	v_cmp_eq_u32_e32 vcc, 1, v0
	v_cndmask_b32_e32 v32, v2, v3, vcc
	v_cmp_eq_u32_e32 vcc, 2, v0
	v_cndmask_b32_e32 v32, v32, v4, vcc
	;; [unrolled: 2-line block ×25, first 2 shown]
	v_cmp_eq_u32_e32 vcc, 26, v0
	ds_read_b32 v33, v126
	v_cndmask_b32_e32 v32, v32, v28, vcc
	v_cmp_eq_u32_e32 vcc, 27, v0
	v_cndmask_b32_e32 v32, v32, v29, vcc
	v_cmp_eq_u32_e32 vcc, 28, v0
	;; [unrolled: 2-line block ×3, first 2 shown]
	v_cndmask_b32_e32 v32, v32, v31, vcc
	s_waitcnt lgkmcnt(0)
	v_mul_f32_e32 v35, v32, v33
	s_cbranch_execz .LBB93_504
	s_branch .LBB93_505
.LBB93_503:
                                        ; implicit-def: $vgpr35
.LBB93_504:
	ds_read_b32 v35, v126
.LBB93_505:
	v_cmp_ne_u32_e32 vcc, 6, v0
	s_and_saveexec_b64 s[14:15], vcc
	s_cbranch_execz .LBB93_509
; %bb.506:
	v_mov_b32_e32 v32, 0x84
	v_lshl_add_u32 v36, v0, 2, v32
	v_mov_b32_e32 v33, v1
	s_mov_b64 s[16:17], 0
	v_mov_b32_e32 v32, v0
.LBB93_507:                             ; =>This Inner Loop Header: Depth=1
	v_add_co_u32_e32 v32, vcc, 1, v32
	v_addc_co_u32_e32 v33, vcc, 0, v33, vcc
	v_cmp_eq_u32_e32 vcc, 1, v32
	v_cndmask_b32_e32 v38, v2, v3, vcc
	v_cmp_lt_u32_e32 vcc, 5, v32
	v_cmp_eq_u32_e64 s[10:11], 2, v32
	v_cndmask_b32_e64 v38, v38, v4, s[10:11]
	s_or_b64 s[16:17], vcc, s[16:17]
	v_cmp_eq_u32_e32 vcc, 3, v32
	v_cndmask_b32_e32 v38, v38, v5, vcc
	v_cmp_eq_u32_e32 vcc, 4, v32
	v_cndmask_b32_e32 v38, v38, v6, vcc
	;; [unrolled: 2-line block ×22, first 2 shown]
	v_cmp_eq_u32_e32 vcc, 25, v32
	ds_read_b32 v37, v36
	v_cndmask_b32_e32 v38, v38, v27, vcc
	v_cmp_eq_u32_e32 vcc, 26, v32
	v_cndmask_b32_e32 v38, v38, v28, vcc
	v_cmp_eq_u32_e32 vcc, 27, v32
	;; [unrolled: 2-line block ×4, first 2 shown]
	v_cndmask_b32_e32 v38, v38, v31, vcc
	v_add_u32_e32 v36, 4, v36
	s_waitcnt lgkmcnt(0)
	v_fmac_f32_e32 v35, v38, v37
	s_andn2_b64 exec, exec, s[16:17]
	s_cbranch_execnz .LBB93_507
; %bb.508:
	s_or_b64 exec, exec, s[16:17]
.LBB93_509:
	s_or_b64 exec, exec, s[14:15]
	v_mov_b32_e32 v9, 0
	ds_read_b32 v9, v9 offset:28
	s_waitcnt lgkmcnt(0)
	v_mul_f32_e32 v9, v35, v9
.LBB93_510:
	s_or_b64 exec, exec, s[12:13]
	v_cmp_gt_u32_e32 vcc, 8, v0
	ds_write_b32 v126, v10
	s_waitcnt lgkmcnt(0)
	; wave barrier
	s_and_saveexec_b64 s[12:13], vcc
	s_cbranch_execz .LBB93_520
; %bb.511:
	s_and_b64 vcc, exec, s[0:1]
	s_cbranch_vccnz .LBB93_513
; %bb.512:
	v_cmp_eq_u32_e32 vcc, 1, v0
	v_cndmask_b32_e32 v32, v2, v3, vcc
	v_cmp_eq_u32_e32 vcc, 2, v0
	v_cndmask_b32_e32 v32, v32, v4, vcc
	;; [unrolled: 2-line block ×25, first 2 shown]
	v_cmp_eq_u32_e32 vcc, 26, v0
	ds_read_b32 v33, v126
	v_cndmask_b32_e32 v32, v32, v28, vcc
	v_cmp_eq_u32_e32 vcc, 27, v0
	v_cndmask_b32_e32 v32, v32, v29, vcc
	v_cmp_eq_u32_e32 vcc, 28, v0
	;; [unrolled: 2-line block ×3, first 2 shown]
	v_cndmask_b32_e32 v32, v32, v31, vcc
	s_waitcnt lgkmcnt(0)
	v_mul_f32_e32 v35, v32, v33
	s_cbranch_execz .LBB93_514
	s_branch .LBB93_515
.LBB93_513:
                                        ; implicit-def: $vgpr35
.LBB93_514:
	ds_read_b32 v35, v126
.LBB93_515:
	v_cmp_ne_u32_e32 vcc, 7, v0
	s_and_saveexec_b64 s[14:15], vcc
	s_cbranch_execz .LBB93_519
; %bb.516:
	v_mov_b32_e32 v32, 0x84
	v_lshl_add_u32 v36, v0, 2, v32
	v_mov_b32_e32 v33, v1
	s_mov_b64 s[16:17], 0
	v_mov_b32_e32 v32, v0
.LBB93_517:                             ; =>This Inner Loop Header: Depth=1
	v_add_co_u32_e32 v32, vcc, 1, v32
	v_addc_co_u32_e32 v33, vcc, 0, v33, vcc
	v_cmp_eq_u32_e32 vcc, 1, v32
	v_cndmask_b32_e32 v38, v2, v3, vcc
	v_cmp_lt_u32_e32 vcc, 6, v32
	v_cmp_eq_u32_e64 s[10:11], 2, v32
	v_cndmask_b32_e64 v38, v38, v4, s[10:11]
	s_or_b64 s[16:17], vcc, s[16:17]
	v_cmp_eq_u32_e32 vcc, 3, v32
	v_cndmask_b32_e32 v38, v38, v5, vcc
	v_cmp_eq_u32_e32 vcc, 4, v32
	v_cndmask_b32_e32 v38, v38, v6, vcc
	v_cmp_eq_u32_e32 vcc, 5, v32
	v_cndmask_b32_e32 v38, v38, v7, vcc
	v_cmp_eq_u32_e32 vcc, 6, v32
	v_cndmask_b32_e32 v38, v38, v8, vcc
	v_cmp_eq_u32_e32 vcc, 7, v32
	v_cndmask_b32_e32 v38, v38, v9, vcc
	v_cmp_eq_u32_e32 vcc, 8, v32
	v_cndmask_b32_e32 v38, v38, v10, vcc
	v_cmp_eq_u32_e32 vcc, 9, v32
	v_cndmask_b32_e32 v38, v38, v11, vcc
	v_cmp_eq_u32_e32 vcc, 10, v32
	v_cndmask_b32_e32 v38, v38, v12, vcc
	v_cmp_eq_u32_e32 vcc, 11, v32
	v_cndmask_b32_e32 v38, v38, v13, vcc
	v_cmp_eq_u32_e32 vcc, 12, v32
	v_cndmask_b32_e32 v38, v38, v14, vcc
	v_cmp_eq_u32_e32 vcc, 13, v32
	v_cndmask_b32_e32 v38, v38, v15, vcc
	v_cmp_eq_u32_e32 vcc, 14, v32
	v_cndmask_b32_e32 v38, v38, v16, vcc
	v_cmp_eq_u32_e32 vcc, 15, v32
	v_cndmask_b32_e32 v38, v38, v17, vcc
	v_cmp_eq_u32_e32 vcc, 16, v32
	v_cndmask_b32_e32 v38, v38, v18, vcc
	v_cmp_eq_u32_e32 vcc, 17, v32
	v_cndmask_b32_e32 v38, v38, v19, vcc
	v_cmp_eq_u32_e32 vcc, 18, v32
	v_cndmask_b32_e32 v38, v38, v20, vcc
	v_cmp_eq_u32_e32 vcc, 19, v32
	v_cndmask_b32_e32 v38, v38, v21, vcc
	v_cmp_eq_u32_e32 vcc, 20, v32
	v_cndmask_b32_e32 v38, v38, v22, vcc
	v_cmp_eq_u32_e32 vcc, 21, v32
	v_cndmask_b32_e32 v38, v38, v23, vcc
	v_cmp_eq_u32_e32 vcc, 22, v32
	v_cndmask_b32_e32 v38, v38, v24, vcc
	v_cmp_eq_u32_e32 vcc, 23, v32
	v_cndmask_b32_e32 v38, v38, v25, vcc
	v_cmp_eq_u32_e32 vcc, 24, v32
	v_cndmask_b32_e32 v38, v38, v26, vcc
	v_cmp_eq_u32_e32 vcc, 25, v32
	ds_read_b32 v37, v36
	v_cndmask_b32_e32 v38, v38, v27, vcc
	v_cmp_eq_u32_e32 vcc, 26, v32
	v_cndmask_b32_e32 v38, v38, v28, vcc
	v_cmp_eq_u32_e32 vcc, 27, v32
	;; [unrolled: 2-line block ×4, first 2 shown]
	v_cndmask_b32_e32 v38, v38, v31, vcc
	v_add_u32_e32 v36, 4, v36
	s_waitcnt lgkmcnt(0)
	v_fmac_f32_e32 v35, v38, v37
	s_andn2_b64 exec, exec, s[16:17]
	s_cbranch_execnz .LBB93_517
; %bb.518:
	s_or_b64 exec, exec, s[16:17]
.LBB93_519:
	s_or_b64 exec, exec, s[14:15]
	v_mov_b32_e32 v10, 0
	ds_read_b32 v10, v10 offset:32
	s_waitcnt lgkmcnt(0)
	v_mul_f32_e32 v10, v35, v10
.LBB93_520:
	s_or_b64 exec, exec, s[12:13]
	v_cmp_gt_u32_e32 vcc, 9, v0
	ds_write_b32 v126, v11
	s_waitcnt lgkmcnt(0)
	; wave barrier
	s_and_saveexec_b64 s[10:11], vcc
	s_cbranch_execz .LBB93_542
; %bb.521:
	s_and_b64 vcc, exec, s[0:1]
	s_cbranch_vccnz .LBB93_523
; %bb.522:
	v_cmp_eq_u32_e32 vcc, 1, v0
	v_cndmask_b32_e32 v32, v2, v3, vcc
	v_cmp_eq_u32_e32 vcc, 2, v0
	v_cndmask_b32_e32 v32, v32, v4, vcc
	;; [unrolled: 2-line block ×25, first 2 shown]
	v_cmp_eq_u32_e32 vcc, 26, v0
	ds_read_b32 v33, v126
	v_cndmask_b32_e32 v32, v32, v28, vcc
	v_cmp_eq_u32_e32 vcc, 27, v0
	v_cndmask_b32_e32 v32, v32, v29, vcc
	v_cmp_eq_u32_e32 vcc, 28, v0
	;; [unrolled: 2-line block ×3, first 2 shown]
	v_cndmask_b32_e32 v32, v32, v31, vcc
	s_waitcnt lgkmcnt(0)
	v_mul_f32_e32 v32, v32, v33
	s_cbranch_execz .LBB93_524
	s_branch .LBB93_525
.LBB93_523:
                                        ; implicit-def: $vgpr32
.LBB93_524:
	ds_read_b32 v32, v126
.LBB93_525:
	v_cmp_ne_u32_e32 vcc, 8, v0
	s_and_saveexec_b64 s[12:13], vcc
	s_cbranch_execz .LBB93_541
; %bb.526:
	v_cmp_eq_u32_e32 vcc, 1, v34
	v_cndmask_b32_e32 v33, v2, v3, vcc
	v_cmp_eq_u32_e32 vcc, 2, v34
	v_cndmask_b32_e32 v33, v33, v4, vcc
	;; [unrolled: 2-line block ×25, first 2 shown]
	v_cmp_eq_u32_e32 vcc, 26, v34
	ds_read_b32 v35, v126 offset:4
	v_cndmask_b32_e32 v33, v33, v28, vcc
	v_cmp_eq_u32_e32 vcc, 27, v34
	v_cndmask_b32_e32 v33, v33, v29, vcc
	v_cmp_eq_u32_e32 vcc, 28, v34
	;; [unrolled: 2-line block ×3, first 2 shown]
	v_cndmask_b32_e32 v33, v33, v31, vcc
	s_waitcnt lgkmcnt(0)
	v_fmac_f32_e32 v32, v33, v35
	s_and_saveexec_b64 s[14:15], s[8:9]
	s_cbranch_execz .LBB93_540
; %bb.527:
	v_add_u32_e32 v33, 2, v0
	v_cmp_eq_u32_e32 vcc, 1, v33
	v_cndmask_b32_e32 v34, v2, v3, vcc
	v_cmp_eq_u32_e32 vcc, 2, v33
	v_cndmask_b32_e32 v34, v34, v4, vcc
	;; [unrolled: 2-line block ×25, first 2 shown]
	v_cmp_eq_u32_e32 vcc, 26, v33
	ds_read_b32 v35, v126 offset:8
	v_cndmask_b32_e32 v34, v34, v28, vcc
	v_cmp_eq_u32_e32 vcc, 27, v33
	v_cndmask_b32_e32 v34, v34, v29, vcc
	v_cmp_eq_u32_e32 vcc, 28, v33
	;; [unrolled: 2-line block ×3, first 2 shown]
	v_cndmask_b32_e32 v33, v34, v31, vcc
	s_waitcnt lgkmcnt(0)
	v_fmac_f32_e32 v32, v33, v35
	v_cmp_ne_u32_e32 vcc, 6, v0
	s_and_saveexec_b64 s[8:9], vcc
	s_cbranch_execz .LBB93_539
; %bb.528:
	v_add_u32_e32 v33, 3, v0
	v_cmp_eq_u32_e32 vcc, 1, v33
	v_cndmask_b32_e32 v34, v2, v3, vcc
	v_cmp_eq_u32_e32 vcc, 2, v33
	v_cndmask_b32_e32 v34, v34, v4, vcc
	;; [unrolled: 2-line block ×25, first 2 shown]
	v_cmp_eq_u32_e32 vcc, 26, v33
	ds_read_b32 v35, v126 offset:12
	v_cndmask_b32_e32 v34, v34, v28, vcc
	v_cmp_eq_u32_e32 vcc, 27, v33
	v_cndmask_b32_e32 v34, v34, v29, vcc
	v_cmp_eq_u32_e32 vcc, 28, v33
	v_cndmask_b32_e32 v34, v34, v30, vcc
	v_cmp_eq_u32_e32 vcc, 29, v33
	v_cndmask_b32_e32 v33, v34, v31, vcc
	s_waitcnt lgkmcnt(0)
	v_fmac_f32_e32 v32, v33, v35
	s_and_saveexec_b64 s[16:17], s[6:7]
	s_cbranch_execz .LBB93_538
; %bb.529:
	v_add_u32_e32 v33, 4, v0
	v_cmp_eq_u32_e32 vcc, 1, v33
	v_cndmask_b32_e32 v34, v2, v3, vcc
	v_cmp_eq_u32_e32 vcc, 2, v33
	v_cndmask_b32_e32 v34, v34, v4, vcc
	v_cmp_eq_u32_e32 vcc, 3, v33
	v_cndmask_b32_e32 v34, v34, v5, vcc
	v_cmp_eq_u32_e32 vcc, 4, v33
	v_cndmask_b32_e32 v34, v34, v6, vcc
	v_cmp_eq_u32_e32 vcc, 5, v33
	v_cndmask_b32_e32 v34, v34, v7, vcc
	v_cmp_eq_u32_e32 vcc, 6, v33
	v_cndmask_b32_e32 v34, v34, v8, vcc
	v_cmp_eq_u32_e32 vcc, 7, v33
	v_cndmask_b32_e32 v34, v34, v9, vcc
	v_cmp_eq_u32_e32 vcc, 8, v33
	v_cndmask_b32_e32 v34, v34, v10, vcc
	v_cmp_eq_u32_e32 vcc, 9, v33
	v_cndmask_b32_e32 v34, v34, v11, vcc
	v_cmp_eq_u32_e32 vcc, 10, v33
	v_cndmask_b32_e32 v34, v34, v12, vcc
	v_cmp_eq_u32_e32 vcc, 11, v33
	v_cndmask_b32_e32 v34, v34, v13, vcc
	v_cmp_eq_u32_e32 vcc, 12, v33
	v_cndmask_b32_e32 v34, v34, v14, vcc
	v_cmp_eq_u32_e32 vcc, 13, v33
	v_cndmask_b32_e32 v34, v34, v15, vcc
	v_cmp_eq_u32_e32 vcc, 14, v33
	v_cndmask_b32_e32 v34, v34, v16, vcc
	v_cmp_eq_u32_e32 vcc, 15, v33
	v_cndmask_b32_e32 v34, v34, v17, vcc
	v_cmp_eq_u32_e32 vcc, 16, v33
	v_cndmask_b32_e32 v34, v34, v18, vcc
	v_cmp_eq_u32_e32 vcc, 17, v33
	v_cndmask_b32_e32 v34, v34, v19, vcc
	v_cmp_eq_u32_e32 vcc, 18, v33
	v_cndmask_b32_e32 v34, v34, v20, vcc
	v_cmp_eq_u32_e32 vcc, 19, v33
	v_cndmask_b32_e32 v34, v34, v21, vcc
	v_cmp_eq_u32_e32 vcc, 20, v33
	v_cndmask_b32_e32 v34, v34, v22, vcc
	v_cmp_eq_u32_e32 vcc, 21, v33
	v_cndmask_b32_e32 v34, v34, v23, vcc
	v_cmp_eq_u32_e32 vcc, 22, v33
	v_cndmask_b32_e32 v34, v34, v24, vcc
	v_cmp_eq_u32_e32 vcc, 23, v33
	v_cndmask_b32_e32 v34, v34, v25, vcc
	v_cmp_eq_u32_e32 vcc, 24, v33
	v_cndmask_b32_e32 v34, v34, v26, vcc
	v_cmp_eq_u32_e32 vcc, 25, v33
	v_cndmask_b32_e32 v34, v34, v27, vcc
	v_cmp_eq_u32_e32 vcc, 26, v33
	ds_read_b32 v35, v126 offset:16
	v_cndmask_b32_e32 v34, v34, v28, vcc
	v_cmp_eq_u32_e32 vcc, 27, v33
	v_cndmask_b32_e32 v34, v34, v29, vcc
	v_cmp_eq_u32_e32 vcc, 28, v33
	;; [unrolled: 2-line block ×3, first 2 shown]
	v_cndmask_b32_e32 v33, v34, v31, vcc
	s_waitcnt lgkmcnt(0)
	v_fmac_f32_e32 v32, v33, v35
	v_cmp_ne_u32_e32 vcc, 4, v0
	s_and_saveexec_b64 s[6:7], vcc
	s_cbranch_execz .LBB93_537
; %bb.530:
	v_add_u32_e32 v33, 5, v0
	v_cmp_eq_u32_e32 vcc, 1, v33
	v_cndmask_b32_e32 v34, v2, v3, vcc
	v_cmp_eq_u32_e32 vcc, 2, v33
	v_cndmask_b32_e32 v34, v34, v4, vcc
	;; [unrolled: 2-line block ×25, first 2 shown]
	v_cmp_eq_u32_e32 vcc, 26, v33
	ds_read_b32 v35, v126 offset:20
	v_cndmask_b32_e32 v34, v34, v28, vcc
	v_cmp_eq_u32_e32 vcc, 27, v33
	v_cndmask_b32_e32 v34, v34, v29, vcc
	v_cmp_eq_u32_e32 vcc, 28, v33
	;; [unrolled: 2-line block ×3, first 2 shown]
	v_cndmask_b32_e32 v33, v34, v31, vcc
	s_waitcnt lgkmcnt(0)
	v_fmac_f32_e32 v32, v33, v35
	s_and_saveexec_b64 s[18:19], s[4:5]
	s_cbranch_execz .LBB93_536
; %bb.531:
	v_add_u32_e32 v33, 6, v0
	v_cmp_eq_u32_e32 vcc, 1, v33
	v_cndmask_b32_e32 v34, v2, v3, vcc
	v_cmp_eq_u32_e32 vcc, 2, v33
	v_cndmask_b32_e32 v34, v34, v4, vcc
	;; [unrolled: 2-line block ×25, first 2 shown]
	v_cmp_eq_u32_e32 vcc, 26, v33
	ds_read_b32 v35, v126 offset:24
	v_cndmask_b32_e32 v34, v34, v28, vcc
	v_cmp_eq_u32_e32 vcc, 27, v33
	v_cndmask_b32_e32 v34, v34, v29, vcc
	v_cmp_eq_u32_e32 vcc, 28, v33
	;; [unrolled: 2-line block ×3, first 2 shown]
	v_cndmask_b32_e32 v33, v34, v31, vcc
	s_waitcnt lgkmcnt(0)
	v_fmac_f32_e32 v32, v33, v35
	v_cmp_ne_u32_e32 vcc, 2, v0
	s_and_saveexec_b64 s[4:5], vcc
	s_cbranch_execz .LBB93_535
; %bb.532:
	v_add_u32_e32 v33, 7, v0
	v_cmp_eq_u32_e32 vcc, 1, v33
	v_cndmask_b32_e32 v34, v2, v3, vcc
	v_cmp_eq_u32_e32 vcc, 2, v33
	v_cndmask_b32_e32 v34, v34, v4, vcc
	;; [unrolled: 2-line block ×25, first 2 shown]
	v_cmp_eq_u32_e32 vcc, 26, v33
	ds_read_b32 v34, v126 offset:28
	v_cndmask_b32_e32 v11, v11, v28, vcc
	v_cmp_eq_u32_e32 vcc, 27, v33
	v_cndmask_b32_e32 v11, v11, v29, vcc
	v_cmp_eq_u32_e32 vcc, 28, v33
	;; [unrolled: 2-line block ×3, first 2 shown]
	v_cndmask_b32_e32 v11, v11, v31, vcc
	s_waitcnt lgkmcnt(0)
	v_fmac_f32_e32 v32, v11, v34
	s_and_saveexec_b64 s[20:21], s[2:3]
	s_cbranch_execz .LBB93_534
; %bb.533:
	ds_read_b32 v11, v126 offset:32
	s_waitcnt lgkmcnt(0)
	v_fmac_f32_e32 v32, v10, v11
.LBB93_534:
	s_or_b64 exec, exec, s[20:21]
.LBB93_535:
	s_or_b64 exec, exec, s[4:5]
.LBB93_536:
	s_or_b64 exec, exec, s[18:19]
.LBB93_537:
	s_or_b64 exec, exec, s[6:7]
.LBB93_538:
	s_or_b64 exec, exec, s[16:17]
.LBB93_539:
	s_or_b64 exec, exec, s[8:9]
.LBB93_540:
	s_or_b64 exec, exec, s[14:15]
.LBB93_541:
	s_or_b64 exec, exec, s[12:13]
	v_mov_b32_e32 v11, 0
	ds_read_b32 v11, v11 offset:36
	s_waitcnt lgkmcnt(0)
	v_mul_f32_e32 v11, v32, v11
.LBB93_542:
	s_or_b64 exec, exec, s[10:11]
	v_cmp_gt_u32_e32 vcc, 10, v0
	ds_write_b32 v126, v12
	s_waitcnt lgkmcnt(0)
	; wave barrier
	s_and_saveexec_b64 s[4:5], vcc
	s_cbranch_execz .LBB93_552
; %bb.543:
	s_and_b64 vcc, exec, s[0:1]
	s_cbranch_vccnz .LBB93_545
; %bb.544:
	v_cmp_eq_u32_e32 vcc, 1, v0
	v_cndmask_b32_e32 v32, v2, v3, vcc
	v_cmp_eq_u32_e32 vcc, 2, v0
	v_cndmask_b32_e32 v32, v32, v4, vcc
	;; [unrolled: 2-line block ×25, first 2 shown]
	v_cmp_eq_u32_e32 vcc, 26, v0
	ds_read_b32 v33, v126
	v_cndmask_b32_e32 v32, v32, v28, vcc
	v_cmp_eq_u32_e32 vcc, 27, v0
	v_cndmask_b32_e32 v32, v32, v29, vcc
	v_cmp_eq_u32_e32 vcc, 28, v0
	v_cndmask_b32_e32 v32, v32, v30, vcc
	v_cmp_eq_u32_e32 vcc, 29, v0
	v_cndmask_b32_e32 v32, v32, v31, vcc
	s_waitcnt lgkmcnt(0)
	v_mul_f32_e32 v34, v32, v33
	s_cbranch_execz .LBB93_546
	s_branch .LBB93_547
.LBB93_545:
                                        ; implicit-def: $vgpr34
.LBB93_546:
	ds_read_b32 v34, v126
.LBB93_547:
	v_cmp_ne_u32_e32 vcc, 9, v0
	s_and_saveexec_b64 s[6:7], vcc
	s_cbranch_execz .LBB93_551
; %bb.548:
	v_mov_b32_e32 v32, 0x84
	v_lshl_add_u32 v35, v0, 2, v32
	v_mov_b32_e32 v33, v1
	s_mov_b64 s[8:9], 0
	v_mov_b32_e32 v32, v0
.LBB93_549:                             ; =>This Inner Loop Header: Depth=1
	v_add_co_u32_e32 v32, vcc, 1, v32
	v_addc_co_u32_e32 v33, vcc, 0, v33, vcc
	v_cmp_eq_u32_e32 vcc, 1, v32
	v_cndmask_b32_e32 v37, v2, v3, vcc
	v_cmp_lt_u32_e32 vcc, 8, v32
	v_cmp_eq_u32_e64 s[2:3], 2, v32
	v_cndmask_b32_e64 v37, v37, v4, s[2:3]
	s_or_b64 s[8:9], vcc, s[8:9]
	v_cmp_eq_u32_e32 vcc, 3, v32
	v_cndmask_b32_e32 v37, v37, v5, vcc
	v_cmp_eq_u32_e32 vcc, 4, v32
	v_cndmask_b32_e32 v37, v37, v6, vcc
	;; [unrolled: 2-line block ×22, first 2 shown]
	v_cmp_eq_u32_e32 vcc, 25, v32
	ds_read_b32 v36, v35
	v_cndmask_b32_e32 v37, v37, v27, vcc
	v_cmp_eq_u32_e32 vcc, 26, v32
	v_cndmask_b32_e32 v37, v37, v28, vcc
	v_cmp_eq_u32_e32 vcc, 27, v32
	;; [unrolled: 2-line block ×4, first 2 shown]
	v_cndmask_b32_e32 v37, v37, v31, vcc
	v_add_u32_e32 v35, 4, v35
	s_waitcnt lgkmcnt(0)
	v_fmac_f32_e32 v34, v37, v36
	s_andn2_b64 exec, exec, s[8:9]
	s_cbranch_execnz .LBB93_549
; %bb.550:
	s_or_b64 exec, exec, s[8:9]
.LBB93_551:
	s_or_b64 exec, exec, s[6:7]
	v_mov_b32_e32 v12, 0
	ds_read_b32 v12, v12 offset:40
	s_waitcnt lgkmcnt(0)
	v_mul_f32_e32 v12, v34, v12
.LBB93_552:
	s_or_b64 exec, exec, s[4:5]
	v_cmp_gt_u32_e32 vcc, 11, v0
	ds_write_b32 v126, v13
	s_waitcnt lgkmcnt(0)
	; wave barrier
	s_and_saveexec_b64 s[4:5], vcc
	s_cbranch_execz .LBB93_562
; %bb.553:
	s_and_b64 vcc, exec, s[0:1]
	s_cbranch_vccnz .LBB93_555
; %bb.554:
	v_cmp_eq_u32_e32 vcc, 1, v0
	v_cndmask_b32_e32 v32, v2, v3, vcc
	v_cmp_eq_u32_e32 vcc, 2, v0
	v_cndmask_b32_e32 v32, v32, v4, vcc
	;; [unrolled: 2-line block ×25, first 2 shown]
	v_cmp_eq_u32_e32 vcc, 26, v0
	ds_read_b32 v33, v126
	v_cndmask_b32_e32 v32, v32, v28, vcc
	v_cmp_eq_u32_e32 vcc, 27, v0
	v_cndmask_b32_e32 v32, v32, v29, vcc
	v_cmp_eq_u32_e32 vcc, 28, v0
	;; [unrolled: 2-line block ×3, first 2 shown]
	v_cndmask_b32_e32 v32, v32, v31, vcc
	s_waitcnt lgkmcnt(0)
	v_mul_f32_e32 v34, v32, v33
	s_cbranch_execz .LBB93_556
	s_branch .LBB93_557
.LBB93_555:
                                        ; implicit-def: $vgpr34
.LBB93_556:
	ds_read_b32 v34, v126
.LBB93_557:
	v_cmp_ne_u32_e32 vcc, 10, v0
	s_and_saveexec_b64 s[6:7], vcc
	s_cbranch_execz .LBB93_561
; %bb.558:
	v_mov_b32_e32 v32, 0x84
	v_lshl_add_u32 v35, v0, 2, v32
	v_mov_b32_e32 v33, v1
	s_mov_b64 s[8:9], 0
	v_mov_b32_e32 v32, v0
.LBB93_559:                             ; =>This Inner Loop Header: Depth=1
	v_add_co_u32_e32 v32, vcc, 1, v32
	v_addc_co_u32_e32 v33, vcc, 0, v33, vcc
	v_cmp_eq_u32_e32 vcc, 1, v32
	v_cndmask_b32_e32 v37, v2, v3, vcc
	v_cmp_lt_u32_e32 vcc, 9, v32
	v_cmp_eq_u32_e64 s[2:3], 2, v32
	v_cndmask_b32_e64 v37, v37, v4, s[2:3]
	s_or_b64 s[8:9], vcc, s[8:9]
	v_cmp_eq_u32_e32 vcc, 3, v32
	v_cndmask_b32_e32 v37, v37, v5, vcc
	v_cmp_eq_u32_e32 vcc, 4, v32
	v_cndmask_b32_e32 v37, v37, v6, vcc
	;; [unrolled: 2-line block ×22, first 2 shown]
	v_cmp_eq_u32_e32 vcc, 25, v32
	ds_read_b32 v36, v35
	v_cndmask_b32_e32 v37, v37, v27, vcc
	v_cmp_eq_u32_e32 vcc, 26, v32
	v_cndmask_b32_e32 v37, v37, v28, vcc
	v_cmp_eq_u32_e32 vcc, 27, v32
	v_cndmask_b32_e32 v37, v37, v29, vcc
	v_cmp_eq_u32_e32 vcc, 28, v32
	v_cndmask_b32_e32 v37, v37, v30, vcc
	v_cmp_eq_u32_e32 vcc, 29, v32
	v_cndmask_b32_e32 v37, v37, v31, vcc
	v_add_u32_e32 v35, 4, v35
	s_waitcnt lgkmcnt(0)
	v_fmac_f32_e32 v34, v37, v36
	s_andn2_b64 exec, exec, s[8:9]
	s_cbranch_execnz .LBB93_559
; %bb.560:
	s_or_b64 exec, exec, s[8:9]
.LBB93_561:
	s_or_b64 exec, exec, s[6:7]
	v_mov_b32_e32 v13, 0
	ds_read_b32 v13, v13 offset:44
	s_waitcnt lgkmcnt(0)
	v_mul_f32_e32 v13, v34, v13
.LBB93_562:
	s_or_b64 exec, exec, s[4:5]
	v_cmp_gt_u32_e32 vcc, 12, v0
	ds_write_b32 v126, v14
	s_waitcnt lgkmcnt(0)
	; wave barrier
	s_and_saveexec_b64 s[4:5], vcc
	s_cbranch_execz .LBB93_572
; %bb.563:
	s_and_b64 vcc, exec, s[0:1]
	s_cbranch_vccnz .LBB93_565
; %bb.564:
	v_cmp_eq_u32_e32 vcc, 1, v0
	v_cndmask_b32_e32 v32, v2, v3, vcc
	v_cmp_eq_u32_e32 vcc, 2, v0
	v_cndmask_b32_e32 v32, v32, v4, vcc
	;; [unrolled: 2-line block ×25, first 2 shown]
	v_cmp_eq_u32_e32 vcc, 26, v0
	ds_read_b32 v33, v126
	v_cndmask_b32_e32 v32, v32, v28, vcc
	v_cmp_eq_u32_e32 vcc, 27, v0
	v_cndmask_b32_e32 v32, v32, v29, vcc
	v_cmp_eq_u32_e32 vcc, 28, v0
	;; [unrolled: 2-line block ×3, first 2 shown]
	v_cndmask_b32_e32 v32, v32, v31, vcc
	s_waitcnt lgkmcnt(0)
	v_mul_f32_e32 v34, v32, v33
	s_cbranch_execz .LBB93_566
	s_branch .LBB93_567
.LBB93_565:
                                        ; implicit-def: $vgpr34
.LBB93_566:
	ds_read_b32 v34, v126
.LBB93_567:
	v_cmp_ne_u32_e32 vcc, 11, v0
	s_and_saveexec_b64 s[6:7], vcc
	s_cbranch_execz .LBB93_571
; %bb.568:
	v_mov_b32_e32 v32, 0x84
	v_lshl_add_u32 v35, v0, 2, v32
	v_mov_b32_e32 v33, v1
	s_mov_b64 s[8:9], 0
	v_mov_b32_e32 v32, v0
.LBB93_569:                             ; =>This Inner Loop Header: Depth=1
	v_add_co_u32_e32 v32, vcc, 1, v32
	v_addc_co_u32_e32 v33, vcc, 0, v33, vcc
	v_cmp_eq_u32_e32 vcc, 1, v32
	v_cndmask_b32_e32 v37, v2, v3, vcc
	v_cmp_lt_u32_e32 vcc, 10, v32
	v_cmp_eq_u32_e64 s[2:3], 2, v32
	v_cndmask_b32_e64 v37, v37, v4, s[2:3]
	s_or_b64 s[8:9], vcc, s[8:9]
	v_cmp_eq_u32_e32 vcc, 3, v32
	v_cndmask_b32_e32 v37, v37, v5, vcc
	v_cmp_eq_u32_e32 vcc, 4, v32
	v_cndmask_b32_e32 v37, v37, v6, vcc
	;; [unrolled: 2-line block ×22, first 2 shown]
	v_cmp_eq_u32_e32 vcc, 25, v32
	ds_read_b32 v36, v35
	v_cndmask_b32_e32 v37, v37, v27, vcc
	v_cmp_eq_u32_e32 vcc, 26, v32
	v_cndmask_b32_e32 v37, v37, v28, vcc
	v_cmp_eq_u32_e32 vcc, 27, v32
	v_cndmask_b32_e32 v37, v37, v29, vcc
	v_cmp_eq_u32_e32 vcc, 28, v32
	v_cndmask_b32_e32 v37, v37, v30, vcc
	v_cmp_eq_u32_e32 vcc, 29, v32
	v_cndmask_b32_e32 v37, v37, v31, vcc
	v_add_u32_e32 v35, 4, v35
	s_waitcnt lgkmcnt(0)
	v_fmac_f32_e32 v34, v37, v36
	s_andn2_b64 exec, exec, s[8:9]
	s_cbranch_execnz .LBB93_569
; %bb.570:
	s_or_b64 exec, exec, s[8:9]
.LBB93_571:
	s_or_b64 exec, exec, s[6:7]
	v_mov_b32_e32 v14, 0
	ds_read_b32 v14, v14 offset:48
	s_waitcnt lgkmcnt(0)
	v_mul_f32_e32 v14, v34, v14
.LBB93_572:
	s_or_b64 exec, exec, s[4:5]
	v_cmp_gt_u32_e32 vcc, 13, v0
	ds_write_b32 v126, v15
	s_waitcnt lgkmcnt(0)
	; wave barrier
	s_and_saveexec_b64 s[4:5], vcc
	s_cbranch_execz .LBB93_582
; %bb.573:
	s_and_b64 vcc, exec, s[0:1]
	s_cbranch_vccnz .LBB93_575
; %bb.574:
	v_cmp_eq_u32_e32 vcc, 1, v0
	v_cndmask_b32_e32 v32, v2, v3, vcc
	v_cmp_eq_u32_e32 vcc, 2, v0
	v_cndmask_b32_e32 v32, v32, v4, vcc
	v_cmp_eq_u32_e32 vcc, 3, v0
	v_cndmask_b32_e32 v32, v32, v5, vcc
	v_cmp_eq_u32_e32 vcc, 4, v0
	v_cndmask_b32_e32 v32, v32, v6, vcc
	v_cmp_eq_u32_e32 vcc, 5, v0
	v_cndmask_b32_e32 v32, v32, v7, vcc
	v_cmp_eq_u32_e32 vcc, 6, v0
	v_cndmask_b32_e32 v32, v32, v8, vcc
	v_cmp_eq_u32_e32 vcc, 7, v0
	v_cndmask_b32_e32 v32, v32, v9, vcc
	v_cmp_eq_u32_e32 vcc, 8, v0
	v_cndmask_b32_e32 v32, v32, v10, vcc
	v_cmp_eq_u32_e32 vcc, 9, v0
	v_cndmask_b32_e32 v32, v32, v11, vcc
	v_cmp_eq_u32_e32 vcc, 10, v0
	v_cndmask_b32_e32 v32, v32, v12, vcc
	v_cmp_eq_u32_e32 vcc, 11, v0
	v_cndmask_b32_e32 v32, v32, v13, vcc
	v_cmp_eq_u32_e32 vcc, 12, v0
	v_cndmask_b32_e32 v32, v32, v14, vcc
	v_cmp_eq_u32_e32 vcc, 13, v0
	v_cndmask_b32_e32 v32, v32, v15, vcc
	v_cmp_eq_u32_e32 vcc, 14, v0
	v_cndmask_b32_e32 v32, v32, v16, vcc
	v_cmp_eq_u32_e32 vcc, 15, v0
	v_cndmask_b32_e32 v32, v32, v17, vcc
	v_cmp_eq_u32_e32 vcc, 16, v0
	v_cndmask_b32_e32 v32, v32, v18, vcc
	v_cmp_eq_u32_e32 vcc, 17, v0
	v_cndmask_b32_e32 v32, v32, v19, vcc
	v_cmp_eq_u32_e32 vcc, 18, v0
	v_cndmask_b32_e32 v32, v32, v20, vcc
	v_cmp_eq_u32_e32 vcc, 19, v0
	v_cndmask_b32_e32 v32, v32, v21, vcc
	v_cmp_eq_u32_e32 vcc, 20, v0
	v_cndmask_b32_e32 v32, v32, v22, vcc
	v_cmp_eq_u32_e32 vcc, 21, v0
	v_cndmask_b32_e32 v32, v32, v23, vcc
	v_cmp_eq_u32_e32 vcc, 22, v0
	v_cndmask_b32_e32 v32, v32, v24, vcc
	v_cmp_eq_u32_e32 vcc, 23, v0
	v_cndmask_b32_e32 v32, v32, v25, vcc
	v_cmp_eq_u32_e32 vcc, 24, v0
	v_cndmask_b32_e32 v32, v32, v26, vcc
	v_cmp_eq_u32_e32 vcc, 25, v0
	v_cndmask_b32_e32 v32, v32, v27, vcc
	v_cmp_eq_u32_e32 vcc, 26, v0
	ds_read_b32 v33, v126
	v_cndmask_b32_e32 v32, v32, v28, vcc
	v_cmp_eq_u32_e32 vcc, 27, v0
	v_cndmask_b32_e32 v32, v32, v29, vcc
	v_cmp_eq_u32_e32 vcc, 28, v0
	;; [unrolled: 2-line block ×3, first 2 shown]
	v_cndmask_b32_e32 v32, v32, v31, vcc
	s_waitcnt lgkmcnt(0)
	v_mul_f32_e32 v34, v32, v33
	s_cbranch_execz .LBB93_576
	s_branch .LBB93_577
.LBB93_575:
                                        ; implicit-def: $vgpr34
.LBB93_576:
	ds_read_b32 v34, v126
.LBB93_577:
	v_cmp_ne_u32_e32 vcc, 12, v0
	s_and_saveexec_b64 s[6:7], vcc
	s_cbranch_execz .LBB93_581
; %bb.578:
	v_mov_b32_e32 v32, 0x84
	v_lshl_add_u32 v35, v0, 2, v32
	v_mov_b32_e32 v33, v1
	s_mov_b64 s[8:9], 0
	v_mov_b32_e32 v32, v0
.LBB93_579:                             ; =>This Inner Loop Header: Depth=1
	v_add_co_u32_e32 v32, vcc, 1, v32
	v_addc_co_u32_e32 v33, vcc, 0, v33, vcc
	v_cmp_eq_u32_e32 vcc, 1, v32
	v_cndmask_b32_e32 v37, v2, v3, vcc
	v_cmp_lt_u32_e32 vcc, 11, v32
	v_cmp_eq_u32_e64 s[2:3], 2, v32
	v_cndmask_b32_e64 v37, v37, v4, s[2:3]
	s_or_b64 s[8:9], vcc, s[8:9]
	v_cmp_eq_u32_e32 vcc, 3, v32
	v_cndmask_b32_e32 v37, v37, v5, vcc
	v_cmp_eq_u32_e32 vcc, 4, v32
	v_cndmask_b32_e32 v37, v37, v6, vcc
	;; [unrolled: 2-line block ×22, first 2 shown]
	v_cmp_eq_u32_e32 vcc, 25, v32
	ds_read_b32 v36, v35
	v_cndmask_b32_e32 v37, v37, v27, vcc
	v_cmp_eq_u32_e32 vcc, 26, v32
	v_cndmask_b32_e32 v37, v37, v28, vcc
	v_cmp_eq_u32_e32 vcc, 27, v32
	;; [unrolled: 2-line block ×4, first 2 shown]
	v_cndmask_b32_e32 v37, v37, v31, vcc
	v_add_u32_e32 v35, 4, v35
	s_waitcnt lgkmcnt(0)
	v_fmac_f32_e32 v34, v37, v36
	s_andn2_b64 exec, exec, s[8:9]
	s_cbranch_execnz .LBB93_579
; %bb.580:
	s_or_b64 exec, exec, s[8:9]
.LBB93_581:
	s_or_b64 exec, exec, s[6:7]
	v_mov_b32_e32 v15, 0
	ds_read_b32 v15, v15 offset:52
	s_waitcnt lgkmcnt(0)
	v_mul_f32_e32 v15, v34, v15
.LBB93_582:
	s_or_b64 exec, exec, s[4:5]
	v_cmp_gt_u32_e32 vcc, 14, v0
	ds_write_b32 v126, v16
	s_waitcnt lgkmcnt(0)
	; wave barrier
	s_and_saveexec_b64 s[4:5], vcc
	s_cbranch_execz .LBB93_592
; %bb.583:
	s_and_b64 vcc, exec, s[0:1]
	s_cbranch_vccnz .LBB93_585
; %bb.584:
	v_cmp_eq_u32_e32 vcc, 1, v0
	v_cndmask_b32_e32 v32, v2, v3, vcc
	v_cmp_eq_u32_e32 vcc, 2, v0
	v_cndmask_b32_e32 v32, v32, v4, vcc
	;; [unrolled: 2-line block ×25, first 2 shown]
	v_cmp_eq_u32_e32 vcc, 26, v0
	ds_read_b32 v33, v126
	v_cndmask_b32_e32 v32, v32, v28, vcc
	v_cmp_eq_u32_e32 vcc, 27, v0
	v_cndmask_b32_e32 v32, v32, v29, vcc
	v_cmp_eq_u32_e32 vcc, 28, v0
	;; [unrolled: 2-line block ×3, first 2 shown]
	v_cndmask_b32_e32 v32, v32, v31, vcc
	s_waitcnt lgkmcnt(0)
	v_mul_f32_e32 v34, v32, v33
	s_cbranch_execz .LBB93_586
	s_branch .LBB93_587
.LBB93_585:
                                        ; implicit-def: $vgpr34
.LBB93_586:
	ds_read_b32 v34, v126
.LBB93_587:
	v_cmp_ne_u32_e32 vcc, 13, v0
	s_and_saveexec_b64 s[6:7], vcc
	s_cbranch_execz .LBB93_591
; %bb.588:
	v_mov_b32_e32 v32, 0x84
	v_lshl_add_u32 v35, v0, 2, v32
	v_mov_b32_e32 v33, v1
	s_mov_b64 s[8:9], 0
	v_mov_b32_e32 v32, v0
.LBB93_589:                             ; =>This Inner Loop Header: Depth=1
	v_add_co_u32_e32 v32, vcc, 1, v32
	v_addc_co_u32_e32 v33, vcc, 0, v33, vcc
	v_cmp_eq_u32_e32 vcc, 1, v32
	v_cndmask_b32_e32 v37, v2, v3, vcc
	v_cmp_lt_u32_e32 vcc, 12, v32
	v_cmp_eq_u32_e64 s[2:3], 2, v32
	v_cndmask_b32_e64 v37, v37, v4, s[2:3]
	s_or_b64 s[8:9], vcc, s[8:9]
	v_cmp_eq_u32_e32 vcc, 3, v32
	v_cndmask_b32_e32 v37, v37, v5, vcc
	v_cmp_eq_u32_e32 vcc, 4, v32
	v_cndmask_b32_e32 v37, v37, v6, vcc
	;; [unrolled: 2-line block ×22, first 2 shown]
	v_cmp_eq_u32_e32 vcc, 25, v32
	ds_read_b32 v36, v35
	v_cndmask_b32_e32 v37, v37, v27, vcc
	v_cmp_eq_u32_e32 vcc, 26, v32
	v_cndmask_b32_e32 v37, v37, v28, vcc
	v_cmp_eq_u32_e32 vcc, 27, v32
	;; [unrolled: 2-line block ×4, first 2 shown]
	v_cndmask_b32_e32 v37, v37, v31, vcc
	v_add_u32_e32 v35, 4, v35
	s_waitcnt lgkmcnt(0)
	v_fmac_f32_e32 v34, v37, v36
	s_andn2_b64 exec, exec, s[8:9]
	s_cbranch_execnz .LBB93_589
; %bb.590:
	s_or_b64 exec, exec, s[8:9]
.LBB93_591:
	s_or_b64 exec, exec, s[6:7]
	v_mov_b32_e32 v16, 0
	ds_read_b32 v16, v16 offset:56
	s_waitcnt lgkmcnt(0)
	v_mul_f32_e32 v16, v34, v16
.LBB93_592:
	s_or_b64 exec, exec, s[4:5]
	v_cmp_gt_u32_e32 vcc, 15, v0
	ds_write_b32 v126, v17
	s_waitcnt lgkmcnt(0)
	; wave barrier
	s_and_saveexec_b64 s[4:5], vcc
	s_cbranch_execz .LBB93_602
; %bb.593:
	s_and_b64 vcc, exec, s[0:1]
	s_cbranch_vccnz .LBB93_595
; %bb.594:
	v_cmp_eq_u32_e32 vcc, 1, v0
	v_cndmask_b32_e32 v32, v2, v3, vcc
	v_cmp_eq_u32_e32 vcc, 2, v0
	v_cndmask_b32_e32 v32, v32, v4, vcc
	;; [unrolled: 2-line block ×25, first 2 shown]
	v_cmp_eq_u32_e32 vcc, 26, v0
	ds_read_b32 v33, v126
	v_cndmask_b32_e32 v32, v32, v28, vcc
	v_cmp_eq_u32_e32 vcc, 27, v0
	v_cndmask_b32_e32 v32, v32, v29, vcc
	v_cmp_eq_u32_e32 vcc, 28, v0
	;; [unrolled: 2-line block ×3, first 2 shown]
	v_cndmask_b32_e32 v32, v32, v31, vcc
	s_waitcnt lgkmcnt(0)
	v_mul_f32_e32 v34, v32, v33
	s_cbranch_execz .LBB93_596
	s_branch .LBB93_597
.LBB93_595:
                                        ; implicit-def: $vgpr34
.LBB93_596:
	ds_read_b32 v34, v126
.LBB93_597:
	v_cmp_ne_u32_e32 vcc, 14, v0
	s_and_saveexec_b64 s[6:7], vcc
	s_cbranch_execz .LBB93_601
; %bb.598:
	v_mov_b32_e32 v32, 0x84
	v_lshl_add_u32 v35, v0, 2, v32
	v_mov_b32_e32 v33, v1
	s_mov_b64 s[8:9], 0
	v_mov_b32_e32 v32, v0
.LBB93_599:                             ; =>This Inner Loop Header: Depth=1
	v_add_co_u32_e32 v32, vcc, 1, v32
	v_addc_co_u32_e32 v33, vcc, 0, v33, vcc
	v_cmp_eq_u32_e32 vcc, 1, v32
	v_cndmask_b32_e32 v37, v2, v3, vcc
	v_cmp_lt_u32_e32 vcc, 13, v32
	v_cmp_eq_u32_e64 s[2:3], 2, v32
	v_cndmask_b32_e64 v37, v37, v4, s[2:3]
	s_or_b64 s[8:9], vcc, s[8:9]
	v_cmp_eq_u32_e32 vcc, 3, v32
	v_cndmask_b32_e32 v37, v37, v5, vcc
	v_cmp_eq_u32_e32 vcc, 4, v32
	v_cndmask_b32_e32 v37, v37, v6, vcc
	;; [unrolled: 2-line block ×22, first 2 shown]
	v_cmp_eq_u32_e32 vcc, 25, v32
	ds_read_b32 v36, v35
	v_cndmask_b32_e32 v37, v37, v27, vcc
	v_cmp_eq_u32_e32 vcc, 26, v32
	v_cndmask_b32_e32 v37, v37, v28, vcc
	v_cmp_eq_u32_e32 vcc, 27, v32
	v_cndmask_b32_e32 v37, v37, v29, vcc
	v_cmp_eq_u32_e32 vcc, 28, v32
	v_cndmask_b32_e32 v37, v37, v30, vcc
	v_cmp_eq_u32_e32 vcc, 29, v32
	v_cndmask_b32_e32 v37, v37, v31, vcc
	v_add_u32_e32 v35, 4, v35
	s_waitcnt lgkmcnt(0)
	v_fmac_f32_e32 v34, v37, v36
	s_andn2_b64 exec, exec, s[8:9]
	s_cbranch_execnz .LBB93_599
; %bb.600:
	s_or_b64 exec, exec, s[8:9]
.LBB93_601:
	s_or_b64 exec, exec, s[6:7]
	v_mov_b32_e32 v17, 0
	ds_read_b32 v17, v17 offset:60
	s_waitcnt lgkmcnt(0)
	v_mul_f32_e32 v17, v34, v17
.LBB93_602:
	s_or_b64 exec, exec, s[4:5]
	v_cmp_gt_u32_e32 vcc, 16, v0
	ds_write_b32 v126, v18
	s_waitcnt lgkmcnt(0)
	; wave barrier
	s_and_saveexec_b64 s[4:5], vcc
	s_cbranch_execz .LBB93_612
; %bb.603:
	s_and_b64 vcc, exec, s[0:1]
	s_cbranch_vccnz .LBB93_605
; %bb.604:
	v_cmp_eq_u32_e32 vcc, 1, v0
	v_cndmask_b32_e32 v32, v2, v3, vcc
	v_cmp_eq_u32_e32 vcc, 2, v0
	v_cndmask_b32_e32 v32, v32, v4, vcc
	;; [unrolled: 2-line block ×25, first 2 shown]
	v_cmp_eq_u32_e32 vcc, 26, v0
	ds_read_b32 v33, v126
	v_cndmask_b32_e32 v32, v32, v28, vcc
	v_cmp_eq_u32_e32 vcc, 27, v0
	v_cndmask_b32_e32 v32, v32, v29, vcc
	v_cmp_eq_u32_e32 vcc, 28, v0
	;; [unrolled: 2-line block ×3, first 2 shown]
	v_cndmask_b32_e32 v32, v32, v31, vcc
	s_waitcnt lgkmcnt(0)
	v_mul_f32_e32 v34, v32, v33
	s_cbranch_execz .LBB93_606
	s_branch .LBB93_607
.LBB93_605:
                                        ; implicit-def: $vgpr34
.LBB93_606:
	ds_read_b32 v34, v126
.LBB93_607:
	v_cmp_ne_u32_e32 vcc, 15, v0
	s_and_saveexec_b64 s[6:7], vcc
	s_cbranch_execz .LBB93_611
; %bb.608:
	v_mov_b32_e32 v32, 0x84
	v_lshl_add_u32 v35, v0, 2, v32
	v_mov_b32_e32 v33, v1
	s_mov_b64 s[8:9], 0
	v_mov_b32_e32 v32, v0
.LBB93_609:                             ; =>This Inner Loop Header: Depth=1
	v_add_co_u32_e32 v32, vcc, 1, v32
	v_addc_co_u32_e32 v33, vcc, 0, v33, vcc
	v_cmp_eq_u32_e32 vcc, 1, v32
	v_cndmask_b32_e32 v37, v2, v3, vcc
	v_cmp_lt_u32_e32 vcc, 14, v32
	v_cmp_eq_u32_e64 s[2:3], 2, v32
	v_cndmask_b32_e64 v37, v37, v4, s[2:3]
	s_or_b64 s[8:9], vcc, s[8:9]
	v_cmp_eq_u32_e32 vcc, 3, v32
	v_cndmask_b32_e32 v37, v37, v5, vcc
	v_cmp_eq_u32_e32 vcc, 4, v32
	v_cndmask_b32_e32 v37, v37, v6, vcc
	;; [unrolled: 2-line block ×22, first 2 shown]
	v_cmp_eq_u32_e32 vcc, 25, v32
	ds_read_b32 v36, v35
	v_cndmask_b32_e32 v37, v37, v27, vcc
	v_cmp_eq_u32_e32 vcc, 26, v32
	v_cndmask_b32_e32 v37, v37, v28, vcc
	v_cmp_eq_u32_e32 vcc, 27, v32
	;; [unrolled: 2-line block ×4, first 2 shown]
	v_cndmask_b32_e32 v37, v37, v31, vcc
	v_add_u32_e32 v35, 4, v35
	s_waitcnt lgkmcnt(0)
	v_fmac_f32_e32 v34, v37, v36
	s_andn2_b64 exec, exec, s[8:9]
	s_cbranch_execnz .LBB93_609
; %bb.610:
	s_or_b64 exec, exec, s[8:9]
.LBB93_611:
	s_or_b64 exec, exec, s[6:7]
	v_mov_b32_e32 v18, 0
	ds_read_b32 v18, v18 offset:64
	s_waitcnt lgkmcnt(0)
	v_mul_f32_e32 v18, v34, v18
.LBB93_612:
	s_or_b64 exec, exec, s[4:5]
	v_cmp_gt_u32_e32 vcc, 17, v0
	ds_write_b32 v126, v19
	s_waitcnt lgkmcnt(0)
	; wave barrier
	s_and_saveexec_b64 s[4:5], vcc
	s_cbranch_execz .LBB93_622
; %bb.613:
	s_and_b64 vcc, exec, s[0:1]
	s_cbranch_vccnz .LBB93_615
; %bb.614:
	v_cmp_eq_u32_e32 vcc, 1, v0
	v_cndmask_b32_e32 v32, v2, v3, vcc
	v_cmp_eq_u32_e32 vcc, 2, v0
	v_cndmask_b32_e32 v32, v32, v4, vcc
	;; [unrolled: 2-line block ×25, first 2 shown]
	v_cmp_eq_u32_e32 vcc, 26, v0
	ds_read_b32 v33, v126
	v_cndmask_b32_e32 v32, v32, v28, vcc
	v_cmp_eq_u32_e32 vcc, 27, v0
	v_cndmask_b32_e32 v32, v32, v29, vcc
	v_cmp_eq_u32_e32 vcc, 28, v0
	;; [unrolled: 2-line block ×3, first 2 shown]
	v_cndmask_b32_e32 v32, v32, v31, vcc
	s_waitcnt lgkmcnt(0)
	v_mul_f32_e32 v34, v32, v33
	s_cbranch_execz .LBB93_616
	s_branch .LBB93_617
.LBB93_615:
                                        ; implicit-def: $vgpr34
.LBB93_616:
	ds_read_b32 v34, v126
.LBB93_617:
	v_cmp_ne_u32_e32 vcc, 16, v0
	s_and_saveexec_b64 s[6:7], vcc
	s_cbranch_execz .LBB93_621
; %bb.618:
	v_mov_b32_e32 v32, 0x84
	v_lshl_add_u32 v35, v0, 2, v32
	v_mov_b32_e32 v33, v1
	s_mov_b64 s[8:9], 0
	v_mov_b32_e32 v32, v0
.LBB93_619:                             ; =>This Inner Loop Header: Depth=1
	v_add_co_u32_e32 v32, vcc, 1, v32
	v_addc_co_u32_e32 v33, vcc, 0, v33, vcc
	v_cmp_eq_u32_e32 vcc, 1, v32
	v_cndmask_b32_e32 v37, v2, v3, vcc
	v_cmp_lt_u32_e32 vcc, 15, v32
	v_cmp_eq_u32_e64 s[2:3], 2, v32
	v_cndmask_b32_e64 v37, v37, v4, s[2:3]
	s_or_b64 s[8:9], vcc, s[8:9]
	v_cmp_eq_u32_e32 vcc, 3, v32
	v_cndmask_b32_e32 v37, v37, v5, vcc
	v_cmp_eq_u32_e32 vcc, 4, v32
	v_cndmask_b32_e32 v37, v37, v6, vcc
	;; [unrolled: 2-line block ×22, first 2 shown]
	v_cmp_eq_u32_e32 vcc, 25, v32
	ds_read_b32 v36, v35
	v_cndmask_b32_e32 v37, v37, v27, vcc
	v_cmp_eq_u32_e32 vcc, 26, v32
	v_cndmask_b32_e32 v37, v37, v28, vcc
	v_cmp_eq_u32_e32 vcc, 27, v32
	;; [unrolled: 2-line block ×4, first 2 shown]
	v_cndmask_b32_e32 v37, v37, v31, vcc
	v_add_u32_e32 v35, 4, v35
	s_waitcnt lgkmcnt(0)
	v_fmac_f32_e32 v34, v37, v36
	s_andn2_b64 exec, exec, s[8:9]
	s_cbranch_execnz .LBB93_619
; %bb.620:
	s_or_b64 exec, exec, s[8:9]
.LBB93_621:
	s_or_b64 exec, exec, s[6:7]
	v_mov_b32_e32 v19, 0
	ds_read_b32 v19, v19 offset:68
	s_waitcnt lgkmcnt(0)
	v_mul_f32_e32 v19, v34, v19
.LBB93_622:
	s_or_b64 exec, exec, s[4:5]
	v_cmp_gt_u32_e32 vcc, 18, v0
	ds_write_b32 v126, v20
	s_waitcnt lgkmcnt(0)
	; wave barrier
	s_and_saveexec_b64 s[4:5], vcc
	s_cbranch_execz .LBB93_632
; %bb.623:
	s_and_b64 vcc, exec, s[0:1]
	s_cbranch_vccnz .LBB93_625
; %bb.624:
	v_cmp_eq_u32_e32 vcc, 1, v0
	v_cndmask_b32_e32 v32, v2, v3, vcc
	v_cmp_eq_u32_e32 vcc, 2, v0
	v_cndmask_b32_e32 v32, v32, v4, vcc
	;; [unrolled: 2-line block ×25, first 2 shown]
	v_cmp_eq_u32_e32 vcc, 26, v0
	ds_read_b32 v33, v126
	v_cndmask_b32_e32 v32, v32, v28, vcc
	v_cmp_eq_u32_e32 vcc, 27, v0
	v_cndmask_b32_e32 v32, v32, v29, vcc
	v_cmp_eq_u32_e32 vcc, 28, v0
	;; [unrolled: 2-line block ×3, first 2 shown]
	v_cndmask_b32_e32 v32, v32, v31, vcc
	s_waitcnt lgkmcnt(0)
	v_mul_f32_e32 v34, v32, v33
	s_cbranch_execz .LBB93_626
	s_branch .LBB93_627
.LBB93_625:
                                        ; implicit-def: $vgpr34
.LBB93_626:
	ds_read_b32 v34, v126
.LBB93_627:
	v_cmp_ne_u32_e32 vcc, 17, v0
	s_and_saveexec_b64 s[6:7], vcc
	s_cbranch_execz .LBB93_631
; %bb.628:
	v_mov_b32_e32 v32, 0x84
	v_lshl_add_u32 v35, v0, 2, v32
	v_mov_b32_e32 v33, v1
	s_mov_b64 s[8:9], 0
	v_mov_b32_e32 v32, v0
.LBB93_629:                             ; =>This Inner Loop Header: Depth=1
	v_add_co_u32_e32 v32, vcc, 1, v32
	v_addc_co_u32_e32 v33, vcc, 0, v33, vcc
	v_cmp_eq_u32_e32 vcc, 1, v32
	v_cndmask_b32_e32 v37, v2, v3, vcc
	v_cmp_lt_u32_e32 vcc, 16, v32
	v_cmp_eq_u32_e64 s[2:3], 2, v32
	v_cndmask_b32_e64 v37, v37, v4, s[2:3]
	s_or_b64 s[8:9], vcc, s[8:9]
	v_cmp_eq_u32_e32 vcc, 3, v32
	v_cndmask_b32_e32 v37, v37, v5, vcc
	v_cmp_eq_u32_e32 vcc, 4, v32
	v_cndmask_b32_e32 v37, v37, v6, vcc
	;; [unrolled: 2-line block ×22, first 2 shown]
	v_cmp_eq_u32_e32 vcc, 25, v32
	ds_read_b32 v36, v35
	v_cndmask_b32_e32 v37, v37, v27, vcc
	v_cmp_eq_u32_e32 vcc, 26, v32
	v_cndmask_b32_e32 v37, v37, v28, vcc
	v_cmp_eq_u32_e32 vcc, 27, v32
	;; [unrolled: 2-line block ×4, first 2 shown]
	v_cndmask_b32_e32 v37, v37, v31, vcc
	v_add_u32_e32 v35, 4, v35
	s_waitcnt lgkmcnt(0)
	v_fmac_f32_e32 v34, v37, v36
	s_andn2_b64 exec, exec, s[8:9]
	s_cbranch_execnz .LBB93_629
; %bb.630:
	s_or_b64 exec, exec, s[8:9]
.LBB93_631:
	s_or_b64 exec, exec, s[6:7]
	v_mov_b32_e32 v20, 0
	ds_read_b32 v20, v20 offset:72
	s_waitcnt lgkmcnt(0)
	v_mul_f32_e32 v20, v34, v20
.LBB93_632:
	s_or_b64 exec, exec, s[4:5]
	v_cmp_gt_u32_e32 vcc, 19, v0
	ds_write_b32 v126, v21
	s_waitcnt lgkmcnt(0)
	; wave barrier
	s_and_saveexec_b64 s[4:5], vcc
	s_cbranch_execz .LBB93_642
; %bb.633:
	s_and_b64 vcc, exec, s[0:1]
	s_cbranch_vccnz .LBB93_635
; %bb.634:
	v_cmp_eq_u32_e32 vcc, 1, v0
	v_cndmask_b32_e32 v32, v2, v3, vcc
	v_cmp_eq_u32_e32 vcc, 2, v0
	v_cndmask_b32_e32 v32, v32, v4, vcc
	;; [unrolled: 2-line block ×25, first 2 shown]
	v_cmp_eq_u32_e32 vcc, 26, v0
	ds_read_b32 v33, v126
	v_cndmask_b32_e32 v32, v32, v28, vcc
	v_cmp_eq_u32_e32 vcc, 27, v0
	v_cndmask_b32_e32 v32, v32, v29, vcc
	v_cmp_eq_u32_e32 vcc, 28, v0
	;; [unrolled: 2-line block ×3, first 2 shown]
	v_cndmask_b32_e32 v32, v32, v31, vcc
	s_waitcnt lgkmcnt(0)
	v_mul_f32_e32 v34, v32, v33
	s_cbranch_execz .LBB93_636
	s_branch .LBB93_637
.LBB93_635:
                                        ; implicit-def: $vgpr34
.LBB93_636:
	ds_read_b32 v34, v126
.LBB93_637:
	v_cmp_ne_u32_e32 vcc, 18, v0
	s_and_saveexec_b64 s[6:7], vcc
	s_cbranch_execz .LBB93_641
; %bb.638:
	v_mov_b32_e32 v32, 0x84
	v_lshl_add_u32 v35, v0, 2, v32
	v_mov_b32_e32 v33, v1
	s_mov_b64 s[8:9], 0
	v_mov_b32_e32 v32, v0
.LBB93_639:                             ; =>This Inner Loop Header: Depth=1
	v_add_co_u32_e32 v32, vcc, 1, v32
	v_addc_co_u32_e32 v33, vcc, 0, v33, vcc
	v_cmp_eq_u32_e32 vcc, 1, v32
	v_cndmask_b32_e32 v37, v2, v3, vcc
	v_cmp_lt_u32_e32 vcc, 17, v32
	v_cmp_eq_u32_e64 s[2:3], 2, v32
	v_cndmask_b32_e64 v37, v37, v4, s[2:3]
	s_or_b64 s[8:9], vcc, s[8:9]
	v_cmp_eq_u32_e32 vcc, 3, v32
	v_cndmask_b32_e32 v37, v37, v5, vcc
	v_cmp_eq_u32_e32 vcc, 4, v32
	v_cndmask_b32_e32 v37, v37, v6, vcc
	v_cmp_eq_u32_e32 vcc, 5, v32
	v_cndmask_b32_e32 v37, v37, v7, vcc
	v_cmp_eq_u32_e32 vcc, 6, v32
	v_cndmask_b32_e32 v37, v37, v8, vcc
	v_cmp_eq_u32_e32 vcc, 7, v32
	v_cndmask_b32_e32 v37, v37, v9, vcc
	v_cmp_eq_u32_e32 vcc, 8, v32
	v_cndmask_b32_e32 v37, v37, v10, vcc
	v_cmp_eq_u32_e32 vcc, 9, v32
	v_cndmask_b32_e32 v37, v37, v11, vcc
	v_cmp_eq_u32_e32 vcc, 10, v32
	v_cndmask_b32_e32 v37, v37, v12, vcc
	v_cmp_eq_u32_e32 vcc, 11, v32
	v_cndmask_b32_e32 v37, v37, v13, vcc
	v_cmp_eq_u32_e32 vcc, 12, v32
	v_cndmask_b32_e32 v37, v37, v14, vcc
	v_cmp_eq_u32_e32 vcc, 13, v32
	v_cndmask_b32_e32 v37, v37, v15, vcc
	v_cmp_eq_u32_e32 vcc, 14, v32
	v_cndmask_b32_e32 v37, v37, v16, vcc
	v_cmp_eq_u32_e32 vcc, 15, v32
	v_cndmask_b32_e32 v37, v37, v17, vcc
	v_cmp_eq_u32_e32 vcc, 16, v32
	v_cndmask_b32_e32 v37, v37, v18, vcc
	v_cmp_eq_u32_e32 vcc, 17, v32
	v_cndmask_b32_e32 v37, v37, v19, vcc
	v_cmp_eq_u32_e32 vcc, 18, v32
	v_cndmask_b32_e32 v37, v37, v20, vcc
	v_cmp_eq_u32_e32 vcc, 19, v32
	v_cndmask_b32_e32 v37, v37, v21, vcc
	v_cmp_eq_u32_e32 vcc, 20, v32
	v_cndmask_b32_e32 v37, v37, v22, vcc
	v_cmp_eq_u32_e32 vcc, 21, v32
	v_cndmask_b32_e32 v37, v37, v23, vcc
	v_cmp_eq_u32_e32 vcc, 22, v32
	v_cndmask_b32_e32 v37, v37, v24, vcc
	v_cmp_eq_u32_e32 vcc, 23, v32
	v_cndmask_b32_e32 v37, v37, v25, vcc
	v_cmp_eq_u32_e32 vcc, 24, v32
	v_cndmask_b32_e32 v37, v37, v26, vcc
	v_cmp_eq_u32_e32 vcc, 25, v32
	ds_read_b32 v36, v35
	v_cndmask_b32_e32 v37, v37, v27, vcc
	v_cmp_eq_u32_e32 vcc, 26, v32
	v_cndmask_b32_e32 v37, v37, v28, vcc
	v_cmp_eq_u32_e32 vcc, 27, v32
	;; [unrolled: 2-line block ×4, first 2 shown]
	v_cndmask_b32_e32 v37, v37, v31, vcc
	v_add_u32_e32 v35, 4, v35
	s_waitcnt lgkmcnt(0)
	v_fmac_f32_e32 v34, v37, v36
	s_andn2_b64 exec, exec, s[8:9]
	s_cbranch_execnz .LBB93_639
; %bb.640:
	s_or_b64 exec, exec, s[8:9]
.LBB93_641:
	s_or_b64 exec, exec, s[6:7]
	v_mov_b32_e32 v21, 0
	ds_read_b32 v21, v21 offset:76
	s_waitcnt lgkmcnt(0)
	v_mul_f32_e32 v21, v34, v21
.LBB93_642:
	s_or_b64 exec, exec, s[4:5]
	v_cmp_gt_u32_e32 vcc, 20, v0
	ds_write_b32 v126, v22
	s_waitcnt lgkmcnt(0)
	; wave barrier
	s_and_saveexec_b64 s[4:5], vcc
	s_cbranch_execz .LBB93_652
; %bb.643:
	s_and_b64 vcc, exec, s[0:1]
	s_cbranch_vccnz .LBB93_645
; %bb.644:
	v_cmp_eq_u32_e32 vcc, 1, v0
	v_cndmask_b32_e32 v32, v2, v3, vcc
	v_cmp_eq_u32_e32 vcc, 2, v0
	v_cndmask_b32_e32 v32, v32, v4, vcc
	;; [unrolled: 2-line block ×25, first 2 shown]
	v_cmp_eq_u32_e32 vcc, 26, v0
	ds_read_b32 v33, v126
	v_cndmask_b32_e32 v32, v32, v28, vcc
	v_cmp_eq_u32_e32 vcc, 27, v0
	v_cndmask_b32_e32 v32, v32, v29, vcc
	v_cmp_eq_u32_e32 vcc, 28, v0
	;; [unrolled: 2-line block ×3, first 2 shown]
	v_cndmask_b32_e32 v32, v32, v31, vcc
	s_waitcnt lgkmcnt(0)
	v_mul_f32_e32 v34, v32, v33
	s_cbranch_execz .LBB93_646
	s_branch .LBB93_647
.LBB93_645:
                                        ; implicit-def: $vgpr34
.LBB93_646:
	ds_read_b32 v34, v126
.LBB93_647:
	v_cmp_ne_u32_e32 vcc, 19, v0
	s_and_saveexec_b64 s[6:7], vcc
	s_cbranch_execz .LBB93_651
; %bb.648:
	v_mov_b32_e32 v32, 0x84
	v_lshl_add_u32 v35, v0, 2, v32
	v_mov_b32_e32 v33, v1
	s_mov_b64 s[8:9], 0
	v_mov_b32_e32 v32, v0
.LBB93_649:                             ; =>This Inner Loop Header: Depth=1
	v_add_co_u32_e32 v32, vcc, 1, v32
	v_addc_co_u32_e32 v33, vcc, 0, v33, vcc
	v_cmp_eq_u32_e32 vcc, 1, v32
	v_cndmask_b32_e32 v37, v2, v3, vcc
	v_cmp_lt_u32_e32 vcc, 18, v32
	v_cmp_eq_u32_e64 s[2:3], 2, v32
	v_cndmask_b32_e64 v37, v37, v4, s[2:3]
	s_or_b64 s[8:9], vcc, s[8:9]
	v_cmp_eq_u32_e32 vcc, 3, v32
	v_cndmask_b32_e32 v37, v37, v5, vcc
	v_cmp_eq_u32_e32 vcc, 4, v32
	v_cndmask_b32_e32 v37, v37, v6, vcc
	;; [unrolled: 2-line block ×22, first 2 shown]
	v_cmp_eq_u32_e32 vcc, 25, v32
	ds_read_b32 v36, v35
	v_cndmask_b32_e32 v37, v37, v27, vcc
	v_cmp_eq_u32_e32 vcc, 26, v32
	v_cndmask_b32_e32 v37, v37, v28, vcc
	v_cmp_eq_u32_e32 vcc, 27, v32
	;; [unrolled: 2-line block ×4, first 2 shown]
	v_cndmask_b32_e32 v37, v37, v31, vcc
	v_add_u32_e32 v35, 4, v35
	s_waitcnt lgkmcnt(0)
	v_fmac_f32_e32 v34, v37, v36
	s_andn2_b64 exec, exec, s[8:9]
	s_cbranch_execnz .LBB93_649
; %bb.650:
	s_or_b64 exec, exec, s[8:9]
.LBB93_651:
	s_or_b64 exec, exec, s[6:7]
	v_mov_b32_e32 v22, 0
	ds_read_b32 v22, v22 offset:80
	s_waitcnt lgkmcnt(0)
	v_mul_f32_e32 v22, v34, v22
.LBB93_652:
	s_or_b64 exec, exec, s[4:5]
	v_cmp_gt_u32_e32 vcc, 21, v0
	ds_write_b32 v126, v23
	s_waitcnt lgkmcnt(0)
	; wave barrier
	s_and_saveexec_b64 s[4:5], vcc
	s_cbranch_execz .LBB93_662
; %bb.653:
	s_and_b64 vcc, exec, s[0:1]
	s_cbranch_vccnz .LBB93_655
; %bb.654:
	v_cmp_eq_u32_e32 vcc, 1, v0
	v_cndmask_b32_e32 v32, v2, v3, vcc
	v_cmp_eq_u32_e32 vcc, 2, v0
	v_cndmask_b32_e32 v32, v32, v4, vcc
	;; [unrolled: 2-line block ×25, first 2 shown]
	v_cmp_eq_u32_e32 vcc, 26, v0
	ds_read_b32 v33, v126
	v_cndmask_b32_e32 v32, v32, v28, vcc
	v_cmp_eq_u32_e32 vcc, 27, v0
	v_cndmask_b32_e32 v32, v32, v29, vcc
	v_cmp_eq_u32_e32 vcc, 28, v0
	;; [unrolled: 2-line block ×3, first 2 shown]
	v_cndmask_b32_e32 v32, v32, v31, vcc
	s_waitcnt lgkmcnt(0)
	v_mul_f32_e32 v34, v32, v33
	s_cbranch_execz .LBB93_656
	s_branch .LBB93_657
.LBB93_655:
                                        ; implicit-def: $vgpr34
.LBB93_656:
	ds_read_b32 v34, v126
.LBB93_657:
	v_cmp_ne_u32_e32 vcc, 20, v0
	s_and_saveexec_b64 s[6:7], vcc
	s_cbranch_execz .LBB93_661
; %bb.658:
	v_mov_b32_e32 v32, 0x84
	v_lshl_add_u32 v35, v0, 2, v32
	v_mov_b32_e32 v33, v1
	s_mov_b64 s[8:9], 0
	v_mov_b32_e32 v32, v0
.LBB93_659:                             ; =>This Inner Loop Header: Depth=1
	v_add_co_u32_e32 v32, vcc, 1, v32
	v_addc_co_u32_e32 v33, vcc, 0, v33, vcc
	v_cmp_eq_u32_e32 vcc, 1, v32
	v_cndmask_b32_e32 v37, v2, v3, vcc
	v_cmp_lt_u32_e32 vcc, 19, v32
	v_cmp_eq_u32_e64 s[2:3], 2, v32
	v_cndmask_b32_e64 v37, v37, v4, s[2:3]
	s_or_b64 s[8:9], vcc, s[8:9]
	v_cmp_eq_u32_e32 vcc, 3, v32
	v_cndmask_b32_e32 v37, v37, v5, vcc
	v_cmp_eq_u32_e32 vcc, 4, v32
	v_cndmask_b32_e32 v37, v37, v6, vcc
	;; [unrolled: 2-line block ×22, first 2 shown]
	v_cmp_eq_u32_e32 vcc, 25, v32
	ds_read_b32 v36, v35
	v_cndmask_b32_e32 v37, v37, v27, vcc
	v_cmp_eq_u32_e32 vcc, 26, v32
	v_cndmask_b32_e32 v37, v37, v28, vcc
	v_cmp_eq_u32_e32 vcc, 27, v32
	;; [unrolled: 2-line block ×4, first 2 shown]
	v_cndmask_b32_e32 v37, v37, v31, vcc
	v_add_u32_e32 v35, 4, v35
	s_waitcnt lgkmcnt(0)
	v_fmac_f32_e32 v34, v37, v36
	s_andn2_b64 exec, exec, s[8:9]
	s_cbranch_execnz .LBB93_659
; %bb.660:
	s_or_b64 exec, exec, s[8:9]
.LBB93_661:
	s_or_b64 exec, exec, s[6:7]
	v_mov_b32_e32 v23, 0
	ds_read_b32 v23, v23 offset:84
	s_waitcnt lgkmcnt(0)
	v_mul_f32_e32 v23, v34, v23
.LBB93_662:
	s_or_b64 exec, exec, s[4:5]
	v_cmp_gt_u32_e32 vcc, 22, v0
	ds_write_b32 v126, v24
	s_waitcnt lgkmcnt(0)
	; wave barrier
	s_and_saveexec_b64 s[4:5], vcc
	s_cbranch_execz .LBB93_672
; %bb.663:
	s_and_b64 vcc, exec, s[0:1]
	s_cbranch_vccnz .LBB93_665
; %bb.664:
	v_cmp_eq_u32_e32 vcc, 1, v0
	v_cndmask_b32_e32 v32, v2, v3, vcc
	v_cmp_eq_u32_e32 vcc, 2, v0
	v_cndmask_b32_e32 v32, v32, v4, vcc
	;; [unrolled: 2-line block ×25, first 2 shown]
	v_cmp_eq_u32_e32 vcc, 26, v0
	ds_read_b32 v33, v126
	v_cndmask_b32_e32 v32, v32, v28, vcc
	v_cmp_eq_u32_e32 vcc, 27, v0
	v_cndmask_b32_e32 v32, v32, v29, vcc
	v_cmp_eq_u32_e32 vcc, 28, v0
	;; [unrolled: 2-line block ×3, first 2 shown]
	v_cndmask_b32_e32 v32, v32, v31, vcc
	s_waitcnt lgkmcnt(0)
	v_mul_f32_e32 v34, v32, v33
	s_cbranch_execz .LBB93_666
	s_branch .LBB93_667
.LBB93_665:
                                        ; implicit-def: $vgpr34
.LBB93_666:
	ds_read_b32 v34, v126
.LBB93_667:
	v_cmp_ne_u32_e32 vcc, 21, v0
	s_and_saveexec_b64 s[6:7], vcc
	s_cbranch_execz .LBB93_671
; %bb.668:
	v_mov_b32_e32 v32, 0x84
	v_lshl_add_u32 v35, v0, 2, v32
	v_mov_b32_e32 v33, v1
	s_mov_b64 s[8:9], 0
	v_mov_b32_e32 v32, v0
.LBB93_669:                             ; =>This Inner Loop Header: Depth=1
	v_add_co_u32_e32 v32, vcc, 1, v32
	v_addc_co_u32_e32 v33, vcc, 0, v33, vcc
	v_cmp_eq_u32_e32 vcc, 1, v32
	v_cndmask_b32_e32 v37, v2, v3, vcc
	v_cmp_lt_u32_e32 vcc, 20, v32
	v_cmp_eq_u32_e64 s[2:3], 2, v32
	v_cndmask_b32_e64 v37, v37, v4, s[2:3]
	s_or_b64 s[8:9], vcc, s[8:9]
	v_cmp_eq_u32_e32 vcc, 3, v32
	v_cndmask_b32_e32 v37, v37, v5, vcc
	v_cmp_eq_u32_e32 vcc, 4, v32
	v_cndmask_b32_e32 v37, v37, v6, vcc
	;; [unrolled: 2-line block ×22, first 2 shown]
	v_cmp_eq_u32_e32 vcc, 25, v32
	ds_read_b32 v36, v35
	v_cndmask_b32_e32 v37, v37, v27, vcc
	v_cmp_eq_u32_e32 vcc, 26, v32
	v_cndmask_b32_e32 v37, v37, v28, vcc
	v_cmp_eq_u32_e32 vcc, 27, v32
	;; [unrolled: 2-line block ×4, first 2 shown]
	v_cndmask_b32_e32 v37, v37, v31, vcc
	v_add_u32_e32 v35, 4, v35
	s_waitcnt lgkmcnt(0)
	v_fmac_f32_e32 v34, v37, v36
	s_andn2_b64 exec, exec, s[8:9]
	s_cbranch_execnz .LBB93_669
; %bb.670:
	s_or_b64 exec, exec, s[8:9]
.LBB93_671:
	s_or_b64 exec, exec, s[6:7]
	v_mov_b32_e32 v24, 0
	ds_read_b32 v24, v24 offset:88
	s_waitcnt lgkmcnt(0)
	v_mul_f32_e32 v24, v34, v24
.LBB93_672:
	s_or_b64 exec, exec, s[4:5]
	v_cmp_gt_u32_e32 vcc, 23, v0
	ds_write_b32 v126, v25
	s_waitcnt lgkmcnt(0)
	; wave barrier
	s_and_saveexec_b64 s[4:5], vcc
	s_cbranch_execz .LBB93_682
; %bb.673:
	s_and_b64 vcc, exec, s[0:1]
	s_cbranch_vccnz .LBB93_675
; %bb.674:
	v_cmp_eq_u32_e32 vcc, 1, v0
	v_cndmask_b32_e32 v32, v2, v3, vcc
	v_cmp_eq_u32_e32 vcc, 2, v0
	v_cndmask_b32_e32 v32, v32, v4, vcc
	v_cmp_eq_u32_e32 vcc, 3, v0
	v_cndmask_b32_e32 v32, v32, v5, vcc
	v_cmp_eq_u32_e32 vcc, 4, v0
	v_cndmask_b32_e32 v32, v32, v6, vcc
	v_cmp_eq_u32_e32 vcc, 5, v0
	v_cndmask_b32_e32 v32, v32, v7, vcc
	v_cmp_eq_u32_e32 vcc, 6, v0
	v_cndmask_b32_e32 v32, v32, v8, vcc
	v_cmp_eq_u32_e32 vcc, 7, v0
	v_cndmask_b32_e32 v32, v32, v9, vcc
	v_cmp_eq_u32_e32 vcc, 8, v0
	v_cndmask_b32_e32 v32, v32, v10, vcc
	v_cmp_eq_u32_e32 vcc, 9, v0
	v_cndmask_b32_e32 v32, v32, v11, vcc
	v_cmp_eq_u32_e32 vcc, 10, v0
	v_cndmask_b32_e32 v32, v32, v12, vcc
	v_cmp_eq_u32_e32 vcc, 11, v0
	v_cndmask_b32_e32 v32, v32, v13, vcc
	v_cmp_eq_u32_e32 vcc, 12, v0
	v_cndmask_b32_e32 v32, v32, v14, vcc
	v_cmp_eq_u32_e32 vcc, 13, v0
	v_cndmask_b32_e32 v32, v32, v15, vcc
	v_cmp_eq_u32_e32 vcc, 14, v0
	v_cndmask_b32_e32 v32, v32, v16, vcc
	v_cmp_eq_u32_e32 vcc, 15, v0
	v_cndmask_b32_e32 v32, v32, v17, vcc
	v_cmp_eq_u32_e32 vcc, 16, v0
	v_cndmask_b32_e32 v32, v32, v18, vcc
	v_cmp_eq_u32_e32 vcc, 17, v0
	v_cndmask_b32_e32 v32, v32, v19, vcc
	v_cmp_eq_u32_e32 vcc, 18, v0
	v_cndmask_b32_e32 v32, v32, v20, vcc
	v_cmp_eq_u32_e32 vcc, 19, v0
	v_cndmask_b32_e32 v32, v32, v21, vcc
	v_cmp_eq_u32_e32 vcc, 20, v0
	v_cndmask_b32_e32 v32, v32, v22, vcc
	v_cmp_eq_u32_e32 vcc, 21, v0
	v_cndmask_b32_e32 v32, v32, v23, vcc
	v_cmp_eq_u32_e32 vcc, 22, v0
	v_cndmask_b32_e32 v32, v32, v24, vcc
	v_cmp_eq_u32_e32 vcc, 23, v0
	v_cndmask_b32_e32 v32, v32, v25, vcc
	v_cmp_eq_u32_e32 vcc, 24, v0
	v_cndmask_b32_e32 v32, v32, v26, vcc
	v_cmp_eq_u32_e32 vcc, 25, v0
	v_cndmask_b32_e32 v32, v32, v27, vcc
	v_cmp_eq_u32_e32 vcc, 26, v0
	ds_read_b32 v33, v126
	v_cndmask_b32_e32 v32, v32, v28, vcc
	v_cmp_eq_u32_e32 vcc, 27, v0
	v_cndmask_b32_e32 v32, v32, v29, vcc
	v_cmp_eq_u32_e32 vcc, 28, v0
	;; [unrolled: 2-line block ×3, first 2 shown]
	v_cndmask_b32_e32 v32, v32, v31, vcc
	s_waitcnt lgkmcnt(0)
	v_mul_f32_e32 v34, v32, v33
	s_cbranch_execz .LBB93_676
	s_branch .LBB93_677
.LBB93_675:
                                        ; implicit-def: $vgpr34
.LBB93_676:
	ds_read_b32 v34, v126
.LBB93_677:
	v_cmp_ne_u32_e32 vcc, 22, v0
	s_and_saveexec_b64 s[6:7], vcc
	s_cbranch_execz .LBB93_681
; %bb.678:
	v_mov_b32_e32 v32, 0x84
	v_lshl_add_u32 v35, v0, 2, v32
	v_mov_b32_e32 v33, v1
	s_mov_b64 s[8:9], 0
	v_mov_b32_e32 v32, v0
.LBB93_679:                             ; =>This Inner Loop Header: Depth=1
	v_add_co_u32_e32 v32, vcc, 1, v32
	v_addc_co_u32_e32 v33, vcc, 0, v33, vcc
	v_cmp_eq_u32_e32 vcc, 1, v32
	v_cndmask_b32_e32 v37, v2, v3, vcc
	v_cmp_lt_u32_e32 vcc, 21, v32
	v_cmp_eq_u32_e64 s[2:3], 2, v32
	v_cndmask_b32_e64 v37, v37, v4, s[2:3]
	s_or_b64 s[8:9], vcc, s[8:9]
	v_cmp_eq_u32_e32 vcc, 3, v32
	v_cndmask_b32_e32 v37, v37, v5, vcc
	v_cmp_eq_u32_e32 vcc, 4, v32
	v_cndmask_b32_e32 v37, v37, v6, vcc
	;; [unrolled: 2-line block ×22, first 2 shown]
	v_cmp_eq_u32_e32 vcc, 25, v32
	ds_read_b32 v36, v35
	v_cndmask_b32_e32 v37, v37, v27, vcc
	v_cmp_eq_u32_e32 vcc, 26, v32
	v_cndmask_b32_e32 v37, v37, v28, vcc
	v_cmp_eq_u32_e32 vcc, 27, v32
	;; [unrolled: 2-line block ×4, first 2 shown]
	v_cndmask_b32_e32 v37, v37, v31, vcc
	v_add_u32_e32 v35, 4, v35
	s_waitcnt lgkmcnt(0)
	v_fmac_f32_e32 v34, v37, v36
	s_andn2_b64 exec, exec, s[8:9]
	s_cbranch_execnz .LBB93_679
; %bb.680:
	s_or_b64 exec, exec, s[8:9]
.LBB93_681:
	s_or_b64 exec, exec, s[6:7]
	v_mov_b32_e32 v25, 0
	ds_read_b32 v25, v25 offset:92
	s_waitcnt lgkmcnt(0)
	v_mul_f32_e32 v25, v34, v25
.LBB93_682:
	s_or_b64 exec, exec, s[4:5]
	v_cmp_gt_u32_e32 vcc, 24, v0
	ds_write_b32 v126, v26
	s_waitcnt lgkmcnt(0)
	; wave barrier
	s_and_saveexec_b64 s[4:5], vcc
	s_cbranch_execz .LBB93_692
; %bb.683:
	s_and_b64 vcc, exec, s[0:1]
	s_cbranch_vccnz .LBB93_685
; %bb.684:
	v_cmp_eq_u32_e32 vcc, 1, v0
	v_cndmask_b32_e32 v32, v2, v3, vcc
	v_cmp_eq_u32_e32 vcc, 2, v0
	v_cndmask_b32_e32 v32, v32, v4, vcc
	;; [unrolled: 2-line block ×25, first 2 shown]
	v_cmp_eq_u32_e32 vcc, 26, v0
	ds_read_b32 v33, v126
	v_cndmask_b32_e32 v32, v32, v28, vcc
	v_cmp_eq_u32_e32 vcc, 27, v0
	v_cndmask_b32_e32 v32, v32, v29, vcc
	v_cmp_eq_u32_e32 vcc, 28, v0
	;; [unrolled: 2-line block ×3, first 2 shown]
	v_cndmask_b32_e32 v32, v32, v31, vcc
	s_waitcnt lgkmcnt(0)
	v_mul_f32_e32 v34, v32, v33
	s_cbranch_execz .LBB93_686
	s_branch .LBB93_687
.LBB93_685:
                                        ; implicit-def: $vgpr34
.LBB93_686:
	ds_read_b32 v34, v126
.LBB93_687:
	v_cmp_ne_u32_e32 vcc, 23, v0
	s_and_saveexec_b64 s[6:7], vcc
	s_cbranch_execz .LBB93_691
; %bb.688:
	v_mov_b32_e32 v32, 0x84
	v_lshl_add_u32 v35, v0, 2, v32
	v_mov_b32_e32 v33, v1
	s_mov_b64 s[8:9], 0
	v_mov_b32_e32 v32, v0
.LBB93_689:                             ; =>This Inner Loop Header: Depth=1
	v_add_co_u32_e32 v32, vcc, 1, v32
	v_addc_co_u32_e32 v33, vcc, 0, v33, vcc
	v_cmp_eq_u32_e32 vcc, 1, v32
	v_cndmask_b32_e32 v37, v2, v3, vcc
	v_cmp_lt_u32_e32 vcc, 22, v32
	v_cmp_eq_u32_e64 s[2:3], 2, v32
	v_cndmask_b32_e64 v37, v37, v4, s[2:3]
	s_or_b64 s[8:9], vcc, s[8:9]
	v_cmp_eq_u32_e32 vcc, 3, v32
	v_cndmask_b32_e32 v37, v37, v5, vcc
	v_cmp_eq_u32_e32 vcc, 4, v32
	v_cndmask_b32_e32 v37, v37, v6, vcc
	;; [unrolled: 2-line block ×22, first 2 shown]
	v_cmp_eq_u32_e32 vcc, 25, v32
	ds_read_b32 v36, v35
	v_cndmask_b32_e32 v37, v37, v27, vcc
	v_cmp_eq_u32_e32 vcc, 26, v32
	v_cndmask_b32_e32 v37, v37, v28, vcc
	v_cmp_eq_u32_e32 vcc, 27, v32
	v_cndmask_b32_e32 v37, v37, v29, vcc
	v_cmp_eq_u32_e32 vcc, 28, v32
	v_cndmask_b32_e32 v37, v37, v30, vcc
	v_cmp_eq_u32_e32 vcc, 29, v32
	v_cndmask_b32_e32 v37, v37, v31, vcc
	v_add_u32_e32 v35, 4, v35
	s_waitcnt lgkmcnt(0)
	v_fmac_f32_e32 v34, v37, v36
	s_andn2_b64 exec, exec, s[8:9]
	s_cbranch_execnz .LBB93_689
; %bb.690:
	s_or_b64 exec, exec, s[8:9]
.LBB93_691:
	s_or_b64 exec, exec, s[6:7]
	v_mov_b32_e32 v26, 0
	ds_read_b32 v26, v26 offset:96
	s_waitcnt lgkmcnt(0)
	v_mul_f32_e32 v26, v34, v26
.LBB93_692:
	s_or_b64 exec, exec, s[4:5]
	v_cmp_gt_u32_e32 vcc, 25, v0
	ds_write_b32 v126, v27
	s_waitcnt lgkmcnt(0)
	; wave barrier
	s_and_saveexec_b64 s[4:5], vcc
	s_cbranch_execz .LBB93_702
; %bb.693:
	s_and_b64 vcc, exec, s[0:1]
	s_cbranch_vccnz .LBB93_695
; %bb.694:
	v_cmp_eq_u32_e32 vcc, 1, v0
	v_cndmask_b32_e32 v32, v2, v3, vcc
	v_cmp_eq_u32_e32 vcc, 2, v0
	v_cndmask_b32_e32 v32, v32, v4, vcc
	;; [unrolled: 2-line block ×25, first 2 shown]
	v_cmp_eq_u32_e32 vcc, 26, v0
	ds_read_b32 v33, v126
	v_cndmask_b32_e32 v32, v32, v28, vcc
	v_cmp_eq_u32_e32 vcc, 27, v0
	v_cndmask_b32_e32 v32, v32, v29, vcc
	v_cmp_eq_u32_e32 vcc, 28, v0
	;; [unrolled: 2-line block ×3, first 2 shown]
	v_cndmask_b32_e32 v32, v32, v31, vcc
	s_waitcnt lgkmcnt(0)
	v_mul_f32_e32 v34, v32, v33
	s_cbranch_execz .LBB93_696
	s_branch .LBB93_697
.LBB93_695:
                                        ; implicit-def: $vgpr34
.LBB93_696:
	ds_read_b32 v34, v126
.LBB93_697:
	v_cmp_ne_u32_e32 vcc, 24, v0
	s_and_saveexec_b64 s[6:7], vcc
	s_cbranch_execz .LBB93_701
; %bb.698:
	v_mov_b32_e32 v32, 0x84
	v_lshl_add_u32 v35, v0, 2, v32
	v_mov_b32_e32 v33, v1
	s_mov_b64 s[8:9], 0
	v_mov_b32_e32 v32, v0
.LBB93_699:                             ; =>This Inner Loop Header: Depth=1
	v_add_co_u32_e32 v32, vcc, 1, v32
	v_addc_co_u32_e32 v33, vcc, 0, v33, vcc
	v_cmp_eq_u32_e32 vcc, 1, v32
	v_cndmask_b32_e32 v37, v2, v3, vcc
	v_cmp_lt_u32_e32 vcc, 23, v32
	v_cmp_eq_u32_e64 s[2:3], 2, v32
	v_cndmask_b32_e64 v37, v37, v4, s[2:3]
	s_or_b64 s[8:9], vcc, s[8:9]
	v_cmp_eq_u32_e32 vcc, 3, v32
	v_cndmask_b32_e32 v37, v37, v5, vcc
	v_cmp_eq_u32_e32 vcc, 4, v32
	v_cndmask_b32_e32 v37, v37, v6, vcc
	;; [unrolled: 2-line block ×22, first 2 shown]
	v_cmp_eq_u32_e32 vcc, 25, v32
	ds_read_b32 v36, v35
	v_cndmask_b32_e32 v37, v37, v27, vcc
	v_cmp_eq_u32_e32 vcc, 26, v32
	v_cndmask_b32_e32 v37, v37, v28, vcc
	v_cmp_eq_u32_e32 vcc, 27, v32
	;; [unrolled: 2-line block ×4, first 2 shown]
	v_cndmask_b32_e32 v37, v37, v31, vcc
	v_add_u32_e32 v35, 4, v35
	s_waitcnt lgkmcnt(0)
	v_fmac_f32_e32 v34, v37, v36
	s_andn2_b64 exec, exec, s[8:9]
	s_cbranch_execnz .LBB93_699
; %bb.700:
	s_or_b64 exec, exec, s[8:9]
.LBB93_701:
	s_or_b64 exec, exec, s[6:7]
	v_mov_b32_e32 v27, 0
	ds_read_b32 v27, v27 offset:100
	s_waitcnt lgkmcnt(0)
	v_mul_f32_e32 v27, v34, v27
.LBB93_702:
	s_or_b64 exec, exec, s[4:5]
	v_cmp_gt_u32_e32 vcc, 26, v0
	ds_write_b32 v126, v28
	s_waitcnt lgkmcnt(0)
	; wave barrier
	s_and_saveexec_b64 s[4:5], vcc
	s_cbranch_execz .LBB93_712
; %bb.703:
	s_and_b64 vcc, exec, s[0:1]
	s_cbranch_vccnz .LBB93_705
; %bb.704:
	v_cmp_eq_u32_e32 vcc, 1, v0
	v_cndmask_b32_e32 v32, v2, v3, vcc
	v_cmp_eq_u32_e32 vcc, 2, v0
	v_cndmask_b32_e32 v32, v32, v4, vcc
	;; [unrolled: 2-line block ×25, first 2 shown]
	v_cmp_eq_u32_e32 vcc, 26, v0
	ds_read_b32 v33, v126
	v_cndmask_b32_e32 v32, v32, v28, vcc
	v_cmp_eq_u32_e32 vcc, 27, v0
	v_cndmask_b32_e32 v32, v32, v29, vcc
	v_cmp_eq_u32_e32 vcc, 28, v0
	;; [unrolled: 2-line block ×3, first 2 shown]
	v_cndmask_b32_e32 v32, v32, v31, vcc
	s_waitcnt lgkmcnt(0)
	v_mul_f32_e32 v34, v32, v33
	s_cbranch_execz .LBB93_706
	s_branch .LBB93_707
.LBB93_705:
                                        ; implicit-def: $vgpr34
.LBB93_706:
	ds_read_b32 v34, v126
.LBB93_707:
	v_cmp_ne_u32_e32 vcc, 25, v0
	s_and_saveexec_b64 s[6:7], vcc
	s_cbranch_execz .LBB93_711
; %bb.708:
	v_mov_b32_e32 v32, 0x84
	v_lshl_add_u32 v35, v0, 2, v32
	v_mov_b32_e32 v33, v1
	s_mov_b64 s[8:9], 0
	v_mov_b32_e32 v32, v0
.LBB93_709:                             ; =>This Inner Loop Header: Depth=1
	v_add_co_u32_e32 v32, vcc, 1, v32
	v_addc_co_u32_e32 v33, vcc, 0, v33, vcc
	v_cmp_eq_u32_e32 vcc, 1, v32
	v_cndmask_b32_e32 v37, v2, v3, vcc
	v_cmp_lt_u32_e32 vcc, 24, v32
	v_cmp_eq_u32_e64 s[2:3], 2, v32
	v_cndmask_b32_e64 v37, v37, v4, s[2:3]
	s_or_b64 s[8:9], vcc, s[8:9]
	v_cmp_eq_u32_e32 vcc, 3, v32
	v_cndmask_b32_e32 v37, v37, v5, vcc
	v_cmp_eq_u32_e32 vcc, 4, v32
	v_cndmask_b32_e32 v37, v37, v6, vcc
	v_cmp_eq_u32_e32 vcc, 5, v32
	v_cndmask_b32_e32 v37, v37, v7, vcc
	v_cmp_eq_u32_e32 vcc, 6, v32
	v_cndmask_b32_e32 v37, v37, v8, vcc
	v_cmp_eq_u32_e32 vcc, 7, v32
	v_cndmask_b32_e32 v37, v37, v9, vcc
	v_cmp_eq_u32_e32 vcc, 8, v32
	v_cndmask_b32_e32 v37, v37, v10, vcc
	v_cmp_eq_u32_e32 vcc, 9, v32
	v_cndmask_b32_e32 v37, v37, v11, vcc
	v_cmp_eq_u32_e32 vcc, 10, v32
	v_cndmask_b32_e32 v37, v37, v12, vcc
	v_cmp_eq_u32_e32 vcc, 11, v32
	v_cndmask_b32_e32 v37, v37, v13, vcc
	v_cmp_eq_u32_e32 vcc, 12, v32
	v_cndmask_b32_e32 v37, v37, v14, vcc
	v_cmp_eq_u32_e32 vcc, 13, v32
	v_cndmask_b32_e32 v37, v37, v15, vcc
	v_cmp_eq_u32_e32 vcc, 14, v32
	v_cndmask_b32_e32 v37, v37, v16, vcc
	v_cmp_eq_u32_e32 vcc, 15, v32
	v_cndmask_b32_e32 v37, v37, v17, vcc
	v_cmp_eq_u32_e32 vcc, 16, v32
	v_cndmask_b32_e32 v37, v37, v18, vcc
	v_cmp_eq_u32_e32 vcc, 17, v32
	v_cndmask_b32_e32 v37, v37, v19, vcc
	v_cmp_eq_u32_e32 vcc, 18, v32
	v_cndmask_b32_e32 v37, v37, v20, vcc
	v_cmp_eq_u32_e32 vcc, 19, v32
	v_cndmask_b32_e32 v37, v37, v21, vcc
	v_cmp_eq_u32_e32 vcc, 20, v32
	v_cndmask_b32_e32 v37, v37, v22, vcc
	v_cmp_eq_u32_e32 vcc, 21, v32
	v_cndmask_b32_e32 v37, v37, v23, vcc
	v_cmp_eq_u32_e32 vcc, 22, v32
	v_cndmask_b32_e32 v37, v37, v24, vcc
	v_cmp_eq_u32_e32 vcc, 23, v32
	v_cndmask_b32_e32 v37, v37, v25, vcc
	v_cmp_eq_u32_e32 vcc, 24, v32
	v_cndmask_b32_e32 v37, v37, v26, vcc
	v_cmp_eq_u32_e32 vcc, 25, v32
	ds_read_b32 v36, v35
	v_cndmask_b32_e32 v37, v37, v27, vcc
	v_cmp_eq_u32_e32 vcc, 26, v32
	v_cndmask_b32_e32 v37, v37, v28, vcc
	v_cmp_eq_u32_e32 vcc, 27, v32
	;; [unrolled: 2-line block ×4, first 2 shown]
	v_cndmask_b32_e32 v37, v37, v31, vcc
	v_add_u32_e32 v35, 4, v35
	s_waitcnt lgkmcnt(0)
	v_fmac_f32_e32 v34, v37, v36
	s_andn2_b64 exec, exec, s[8:9]
	s_cbranch_execnz .LBB93_709
; %bb.710:
	s_or_b64 exec, exec, s[8:9]
.LBB93_711:
	s_or_b64 exec, exec, s[6:7]
	v_mov_b32_e32 v28, 0
	ds_read_b32 v28, v28 offset:104
	s_waitcnt lgkmcnt(0)
	v_mul_f32_e32 v28, v34, v28
.LBB93_712:
	s_or_b64 exec, exec, s[4:5]
	v_cmp_gt_u32_e32 vcc, 27, v0
	ds_write_b32 v126, v29
	s_waitcnt lgkmcnt(0)
	; wave barrier
	s_and_saveexec_b64 s[4:5], vcc
	s_cbranch_execz .LBB93_722
; %bb.713:
	s_and_b64 vcc, exec, s[0:1]
	s_cbranch_vccnz .LBB93_715
; %bb.714:
	v_cmp_eq_u32_e32 vcc, 1, v0
	v_cndmask_b32_e32 v32, v2, v3, vcc
	v_cmp_eq_u32_e32 vcc, 2, v0
	v_cndmask_b32_e32 v32, v32, v4, vcc
	;; [unrolled: 2-line block ×25, first 2 shown]
	v_cmp_eq_u32_e32 vcc, 26, v0
	ds_read_b32 v33, v126
	v_cndmask_b32_e32 v32, v32, v28, vcc
	v_cmp_eq_u32_e32 vcc, 27, v0
	v_cndmask_b32_e32 v32, v32, v29, vcc
	v_cmp_eq_u32_e32 vcc, 28, v0
	;; [unrolled: 2-line block ×3, first 2 shown]
	v_cndmask_b32_e32 v32, v32, v31, vcc
	s_waitcnt lgkmcnt(0)
	v_mul_f32_e32 v34, v32, v33
	s_cbranch_execz .LBB93_716
	s_branch .LBB93_717
.LBB93_715:
                                        ; implicit-def: $vgpr34
.LBB93_716:
	ds_read_b32 v34, v126
.LBB93_717:
	v_cmp_ne_u32_e32 vcc, 26, v0
	s_and_saveexec_b64 s[6:7], vcc
	s_cbranch_execz .LBB93_721
; %bb.718:
	v_mov_b32_e32 v32, 0x84
	v_lshl_add_u32 v35, v0, 2, v32
	v_mov_b32_e32 v33, v1
	s_mov_b64 s[8:9], 0
	v_mov_b32_e32 v32, v0
.LBB93_719:                             ; =>This Inner Loop Header: Depth=1
	v_add_co_u32_e32 v32, vcc, 1, v32
	v_addc_co_u32_e32 v33, vcc, 0, v33, vcc
	v_cmp_eq_u32_e32 vcc, 1, v32
	v_cndmask_b32_e32 v37, v2, v3, vcc
	v_cmp_lt_u32_e32 vcc, 25, v32
	v_cmp_eq_u32_e64 s[2:3], 2, v32
	v_cndmask_b32_e64 v37, v37, v4, s[2:3]
	s_or_b64 s[8:9], vcc, s[8:9]
	v_cmp_eq_u32_e32 vcc, 3, v32
	v_cndmask_b32_e32 v37, v37, v5, vcc
	v_cmp_eq_u32_e32 vcc, 4, v32
	v_cndmask_b32_e32 v37, v37, v6, vcc
	;; [unrolled: 2-line block ×22, first 2 shown]
	v_cmp_eq_u32_e32 vcc, 25, v32
	ds_read_b32 v36, v35
	v_cndmask_b32_e32 v37, v37, v27, vcc
	v_cmp_eq_u32_e32 vcc, 26, v32
	v_cndmask_b32_e32 v37, v37, v28, vcc
	v_cmp_eq_u32_e32 vcc, 27, v32
	;; [unrolled: 2-line block ×4, first 2 shown]
	v_cndmask_b32_e32 v37, v37, v31, vcc
	v_add_u32_e32 v35, 4, v35
	s_waitcnt lgkmcnt(0)
	v_fmac_f32_e32 v34, v37, v36
	s_andn2_b64 exec, exec, s[8:9]
	s_cbranch_execnz .LBB93_719
; %bb.720:
	s_or_b64 exec, exec, s[8:9]
.LBB93_721:
	s_or_b64 exec, exec, s[6:7]
	v_mov_b32_e32 v29, 0
	ds_read_b32 v29, v29 offset:108
	s_waitcnt lgkmcnt(0)
	v_mul_f32_e32 v29, v34, v29
.LBB93_722:
	s_or_b64 exec, exec, s[4:5]
	v_cmp_gt_u32_e64 s[2:3], 28, v0
	ds_write_b32 v126, v30
	s_waitcnt lgkmcnt(0)
	; wave barrier
	s_and_saveexec_b64 s[6:7], s[2:3]
	s_cbranch_execz .LBB93_732
; %bb.723:
	s_and_b64 vcc, exec, s[0:1]
	s_cbranch_vccnz .LBB93_725
; %bb.724:
	v_cmp_eq_u32_e32 vcc, 1, v0
	v_cndmask_b32_e32 v32, v2, v3, vcc
	v_cmp_eq_u32_e32 vcc, 2, v0
	v_cndmask_b32_e32 v32, v32, v4, vcc
	v_cmp_eq_u32_e32 vcc, 3, v0
	v_cndmask_b32_e32 v32, v32, v5, vcc
	v_cmp_eq_u32_e32 vcc, 4, v0
	v_cndmask_b32_e32 v32, v32, v6, vcc
	v_cmp_eq_u32_e32 vcc, 5, v0
	v_cndmask_b32_e32 v32, v32, v7, vcc
	v_cmp_eq_u32_e32 vcc, 6, v0
	v_cndmask_b32_e32 v32, v32, v8, vcc
	v_cmp_eq_u32_e32 vcc, 7, v0
	v_cndmask_b32_e32 v32, v32, v9, vcc
	v_cmp_eq_u32_e32 vcc, 8, v0
	v_cndmask_b32_e32 v32, v32, v10, vcc
	v_cmp_eq_u32_e32 vcc, 9, v0
	v_cndmask_b32_e32 v32, v32, v11, vcc
	v_cmp_eq_u32_e32 vcc, 10, v0
	v_cndmask_b32_e32 v32, v32, v12, vcc
	v_cmp_eq_u32_e32 vcc, 11, v0
	v_cndmask_b32_e32 v32, v32, v13, vcc
	v_cmp_eq_u32_e32 vcc, 12, v0
	v_cndmask_b32_e32 v32, v32, v14, vcc
	v_cmp_eq_u32_e32 vcc, 13, v0
	v_cndmask_b32_e32 v32, v32, v15, vcc
	v_cmp_eq_u32_e32 vcc, 14, v0
	v_cndmask_b32_e32 v32, v32, v16, vcc
	v_cmp_eq_u32_e32 vcc, 15, v0
	v_cndmask_b32_e32 v32, v32, v17, vcc
	v_cmp_eq_u32_e32 vcc, 16, v0
	v_cndmask_b32_e32 v32, v32, v18, vcc
	v_cmp_eq_u32_e32 vcc, 17, v0
	v_cndmask_b32_e32 v32, v32, v19, vcc
	v_cmp_eq_u32_e32 vcc, 18, v0
	v_cndmask_b32_e32 v32, v32, v20, vcc
	v_cmp_eq_u32_e32 vcc, 19, v0
	v_cndmask_b32_e32 v32, v32, v21, vcc
	v_cmp_eq_u32_e32 vcc, 20, v0
	v_cndmask_b32_e32 v32, v32, v22, vcc
	v_cmp_eq_u32_e32 vcc, 21, v0
	v_cndmask_b32_e32 v32, v32, v23, vcc
	v_cmp_eq_u32_e32 vcc, 22, v0
	v_cndmask_b32_e32 v32, v32, v24, vcc
	v_cmp_eq_u32_e32 vcc, 23, v0
	v_cndmask_b32_e32 v32, v32, v25, vcc
	v_cmp_eq_u32_e32 vcc, 24, v0
	v_cndmask_b32_e32 v32, v32, v26, vcc
	v_cmp_eq_u32_e32 vcc, 25, v0
	v_cndmask_b32_e32 v32, v32, v27, vcc
	v_cmp_eq_u32_e32 vcc, 26, v0
	ds_read_b32 v33, v126
	v_cndmask_b32_e32 v32, v32, v28, vcc
	v_cmp_eq_u32_e32 vcc, 27, v0
	v_cndmask_b32_e32 v32, v32, v29, vcc
	v_cmp_eq_u32_e32 vcc, 28, v0
	;; [unrolled: 2-line block ×3, first 2 shown]
	v_cndmask_b32_e32 v32, v32, v31, vcc
	s_waitcnt lgkmcnt(0)
	v_mul_f32_e32 v34, v32, v33
	s_cbranch_execz .LBB93_726
	s_branch .LBB93_727
.LBB93_725:
                                        ; implicit-def: $vgpr34
.LBB93_726:
	ds_read_b32 v34, v126
.LBB93_727:
	v_cmp_ne_u32_e32 vcc, 27, v0
	s_and_saveexec_b64 s[8:9], vcc
	s_cbranch_execz .LBB93_731
; %bb.728:
	v_mov_b32_e32 v32, 0x84
	v_lshl_add_u32 v35, v0, 2, v32
	v_mov_b32_e32 v33, v1
	s_mov_b64 s[10:11], 0
	v_mov_b32_e32 v32, v0
.LBB93_729:                             ; =>This Inner Loop Header: Depth=1
	v_add_co_u32_e32 v32, vcc, 1, v32
	v_addc_co_u32_e32 v33, vcc, 0, v33, vcc
	v_cmp_eq_u32_e32 vcc, 1, v32
	v_cndmask_b32_e32 v37, v2, v3, vcc
	v_cmp_lt_u32_e32 vcc, 26, v32
	v_cmp_eq_u32_e64 s[4:5], 2, v32
	v_cndmask_b32_e64 v37, v37, v4, s[4:5]
	s_or_b64 s[10:11], vcc, s[10:11]
	v_cmp_eq_u32_e32 vcc, 3, v32
	v_cndmask_b32_e32 v37, v37, v5, vcc
	v_cmp_eq_u32_e32 vcc, 4, v32
	v_cndmask_b32_e32 v37, v37, v6, vcc
	;; [unrolled: 2-line block ×22, first 2 shown]
	v_cmp_eq_u32_e32 vcc, 25, v32
	ds_read_b32 v36, v35
	v_cndmask_b32_e32 v37, v37, v27, vcc
	v_cmp_eq_u32_e32 vcc, 26, v32
	v_cndmask_b32_e32 v37, v37, v28, vcc
	v_cmp_eq_u32_e32 vcc, 27, v32
	;; [unrolled: 2-line block ×4, first 2 shown]
	v_cndmask_b32_e32 v37, v37, v31, vcc
	v_add_u32_e32 v35, 4, v35
	s_waitcnt lgkmcnt(0)
	v_fmac_f32_e32 v34, v37, v36
	s_andn2_b64 exec, exec, s[10:11]
	s_cbranch_execnz .LBB93_729
; %bb.730:
	s_or_b64 exec, exec, s[10:11]
.LBB93_731:
	s_or_b64 exec, exec, s[8:9]
	v_mov_b32_e32 v30, 0
	ds_read_b32 v30, v30 offset:112
	s_waitcnt lgkmcnt(0)
	v_mul_f32_e32 v30, v34, v30
.LBB93_732:
	s_or_b64 exec, exec, s[6:7]
	v_cmp_ne_u32_e32 vcc, 29, v0
	ds_write_b32 v126, v31
	s_waitcnt lgkmcnt(0)
	; wave barrier
	s_and_saveexec_b64 s[4:5], vcc
	s_cbranch_execz .LBB93_742
; %bb.733:
	s_and_b64 vcc, exec, s[0:1]
	s_cbranch_vccnz .LBB93_735
; %bb.734:
	v_cmp_eq_u32_e32 vcc, 1, v0
	v_cndmask_b32_e32 v32, v2, v3, vcc
	v_cmp_eq_u32_e32 vcc, 2, v0
	v_cndmask_b32_e32 v32, v32, v4, vcc
	;; [unrolled: 2-line block ×25, first 2 shown]
	v_cmp_eq_u32_e32 vcc, 26, v0
	ds_read_b32 v33, v126
	v_cndmask_b32_e32 v32, v32, v28, vcc
	v_cmp_eq_u32_e32 vcc, 27, v0
	v_cndmask_b32_e32 v32, v32, v29, vcc
	v_cmp_eq_u32_e32 vcc, 28, v0
	;; [unrolled: 2-line block ×3, first 2 shown]
	v_cndmask_b32_e32 v32, v32, v31, vcc
	s_waitcnt lgkmcnt(0)
	v_mul_f32_e32 v32, v32, v33
	s_cbranch_execz .LBB93_736
	s_branch .LBB93_737
.LBB93_735:
                                        ; implicit-def: $vgpr32
.LBB93_736:
	ds_read_b32 v32, v126
.LBB93_737:
	s_and_saveexec_b64 s[6:7], s[2:3]
	s_cbranch_execz .LBB93_741
; %bb.738:
	v_mov_b32_e32 v33, 0x84
	v_lshl_add_u32 v33, v0, 2, v33
	s_mov_b64 s[2:3], 0
.LBB93_739:                             ; =>This Inner Loop Header: Depth=1
	v_add_co_u32_e32 v0, vcc, 1, v0
	v_addc_co_u32_e32 v1, vcc, 0, v1, vcc
	v_cmp_eq_u32_e32 vcc, 1, v0
	v_cndmask_b32_e32 v35, v2, v3, vcc
	v_cmp_lt_u32_e32 vcc, 27, v0
	v_cmp_eq_u32_e64 s[0:1], 2, v0
	v_cndmask_b32_e64 v35, v35, v4, s[0:1]
	s_or_b64 s[2:3], vcc, s[2:3]
	v_cmp_eq_u32_e32 vcc, 3, v0
	v_cndmask_b32_e32 v35, v35, v5, vcc
	v_cmp_eq_u32_e32 vcc, 4, v0
	v_cndmask_b32_e32 v35, v35, v6, vcc
	;; [unrolled: 2-line block ×22, first 2 shown]
	v_cmp_eq_u32_e32 vcc, 25, v0
	ds_read_b32 v34, v33
	v_cndmask_b32_e32 v35, v35, v27, vcc
	v_cmp_eq_u32_e32 vcc, 26, v0
	v_cndmask_b32_e32 v35, v35, v28, vcc
	v_cmp_eq_u32_e32 vcc, 27, v0
	;; [unrolled: 2-line block ×4, first 2 shown]
	v_cndmask_b32_e32 v35, v35, v31, vcc
	v_add_u32_e32 v33, 4, v33
	s_waitcnt lgkmcnt(0)
	v_fmac_f32_e32 v32, v35, v34
	s_andn2_b64 exec, exec, s[2:3]
	s_cbranch_execnz .LBB93_739
; %bb.740:
	s_or_b64 exec, exec, s[2:3]
.LBB93_741:
	s_or_b64 exec, exec, s[6:7]
	v_mov_b32_e32 v0, 0
	ds_read_b32 v0, v0 offset:116
	s_waitcnt lgkmcnt(0)
	v_mul_f32_e32 v31, v32, v0
.LBB93_742:
	s_or_b64 exec, exec, s[4:5]
	v_mov_b32_e32 v65, v33
	v_mov_b32_e32 v64, v32
	;; [unrolled: 1-line block ×32, first 2 shown]
.LBB93_743:
	flat_store_dword v[122:123], v34
	flat_store_dword v[124:125], v35
	;; [unrolled: 1-line block ×30, first 2 shown]
.LBB93_744:
	s_endpgm
	.section	.rodata,"a",@progbits
	.p2align	6, 0x0
	.amdhsa_kernel _ZN9rocsolver6v33100L18trti2_kernel_smallILi30EfPKPfEEv13rocblas_fill_17rocblas_diagonal_T1_iil
		.amdhsa_group_segment_fixed_size 248
		.amdhsa_private_segment_fixed_size 0
		.amdhsa_kernarg_size 32
		.amdhsa_user_sgpr_count 6
		.amdhsa_user_sgpr_private_segment_buffer 1
		.amdhsa_user_sgpr_dispatch_ptr 0
		.amdhsa_user_sgpr_queue_ptr 0
		.amdhsa_user_sgpr_kernarg_segment_ptr 1
		.amdhsa_user_sgpr_dispatch_id 0
		.amdhsa_user_sgpr_flat_scratch_init 0
		.amdhsa_user_sgpr_private_segment_size 0
		.amdhsa_uses_dynamic_stack 0
		.amdhsa_system_sgpr_private_segment_wavefront_offset 0
		.amdhsa_system_sgpr_workgroup_id_x 1
		.amdhsa_system_sgpr_workgroup_id_y 0
		.amdhsa_system_sgpr_workgroup_id_z 0
		.amdhsa_system_sgpr_workgroup_info 0
		.amdhsa_system_vgpr_workitem_id 0
		.amdhsa_next_free_vgpr 144
		.amdhsa_next_free_sgpr 68
		.amdhsa_reserve_vcc 1
		.amdhsa_reserve_flat_scratch 0
		.amdhsa_float_round_mode_32 0
		.amdhsa_float_round_mode_16_64 0
		.amdhsa_float_denorm_mode_32 3
		.amdhsa_float_denorm_mode_16_64 3
		.amdhsa_dx10_clamp 1
		.amdhsa_ieee_mode 1
		.amdhsa_fp16_overflow 0
		.amdhsa_exception_fp_ieee_invalid_op 0
		.amdhsa_exception_fp_denorm_src 0
		.amdhsa_exception_fp_ieee_div_zero 0
		.amdhsa_exception_fp_ieee_overflow 0
		.amdhsa_exception_fp_ieee_underflow 0
		.amdhsa_exception_fp_ieee_inexact 0
		.amdhsa_exception_int_div_zero 0
	.end_amdhsa_kernel
	.section	.text._ZN9rocsolver6v33100L18trti2_kernel_smallILi30EfPKPfEEv13rocblas_fill_17rocblas_diagonal_T1_iil,"axG",@progbits,_ZN9rocsolver6v33100L18trti2_kernel_smallILi30EfPKPfEEv13rocblas_fill_17rocblas_diagonal_T1_iil,comdat
.Lfunc_end93:
	.size	_ZN9rocsolver6v33100L18trti2_kernel_smallILi30EfPKPfEEv13rocblas_fill_17rocblas_diagonal_T1_iil, .Lfunc_end93-_ZN9rocsolver6v33100L18trti2_kernel_smallILi30EfPKPfEEv13rocblas_fill_17rocblas_diagonal_T1_iil
                                        ; -- End function
	.set _ZN9rocsolver6v33100L18trti2_kernel_smallILi30EfPKPfEEv13rocblas_fill_17rocblas_diagonal_T1_iil.num_vgpr, 144
	.set _ZN9rocsolver6v33100L18trti2_kernel_smallILi30EfPKPfEEv13rocblas_fill_17rocblas_diagonal_T1_iil.num_agpr, 0
	.set _ZN9rocsolver6v33100L18trti2_kernel_smallILi30EfPKPfEEv13rocblas_fill_17rocblas_diagonal_T1_iil.numbered_sgpr, 68
	.set _ZN9rocsolver6v33100L18trti2_kernel_smallILi30EfPKPfEEv13rocblas_fill_17rocblas_diagonal_T1_iil.num_named_barrier, 0
	.set _ZN9rocsolver6v33100L18trti2_kernel_smallILi30EfPKPfEEv13rocblas_fill_17rocblas_diagonal_T1_iil.private_seg_size, 0
	.set _ZN9rocsolver6v33100L18trti2_kernel_smallILi30EfPKPfEEv13rocblas_fill_17rocblas_diagonal_T1_iil.uses_vcc, 1
	.set _ZN9rocsolver6v33100L18trti2_kernel_smallILi30EfPKPfEEv13rocblas_fill_17rocblas_diagonal_T1_iil.uses_flat_scratch, 0
	.set _ZN9rocsolver6v33100L18trti2_kernel_smallILi30EfPKPfEEv13rocblas_fill_17rocblas_diagonal_T1_iil.has_dyn_sized_stack, 0
	.set _ZN9rocsolver6v33100L18trti2_kernel_smallILi30EfPKPfEEv13rocblas_fill_17rocblas_diagonal_T1_iil.has_recursion, 0
	.set _ZN9rocsolver6v33100L18trti2_kernel_smallILi30EfPKPfEEv13rocblas_fill_17rocblas_diagonal_T1_iil.has_indirect_call, 0
	.section	.AMDGPU.csdata,"",@progbits
; Kernel info:
; codeLenInByte = 49128
; TotalNumSgprs: 72
; NumVgprs: 144
; ScratchSize: 0
; MemoryBound: 0
; FloatMode: 240
; IeeeMode: 1
; LDSByteSize: 248 bytes/workgroup (compile time only)
; SGPRBlocks: 8
; VGPRBlocks: 35
; NumSGPRsForWavesPerEU: 72
; NumVGPRsForWavesPerEU: 144
; Occupancy: 1
; WaveLimiterHint : 1
; COMPUTE_PGM_RSRC2:SCRATCH_EN: 0
; COMPUTE_PGM_RSRC2:USER_SGPR: 6
; COMPUTE_PGM_RSRC2:TRAP_HANDLER: 0
; COMPUTE_PGM_RSRC2:TGID_X_EN: 1
; COMPUTE_PGM_RSRC2:TGID_Y_EN: 0
; COMPUTE_PGM_RSRC2:TGID_Z_EN: 0
; COMPUTE_PGM_RSRC2:TIDIG_COMP_CNT: 0
	.section	.text._ZN9rocsolver6v33100L18trti2_kernel_smallILi31EfPKPfEEv13rocblas_fill_17rocblas_diagonal_T1_iil,"axG",@progbits,_ZN9rocsolver6v33100L18trti2_kernel_smallILi31EfPKPfEEv13rocblas_fill_17rocblas_diagonal_T1_iil,comdat
	.globl	_ZN9rocsolver6v33100L18trti2_kernel_smallILi31EfPKPfEEv13rocblas_fill_17rocblas_diagonal_T1_iil ; -- Begin function _ZN9rocsolver6v33100L18trti2_kernel_smallILi31EfPKPfEEv13rocblas_fill_17rocblas_diagonal_T1_iil
	.p2align	8
	.type	_ZN9rocsolver6v33100L18trti2_kernel_smallILi31EfPKPfEEv13rocblas_fill_17rocblas_diagonal_T1_iil,@function
_ZN9rocsolver6v33100L18trti2_kernel_smallILi31EfPKPfEEv13rocblas_fill_17rocblas_diagonal_T1_iil: ; @_ZN9rocsolver6v33100L18trti2_kernel_smallILi31EfPKPfEEv13rocblas_fill_17rocblas_diagonal_T1_iil
; %bb.0:
	v_cmp_gt_u32_e32 vcc, 31, v0
	s_and_saveexec_b64 s[0:1], vcc
	s_cbranch_execz .LBB94_770
; %bb.1:
	s_load_dwordx2 s[0:1], s[4:5], 0x10
	s_load_dwordx4 s[64:67], s[4:5], 0x0
	s_ashr_i32 s7, s6, 31
	s_lshl_b64 s[2:3], s[6:7], 3
	v_lshlrev_b32_e32 v34, 2, v0
	s_waitcnt lgkmcnt(0)
	s_ashr_i32 s5, s0, 31
	s_add_u32 s2, s66, s2
	s_addc_u32 s3, s67, s3
	s_load_dwordx2 s[2:3], s[2:3], 0x0
	s_mov_b32 s4, s0
	s_lshl_b64 s[4:5], s[4:5], 2
	v_mov_b32_e32 v35, -1.0
	s_waitcnt lgkmcnt(0)
	s_add_u32 s0, s2, s4
	s_addc_u32 s2, s3, s5
	s_add_i32 s3, s1, s1
	v_add_u32_e32 v1, s3, v0
	v_ashrrev_i32_e32 v2, 31, v1
	v_lshlrev_b64 v[2:3], 2, v[1:2]
	v_add_u32_e32 v1, s1, v1
	v_mov_b32_e32 v4, s2
	v_add_co_u32_e32 v66, vcc, s0, v2
	v_ashrrev_i32_e32 v2, 31, v1
	v_addc_co_u32_e32 v67, vcc, v4, v3, vcc
	v_lshlrev_b64 v[2:3], 2, v[1:2]
	v_add_u32_e32 v1, s1, v1
	v_add_co_u32_e32 v68, vcc, s0, v2
	v_ashrrev_i32_e32 v2, 31, v1
	v_addc_co_u32_e32 v69, vcc, v4, v3, vcc
	v_lshlrev_b64 v[2:3], 2, v[1:2]
	v_add_u32_e32 v1, s1, v1
	;; [unrolled: 5-line block ×27, first 2 shown]
	v_add_co_u32_e32 v120, vcc, s0, v2
	v_ashrrev_i32_e32 v2, 31, v1
	v_lshlrev_b64 v[1:2], 2, v[1:2]
	v_addc_co_u32_e32 v121, vcc, v4, v3, vcc
	v_mov_b32_e32 v3, s2
	v_add_co_u32_e32 v122, vcc, s0, v1
	v_addc_co_u32_e32 v123, vcc, v3, v2, vcc
	v_mov_b32_e32 v1, s2
	v_add_co_u32_e32 v124, vcc, s0, v34
	s_ashr_i32 s3, s1, 31
	s_mov_b32 s2, s1
	v_addc_co_u32_e32 v125, vcc, 0, v1, vcc
	s_lshl_b64 s[0:1], s[2:3], 2
	v_mov_b32_e32 v1, s1
	v_add_co_u32_e32 v126, vcc, s0, v124
	v_addc_co_u32_e32 v127, vcc, v125, v1, vcc
	flat_load_dword v2, v[124:125]
	flat_load_dword v3, v[126:127]
	;; [unrolled: 1-line block ×31, first 2 shown]
	s_cmpk_lg_i32 s65, 0x84
	v_mov_b32_e32 v1, 0
	s_cselect_b64 s[66:67], -1, 0
	s_cmpk_eq_i32 s65, 0x84
	v_cmp_eq_u32_e64 s[0:1], 0, v0
	s_cbranch_scc1 .LBB94_3
; %bb.2:
	v_cmp_eq_u32_e64 s[2:3], 1, v0
	s_waitcnt vmcnt(0) lgkmcnt(0)
	v_cndmask_b32_e64 v33, v2, v3, s[2:3]
	v_cmp_eq_u32_e64 s[4:5], 2, v0
	v_cndmask_b32_e64 v33, v33, v4, s[4:5]
	v_cmp_eq_u32_e64 s[6:7], 3, v0
	;; [unrolled: 2-line block ×29, first 2 shown]
	v_cndmask_b32_e64 v33, v33, v32, s[62:63]
	v_div_scale_f32 v35, s[68:69], v33, v33, 1.0
	v_div_scale_f32 v36, vcc, 1.0, v33, 1.0
	v_rcp_f32_e32 v37, v35
	v_fma_f32 v38, -v35, v37, 1.0
	v_fmac_f32_e32 v37, v38, v37
	v_mul_f32_e32 v38, v36, v37
	v_fma_f32 v39, -v35, v38, v36
	v_fmac_f32_e32 v38, v39, v37
	v_fma_f32 v35, -v35, v38, v36
	v_div_fmas_f32 v35, v35, v37, v38
	v_div_fixup_f32 v33, v35, v33, 1.0
	v_cndmask_b32_e64 v32, v32, v33, s[62:63]
	v_cndmask_b32_e64 v31, v31, v33, s[60:61]
	;; [unrolled: 1-line block ×31, first 2 shown]
	v_xor_b32_e32 v35, 0x80000000, v33
.LBB94_3:
	s_cmpk_eq_i32 s64, 0x79
	v_add_u32_e32 v128, 0x80, v34
	ds_write_b32 v34, v35
	s_cbranch_scc1 .LBB94_7
; %bb.4:
	s_waitcnt vmcnt(0) lgkmcnt(0)
	v_mov_b32_e32 v65, v33
	v_mov_b32_e32 v64, v32
	;; [unrolled: 1-line block ×32, first 2 shown]
	v_cmp_eq_u32_e64 s[2:3], 30, v0
	ds_write_b32 v128, v31
	s_waitcnt lgkmcnt(0)
	; wave barrier
	s_and_saveexec_b64 s[0:1], s[2:3]
	s_cbranch_execz .LBB94_11
; %bb.5:
	s_and_b64 vcc, exec, s[66:67]
	s_cbranch_vccz .LBB94_8
; %bb.6:
	v_cmp_eq_u32_e32 vcc, 1, v0
	v_cndmask_b32_e32 v34, v2, v3, vcc
	v_cmp_eq_u32_e32 vcc, 2, v0
	v_cndmask_b32_e32 v34, v34, v4, vcc
	;; [unrolled: 2-line block ×26, first 2 shown]
	v_cmp_eq_u32_e32 vcc, 27, v0
	ds_read_b32 v35, v128
	v_cndmask_b32_e32 v34, v34, v29, vcc
	v_cmp_eq_u32_e32 vcc, 28, v0
	v_cndmask_b32_e32 v34, v34, v30, vcc
	v_cmp_eq_u32_e32 vcc, 29, v0
	;; [unrolled: 2-line block ×3, first 2 shown]
	v_cndmask_b32_e32 v34, v34, v32, vcc
	s_waitcnt lgkmcnt(0)
	v_mul_f32_e32 v38, v34, v35
	s_cbranch_execz .LBB94_9
	s_branch .LBB94_10
.LBB94_7:
                                        ; implicit-def: $vgpr34_vgpr35_vgpr36_vgpr37_vgpr38_vgpr39_vgpr40_vgpr41_vgpr42_vgpr43_vgpr44_vgpr45_vgpr46_vgpr47_vgpr48_vgpr49_vgpr50_vgpr51_vgpr52_vgpr53_vgpr54_vgpr55_vgpr56_vgpr57_vgpr58_vgpr59_vgpr60_vgpr61_vgpr62_vgpr63_vgpr64_vgpr65
	s_cbranch_execnz .LBB94_466
	s_branch .LBB94_769
.LBB94_8:
                                        ; implicit-def: $vgpr38
.LBB94_9:
	ds_read_b32 v38, v128
.LBB94_10:
	v_mov_b32_e32 v34, 0
	ds_read_b32 v39, v34 offset:116
	v_mov_b32_e32 v34, v2
	v_mov_b32_e32 v35, v3
	;; [unrolled: 1-line block ×4, first 2 shown]
	s_waitcnt lgkmcnt(0)
	v_mul_f32_e32 v63, v38, v39
	v_mov_b32_e32 v38, v6
	v_mov_b32_e32 v39, v7
	;; [unrolled: 1-line block ×26, first 2 shown]
.LBB94_11:
	s_or_b64 exec, exec, s[0:1]
	v_cmp_lt_u32_e64 s[0:1], 28, v0
	ds_write_b32 v128, v62
	s_waitcnt lgkmcnt(0)
	; wave barrier
	s_and_saveexec_b64 s[4:5], s[0:1]
	s_cbranch_execz .LBB94_17
; %bb.12:
	s_andn2_b64 vcc, exec, s[66:67]
	s_cbranch_vccnz .LBB94_14
; %bb.13:
	v_cmp_eq_u32_e32 vcc, 1, v0
	v_cndmask_b32_e32 v65, v34, v35, vcc
	v_cmp_eq_u32_e32 vcc, 2, v0
	v_cndmask_b32_e32 v65, v65, v36, vcc
	;; [unrolled: 2-line block ×28, first 2 shown]
	ds_read_b32 v65, v128
	v_cmp_eq_u32_e32 vcc, 29, v0
	v_cndmask_b32_e32 v62, v62, v63, vcc
	v_cmp_eq_u32_e32 vcc, 30, v0
	v_cndmask_b32_e32 v62, v62, v64, vcc
	s_waitcnt lgkmcnt(0)
	v_mul_f32_e32 v62, v62, v65
	s_cbranch_execz .LBB94_15
	s_branch .LBB94_16
.LBB94_14:
                                        ; implicit-def: $vgpr62
.LBB94_15:
	ds_read_b32 v62, v128
.LBB94_16:
	v_mov_b32_e32 v65, 0
	ds_read2_b32 v[129:130], v65 offset0:28 offset1:61
	s_waitcnt lgkmcnt(0)
	v_fma_f32 v65, v63, v130, v62
	v_cndmask_b32_e64 v62, v62, v65, s[2:3]
	v_mul_f32_e32 v62, v62, v129
.LBB94_17:
	s_or_b64 exec, exec, s[4:5]
	v_cmp_lt_u32_e64 s[2:3], 27, v0
	ds_write_b32 v128, v61
	s_waitcnt lgkmcnt(0)
	; wave barrier
	s_and_saveexec_b64 s[4:5], s[2:3]
	s_cbranch_execz .LBB94_33
; %bb.18:
	s_andn2_b64 vcc, exec, s[66:67]
	s_cbranch_vccnz .LBB94_20
; %bb.19:
	v_cmp_eq_u32_e32 vcc, 1, v0
	v_cndmask_b32_e32 v129, v34, v35, vcc
	v_cmp_eq_u32_e32 vcc, 2, v0
	v_cndmask_b32_e32 v129, v129, v36, vcc
	;; [unrolled: 2-line block ×26, first 2 shown]
	v_cmp_eq_u32_e32 vcc, 27, v0
	ds_read_b32 v130, v128
	v_cndmask_b32_e32 v129, v129, v61, vcc
	v_cmp_eq_u32_e32 vcc, 28, v0
	v_cndmask_b32_e32 v129, v129, v62, vcc
	v_cmp_eq_u32_e32 vcc, 29, v0
	;; [unrolled: 2-line block ×3, first 2 shown]
	v_cndmask_b32_e32 v129, v129, v64, vcc
	s_waitcnt lgkmcnt(0)
	v_mul_f32_e32 v129, v129, v130
	s_cbranch_execz .LBB94_21
	s_branch .LBB94_22
.LBB94_20:
                                        ; implicit-def: $vgpr129
.LBB94_21:
	ds_read_b32 v129, v128
.LBB94_22:
	s_and_saveexec_b64 s[6:7], s[0:1]
	s_cbranch_execz .LBB94_32
; %bb.23:
	v_subrev_u32_e32 v132, 29, v0
	v_mov_b32_e32 v130, 28
	v_subrev_u32_e32 v131, 28, v0
	v_cmp_lt_u32_e32 vcc, 6, v132
	s_and_saveexec_b64 s[0:1], vcc
	s_cbranch_execz .LBB94_27
; %bb.24:
	v_and_b32_e32 v130, -8, v131
	v_sub_u32_e32 v132, 0, v130
	s_mov_b64 s[8:9], 35
	s_movk_i32 s12, 0xf0
	s_mov_b64 s[10:11], 0
.LBB94_25:                              ; =>This Inner Loop Header: Depth=1
	s_add_i32 s13, s8, -7
	v_mov_b32_e32 v130, s12
	s_add_i32 s14, s8, -6
	s_set_gpr_idx_on s13, gpr_idx(SRC0)
	v_mov_b32_e32 v141, v34
	s_set_gpr_idx_off
	s_add_i32 s15, s8, -5
	ds_read_b128 v[133:136], v130
	ds_read_b128 v[137:140], v130 offset:16
	s_set_gpr_idx_on s14, gpr_idx(SRC0)
	v_mov_b32_e32 v130, v34
	s_set_gpr_idx_off
	s_add_i32 s16, s8, -4
	s_set_gpr_idx_on s15, gpr_idx(SRC0)
	v_mov_b32_e32 v142, v34
	s_set_gpr_idx_off
	s_add_i32 s17, s8, -3
	;; [unrolled: 4-line block ×4, first 2 shown]
	s_waitcnt lgkmcnt(1)
	v_fmac_f32_e32 v129, v141, v133
	s_set_gpr_idx_on s18, gpr_idx(SRC0)
	v_mov_b32_e32 v133, v34
	s_set_gpr_idx_off
	v_fmac_f32_e32 v129, v130, v134
	s_set_gpr_idx_on s19, gpr_idx(SRC0)
	v_mov_b32_e32 v134, v34
	s_set_gpr_idx_off
	;; [unrolled: 4-line block ×3, first 2 shown]
	v_fmac_f32_e32 v129, v143, v136
	s_add_u32 s8, s8, 8
	s_waitcnt lgkmcnt(0)
	v_fmac_f32_e32 v129, v144, v137
	v_add_u32_e32 v130, s8, v132
	v_fmac_f32_e32 v129, v133, v138
	s_addc_u32 s9, s9, 0
	s_add_i32 s12, s12, 32
	s_add_i32 s13, s8, -7
	v_cmp_eq_u32_e32 vcc, 35, v130
	v_fmac_f32_e32 v129, v134, v139
	v_mov_b32_e32 v130, s13
	s_or_b64 s[10:11], vcc, s[10:11]
	v_fmac_f32_e32 v129, v135, v140
	s_andn2_b64 exec, exec, s[10:11]
	s_cbranch_execnz .LBB94_25
; %bb.26:
	s_or_b64 exec, exec, s[10:11]
.LBB94_27:
	s_or_b64 exec, exec, s[0:1]
	v_and_b32_e32 v65, 7, v131
	v_cmp_ne_u32_e32 vcc, 0, v65
	s_and_saveexec_b64 s[8:9], vcc
	s_cbranch_execz .LBB94_31
; %bb.28:
	v_mov_b32_e32 v131, 0x80
	v_lshl_add_u32 v131, v130, 2, v131
	v_mov_b32_e32 v132, 0
	s_mov_b64 s[10:11], 0
.LBB94_29:                              ; =>This Inner Loop Header: Depth=1
	v_cmp_eq_u32_e32 vcc, 1, v130
	v_cndmask_b32_e32 v133, v34, v35, vcc
	v_add_u32_e32 v65, -1, v65
	v_cmp_eq_u32_e32 vcc, 2, v130
	v_cndmask_b32_e32 v133, v133, v36, vcc
	v_cmp_eq_u32_e32 vcc, 0, v65
	v_cmp_eq_u32_e64 s[0:1], 3, v130
	v_cndmask_b32_e64 v133, v133, v37, s[0:1]
	s_or_b64 s[10:11], vcc, s[10:11]
	v_cmp_eq_u32_e32 vcc, 4, v130
	v_cndmask_b32_e32 v133, v133, v38, vcc
	v_cmp_eq_u32_e32 vcc, 5, v130
	v_cndmask_b32_e32 v133, v133, v39, vcc
	;; [unrolled: 2-line block ×22, first 2 shown]
	v_cmp_eq_u32_e32 vcc, 26, v130
	ds_read_b32 v134, v131
	v_cndmask_b32_e32 v133, v133, v60, vcc
	v_cmp_eq_u32_e32 vcc, 27, v130
	v_cndmask_b32_e32 v133, v133, v61, vcc
	v_cmp_eq_u32_e32 vcc, 28, v130
	;; [unrolled: 2-line block ×4, first 2 shown]
	v_add_co_u32_e64 v130, s[0:1], 1, v130
	v_cndmask_b32_e32 v133, v133, v64, vcc
	v_add_u32_e32 v131, 4, v131
	v_addc_co_u32_e64 v132, s[0:1], 0, v132, s[0:1]
	s_waitcnt lgkmcnt(0)
	v_fmac_f32_e32 v129, v133, v134
	s_andn2_b64 exec, exec, s[10:11]
	s_cbranch_execnz .LBB94_29
; %bb.30:
	s_or_b64 exec, exec, s[10:11]
.LBB94_31:
	s_or_b64 exec, exec, s[8:9]
.LBB94_32:
	s_or_b64 exec, exec, s[6:7]
	v_mov_b32_e32 v61, 0
	ds_read_b32 v61, v61 offset:108
	s_waitcnt lgkmcnt(0)
	v_mul_f32_e32 v61, v129, v61
.LBB94_33:
	s_or_b64 exec, exec, s[4:5]
	v_cmp_lt_u32_e64 s[0:1], 26, v0
	ds_write_b32 v128, v60
	s_waitcnt lgkmcnt(0)
	; wave barrier
	s_and_saveexec_b64 s[4:5], s[0:1]
	s_cbranch_execz .LBB94_49
; %bb.34:
	s_andn2_b64 vcc, exec, s[66:67]
	s_cbranch_vccnz .LBB94_36
; %bb.35:
	v_cmp_eq_u32_e32 vcc, 1, v0
	v_cndmask_b32_e32 v129, v34, v35, vcc
	v_cmp_eq_u32_e32 vcc, 2, v0
	v_cndmask_b32_e32 v129, v129, v36, vcc
	;; [unrolled: 2-line block ×26, first 2 shown]
	v_cmp_eq_u32_e32 vcc, 27, v0
	ds_read_b32 v130, v128
	v_cndmask_b32_e32 v129, v129, v61, vcc
	v_cmp_eq_u32_e32 vcc, 28, v0
	v_cndmask_b32_e32 v129, v129, v62, vcc
	v_cmp_eq_u32_e32 vcc, 29, v0
	;; [unrolled: 2-line block ×3, first 2 shown]
	v_cndmask_b32_e32 v129, v129, v64, vcc
	s_waitcnt lgkmcnt(0)
	v_mul_f32_e32 v129, v129, v130
	s_cbranch_execz .LBB94_37
	s_branch .LBB94_38
.LBB94_36:
                                        ; implicit-def: $vgpr129
.LBB94_37:
	ds_read_b32 v129, v128
.LBB94_38:
	s_and_saveexec_b64 s[6:7], s[2:3]
	s_cbranch_execz .LBB94_48
; %bb.39:
	v_subrev_u32_e32 v132, 28, v0
	v_mov_b32_e32 v130, 27
	v_subrev_u32_e32 v131, 27, v0
	v_cmp_lt_u32_e32 vcc, 6, v132
	s_and_saveexec_b64 s[2:3], vcc
	s_cbranch_execz .LBB94_43
; %bb.40:
	v_and_b32_e32 v130, -8, v131
	v_sub_u32_e32 v132, 0, v130
	s_mov_b64 s[8:9], 34
	s_movk_i32 s12, 0xec
	s_mov_b64 s[10:11], 0
.LBB94_41:                              ; =>This Inner Loop Header: Depth=1
	s_add_i32 s13, s8, -7
	v_mov_b32_e32 v130, s12
	s_add_i32 s14, s8, -6
	s_set_gpr_idx_on s13, gpr_idx(SRC0)
	v_mov_b32_e32 v139, v34
	s_set_gpr_idx_off
	ds_read2_b32 v[133:134], v130 offset1:1
	s_add_i32 s15, s8, -5
	s_set_gpr_idx_on s14, gpr_idx(SRC0)
	v_mov_b32_e32 v140, v34
	s_set_gpr_idx_off
	s_add_i32 s16, s8, -4
	s_set_gpr_idx_on s15, gpr_idx(SRC0)
	v_mov_b32_e32 v141, v34
	s_set_gpr_idx_off
	ds_read2_b32 v[135:136], v130 offset0:2 offset1:3
	s_add_i32 s17, s8, -3
	s_set_gpr_idx_on s16, gpr_idx(SRC0)
	v_mov_b32_e32 v142, v34
	s_set_gpr_idx_off
	s_add_i32 s18, s8, -2
	s_set_gpr_idx_on s17, gpr_idx(SRC0)
	v_mov_b32_e32 v143, v34
	s_set_gpr_idx_off
	ds_read2_b32 v[137:138], v130 offset0:4 offset1:5
	s_add_i32 s19, s8, -1
	s_waitcnt lgkmcnt(2)
	v_fmac_f32_e32 v129, v139, v133
	s_set_gpr_idx_on s18, gpr_idx(SRC0)
	v_mov_b32_e32 v139, v34
	s_set_gpr_idx_off
	v_fmac_f32_e32 v129, v140, v134
	s_set_gpr_idx_on s19, gpr_idx(SRC0)
	v_mov_b32_e32 v140, v34
	s_set_gpr_idx_off
	ds_read2_b32 v[133:134], v130 offset0:6 offset1:7
	s_waitcnt lgkmcnt(2)
	v_fmac_f32_e32 v129, v141, v135
	s_set_gpr_idx_on s8, gpr_idx(SRC0)
	v_mov_b32_e32 v135, v34
	s_set_gpr_idx_off
	v_fmac_f32_e32 v129, v142, v136
	s_add_u32 s8, s8, 8
	s_waitcnt lgkmcnt(1)
	v_fmac_f32_e32 v129, v143, v137
	v_add_u32_e32 v130, s8, v132
	v_fmac_f32_e32 v129, v139, v138
	s_addc_u32 s9, s9, 0
	s_add_i32 s12, s12, 32
	s_add_i32 s13, s8, -7
	v_cmp_eq_u32_e32 vcc, 34, v130
	s_waitcnt lgkmcnt(0)
	v_fmac_f32_e32 v129, v140, v133
	v_mov_b32_e32 v130, s13
	s_or_b64 s[10:11], vcc, s[10:11]
	v_fmac_f32_e32 v129, v135, v134
	s_andn2_b64 exec, exec, s[10:11]
	s_cbranch_execnz .LBB94_41
; %bb.42:
	s_or_b64 exec, exec, s[10:11]
.LBB94_43:
	s_or_b64 exec, exec, s[2:3]
	v_and_b32_e32 v65, 7, v131
	v_cmp_ne_u32_e32 vcc, 0, v65
	s_and_saveexec_b64 s[8:9], vcc
	s_cbranch_execz .LBB94_47
; %bb.44:
	v_mov_b32_e32 v131, 0x80
	v_lshl_add_u32 v131, v130, 2, v131
	v_mov_b32_e32 v132, 0
	s_mov_b64 s[10:11], 0
.LBB94_45:                              ; =>This Inner Loop Header: Depth=1
	v_cmp_eq_u32_e32 vcc, 1, v130
	v_cndmask_b32_e32 v133, v34, v35, vcc
	v_add_u32_e32 v65, -1, v65
	v_cmp_eq_u32_e32 vcc, 2, v130
	v_cndmask_b32_e32 v133, v133, v36, vcc
	v_cmp_eq_u32_e32 vcc, 0, v65
	v_cmp_eq_u32_e64 s[2:3], 3, v130
	v_cndmask_b32_e64 v133, v133, v37, s[2:3]
	s_or_b64 s[10:11], vcc, s[10:11]
	v_cmp_eq_u32_e32 vcc, 4, v130
	v_cndmask_b32_e32 v133, v133, v38, vcc
	v_cmp_eq_u32_e32 vcc, 5, v130
	v_cndmask_b32_e32 v133, v133, v39, vcc
	;; [unrolled: 2-line block ×22, first 2 shown]
	v_cmp_eq_u32_e32 vcc, 26, v130
	ds_read_b32 v134, v131
	v_cndmask_b32_e32 v133, v133, v60, vcc
	v_cmp_eq_u32_e32 vcc, 27, v130
	v_cndmask_b32_e32 v133, v133, v61, vcc
	v_cmp_eq_u32_e32 vcc, 28, v130
	;; [unrolled: 2-line block ×4, first 2 shown]
	v_add_co_u32_e64 v130, s[2:3], 1, v130
	v_cndmask_b32_e32 v133, v133, v64, vcc
	v_add_u32_e32 v131, 4, v131
	v_addc_co_u32_e64 v132, s[2:3], 0, v132, s[2:3]
	s_waitcnt lgkmcnt(0)
	v_fmac_f32_e32 v129, v133, v134
	s_andn2_b64 exec, exec, s[10:11]
	s_cbranch_execnz .LBB94_45
; %bb.46:
	s_or_b64 exec, exec, s[10:11]
.LBB94_47:
	s_or_b64 exec, exec, s[8:9]
.LBB94_48:
	s_or_b64 exec, exec, s[6:7]
	v_mov_b32_e32 v60, 0
	ds_read_b32 v60, v60 offset:104
	s_waitcnt lgkmcnt(0)
	v_mul_f32_e32 v60, v129, v60
.LBB94_49:
	s_or_b64 exec, exec, s[4:5]
	v_cmp_lt_u32_e64 s[2:3], 25, v0
	ds_write_b32 v128, v59
	s_waitcnt lgkmcnt(0)
	; wave barrier
	s_and_saveexec_b64 s[4:5], s[2:3]
	s_cbranch_execz .LBB94_65
; %bb.50:
	s_andn2_b64 vcc, exec, s[66:67]
	s_cbranch_vccnz .LBB94_52
; %bb.51:
	v_cmp_eq_u32_e32 vcc, 1, v0
	v_cndmask_b32_e32 v129, v34, v35, vcc
	v_cmp_eq_u32_e32 vcc, 2, v0
	v_cndmask_b32_e32 v129, v129, v36, vcc
	;; [unrolled: 2-line block ×26, first 2 shown]
	v_cmp_eq_u32_e32 vcc, 27, v0
	ds_read_b32 v130, v128
	v_cndmask_b32_e32 v129, v129, v61, vcc
	v_cmp_eq_u32_e32 vcc, 28, v0
	v_cndmask_b32_e32 v129, v129, v62, vcc
	v_cmp_eq_u32_e32 vcc, 29, v0
	;; [unrolled: 2-line block ×3, first 2 shown]
	v_cndmask_b32_e32 v129, v129, v64, vcc
	s_waitcnt lgkmcnt(0)
	v_mul_f32_e32 v129, v129, v130
	s_cbranch_execz .LBB94_53
	s_branch .LBB94_54
.LBB94_52:
                                        ; implicit-def: $vgpr129
.LBB94_53:
	ds_read_b32 v129, v128
.LBB94_54:
	s_and_saveexec_b64 s[6:7], s[0:1]
	s_cbranch_execz .LBB94_64
; %bb.55:
	v_subrev_u32_e32 v132, 27, v0
	v_mov_b32_e32 v130, 26
	v_subrev_u32_e32 v131, 26, v0
	v_cmp_lt_u32_e32 vcc, 6, v132
	s_and_saveexec_b64 s[0:1], vcc
	s_cbranch_execz .LBB94_59
; %bb.56:
	v_and_b32_e32 v130, -8, v131
	v_sub_u32_e32 v132, 0, v130
	s_mov_b64 s[8:9], 33
	s_movk_i32 s12, 0xe8
	s_mov_b64 s[10:11], 0
.LBB94_57:                              ; =>This Inner Loop Header: Depth=1
	s_add_i32 s13, s8, -7
	v_mov_b32_e32 v130, s12
	s_add_i32 s14, s8, -6
	s_set_gpr_idx_on s13, gpr_idx(SRC0)
	v_mov_b32_e32 v141, v34
	s_set_gpr_idx_off
	ds_read2_b64 v[133:136], v130 offset1:1
	s_add_i32 s15, s8, -5
	s_set_gpr_idx_on s14, gpr_idx(SRC0)
	v_mov_b32_e32 v142, v34
	s_set_gpr_idx_off
	s_add_i32 s16, s8, -4
	s_set_gpr_idx_on s15, gpr_idx(SRC0)
	v_mov_b32_e32 v143, v34
	s_set_gpr_idx_off
	;; [unrolled: 4-line block ×4, first 2 shown]
	ds_read2_b64 v[137:140], v130 offset0:2 offset1:3
	s_add_i32 s19, s8, -1
	s_waitcnt lgkmcnt(1)
	v_fmac_f32_e32 v129, v141, v133
	s_set_gpr_idx_on s18, gpr_idx(SRC0)
	v_mov_b32_e32 v133, v34
	s_set_gpr_idx_off
	v_fmac_f32_e32 v129, v142, v134
	s_set_gpr_idx_on s19, gpr_idx(SRC0)
	v_mov_b32_e32 v134, v34
	s_set_gpr_idx_off
	;; [unrolled: 4-line block ×3, first 2 shown]
	v_fmac_f32_e32 v129, v144, v136
	s_add_u32 s8, s8, 8
	s_waitcnt lgkmcnt(0)
	v_fmac_f32_e32 v129, v145, v137
	v_add_u32_e32 v130, s8, v132
	v_fmac_f32_e32 v129, v133, v138
	s_addc_u32 s9, s9, 0
	s_add_i32 s12, s12, 32
	s_add_i32 s13, s8, -7
	v_cmp_eq_u32_e32 vcc, 33, v130
	v_fmac_f32_e32 v129, v134, v139
	v_mov_b32_e32 v130, s13
	s_or_b64 s[10:11], vcc, s[10:11]
	v_fmac_f32_e32 v129, v135, v140
	s_andn2_b64 exec, exec, s[10:11]
	s_cbranch_execnz .LBB94_57
; %bb.58:
	s_or_b64 exec, exec, s[10:11]
.LBB94_59:
	s_or_b64 exec, exec, s[0:1]
	v_and_b32_e32 v65, 7, v131
	v_cmp_ne_u32_e32 vcc, 0, v65
	s_and_saveexec_b64 s[8:9], vcc
	s_cbranch_execz .LBB94_63
; %bb.60:
	v_mov_b32_e32 v131, 0x80
	v_lshl_add_u32 v131, v130, 2, v131
	v_mov_b32_e32 v132, 0
	s_mov_b64 s[10:11], 0
.LBB94_61:                              ; =>This Inner Loop Header: Depth=1
	v_cmp_eq_u32_e32 vcc, 1, v130
	v_cndmask_b32_e32 v133, v34, v35, vcc
	v_add_u32_e32 v65, -1, v65
	v_cmp_eq_u32_e32 vcc, 2, v130
	v_cndmask_b32_e32 v133, v133, v36, vcc
	v_cmp_eq_u32_e32 vcc, 0, v65
	v_cmp_eq_u32_e64 s[0:1], 3, v130
	v_cndmask_b32_e64 v133, v133, v37, s[0:1]
	s_or_b64 s[10:11], vcc, s[10:11]
	v_cmp_eq_u32_e32 vcc, 4, v130
	v_cndmask_b32_e32 v133, v133, v38, vcc
	v_cmp_eq_u32_e32 vcc, 5, v130
	v_cndmask_b32_e32 v133, v133, v39, vcc
	;; [unrolled: 2-line block ×22, first 2 shown]
	v_cmp_eq_u32_e32 vcc, 26, v130
	ds_read_b32 v134, v131
	v_cndmask_b32_e32 v133, v133, v60, vcc
	v_cmp_eq_u32_e32 vcc, 27, v130
	v_cndmask_b32_e32 v133, v133, v61, vcc
	v_cmp_eq_u32_e32 vcc, 28, v130
	;; [unrolled: 2-line block ×4, first 2 shown]
	v_add_co_u32_e64 v130, s[0:1], 1, v130
	v_cndmask_b32_e32 v133, v133, v64, vcc
	v_add_u32_e32 v131, 4, v131
	v_addc_co_u32_e64 v132, s[0:1], 0, v132, s[0:1]
	s_waitcnt lgkmcnt(0)
	v_fmac_f32_e32 v129, v133, v134
	s_andn2_b64 exec, exec, s[10:11]
	s_cbranch_execnz .LBB94_61
; %bb.62:
	s_or_b64 exec, exec, s[10:11]
.LBB94_63:
	s_or_b64 exec, exec, s[8:9]
.LBB94_64:
	s_or_b64 exec, exec, s[6:7]
	v_mov_b32_e32 v59, 0
	ds_read_b32 v59, v59 offset:100
	s_waitcnt lgkmcnt(0)
	v_mul_f32_e32 v59, v129, v59
.LBB94_65:
	s_or_b64 exec, exec, s[4:5]
	v_cmp_lt_u32_e64 s[0:1], 24, v0
	ds_write_b32 v128, v58
	s_waitcnt lgkmcnt(0)
	; wave barrier
	s_and_saveexec_b64 s[4:5], s[0:1]
	s_cbranch_execz .LBB94_81
; %bb.66:
	s_andn2_b64 vcc, exec, s[66:67]
	s_cbranch_vccnz .LBB94_68
; %bb.67:
	v_cmp_eq_u32_e32 vcc, 1, v0
	v_cndmask_b32_e32 v129, v34, v35, vcc
	v_cmp_eq_u32_e32 vcc, 2, v0
	v_cndmask_b32_e32 v129, v129, v36, vcc
	;; [unrolled: 2-line block ×26, first 2 shown]
	v_cmp_eq_u32_e32 vcc, 27, v0
	ds_read_b32 v130, v128
	v_cndmask_b32_e32 v129, v129, v61, vcc
	v_cmp_eq_u32_e32 vcc, 28, v0
	v_cndmask_b32_e32 v129, v129, v62, vcc
	v_cmp_eq_u32_e32 vcc, 29, v0
	;; [unrolled: 2-line block ×3, first 2 shown]
	v_cndmask_b32_e32 v129, v129, v64, vcc
	s_waitcnt lgkmcnt(0)
	v_mul_f32_e32 v129, v129, v130
	s_cbranch_execz .LBB94_69
	s_branch .LBB94_70
.LBB94_68:
                                        ; implicit-def: $vgpr129
.LBB94_69:
	ds_read_b32 v129, v128
.LBB94_70:
	s_and_saveexec_b64 s[6:7], s[2:3]
	s_cbranch_execz .LBB94_80
; %bb.71:
	v_subrev_u32_e32 v132, 26, v0
	v_mov_b32_e32 v130, 25
	v_subrev_u32_e32 v131, 25, v0
	v_cmp_lt_u32_e32 vcc, 6, v132
	s_and_saveexec_b64 s[2:3], vcc
	s_cbranch_execz .LBB94_75
; %bb.72:
	v_and_b32_e32 v130, -8, v131
	v_sub_u32_e32 v132, 0, v130
	s_mov_b64 s[8:9], 32
	s_movk_i32 s12, 0xe4
	s_mov_b64 s[10:11], 0
.LBB94_73:                              ; =>This Inner Loop Header: Depth=1
	s_add_i32 s13, s8, -7
	v_mov_b32_e32 v130, s12
	s_add_i32 s14, s8, -6
	s_set_gpr_idx_on s13, gpr_idx(SRC0)
	v_mov_b32_e32 v139, v34
	s_set_gpr_idx_off
	ds_read2_b32 v[133:134], v130 offset1:1
	s_add_i32 s15, s8, -5
	s_set_gpr_idx_on s14, gpr_idx(SRC0)
	v_mov_b32_e32 v140, v34
	s_set_gpr_idx_off
	s_add_i32 s16, s8, -4
	s_set_gpr_idx_on s15, gpr_idx(SRC0)
	v_mov_b32_e32 v141, v34
	s_set_gpr_idx_off
	ds_read2_b32 v[135:136], v130 offset0:2 offset1:3
	s_add_i32 s17, s8, -3
	s_set_gpr_idx_on s16, gpr_idx(SRC0)
	v_mov_b32_e32 v142, v34
	s_set_gpr_idx_off
	s_add_i32 s18, s8, -2
	s_set_gpr_idx_on s17, gpr_idx(SRC0)
	v_mov_b32_e32 v143, v34
	s_set_gpr_idx_off
	ds_read2_b32 v[137:138], v130 offset0:4 offset1:5
	s_add_i32 s19, s8, -1
	s_waitcnt lgkmcnt(2)
	v_fmac_f32_e32 v129, v139, v133
	s_set_gpr_idx_on s18, gpr_idx(SRC0)
	v_mov_b32_e32 v139, v34
	s_set_gpr_idx_off
	v_fmac_f32_e32 v129, v140, v134
	s_set_gpr_idx_on s19, gpr_idx(SRC0)
	v_mov_b32_e32 v140, v34
	s_set_gpr_idx_off
	ds_read2_b32 v[133:134], v130 offset0:6 offset1:7
	s_waitcnt lgkmcnt(2)
	v_fmac_f32_e32 v129, v141, v135
	s_set_gpr_idx_on s8, gpr_idx(SRC0)
	v_mov_b32_e32 v135, v34
	s_set_gpr_idx_off
	v_fmac_f32_e32 v129, v142, v136
	s_add_u32 s8, s8, 8
	s_waitcnt lgkmcnt(1)
	v_fmac_f32_e32 v129, v143, v137
	v_add_u32_e32 v130, s8, v132
	v_fmac_f32_e32 v129, v139, v138
	s_addc_u32 s9, s9, 0
	s_add_i32 s12, s12, 32
	s_add_i32 s13, s8, -7
	v_cmp_eq_u32_e32 vcc, 32, v130
	s_waitcnt lgkmcnt(0)
	v_fmac_f32_e32 v129, v140, v133
	v_mov_b32_e32 v130, s13
	s_or_b64 s[10:11], vcc, s[10:11]
	v_fmac_f32_e32 v129, v135, v134
	s_andn2_b64 exec, exec, s[10:11]
	s_cbranch_execnz .LBB94_73
; %bb.74:
	s_or_b64 exec, exec, s[10:11]
.LBB94_75:
	s_or_b64 exec, exec, s[2:3]
	v_and_b32_e32 v65, 7, v131
	v_cmp_ne_u32_e32 vcc, 0, v65
	s_and_saveexec_b64 s[8:9], vcc
	s_cbranch_execz .LBB94_79
; %bb.76:
	v_mov_b32_e32 v131, 0x80
	v_lshl_add_u32 v131, v130, 2, v131
	v_mov_b32_e32 v132, 0
	s_mov_b64 s[10:11], 0
.LBB94_77:                              ; =>This Inner Loop Header: Depth=1
	v_cmp_eq_u32_e32 vcc, 1, v130
	v_cndmask_b32_e32 v133, v34, v35, vcc
	v_add_u32_e32 v65, -1, v65
	v_cmp_eq_u32_e32 vcc, 2, v130
	v_cndmask_b32_e32 v133, v133, v36, vcc
	v_cmp_eq_u32_e32 vcc, 0, v65
	v_cmp_eq_u32_e64 s[2:3], 3, v130
	v_cndmask_b32_e64 v133, v133, v37, s[2:3]
	s_or_b64 s[10:11], vcc, s[10:11]
	v_cmp_eq_u32_e32 vcc, 4, v130
	v_cndmask_b32_e32 v133, v133, v38, vcc
	v_cmp_eq_u32_e32 vcc, 5, v130
	v_cndmask_b32_e32 v133, v133, v39, vcc
	v_cmp_eq_u32_e32 vcc, 6, v130
	v_cndmask_b32_e32 v133, v133, v40, vcc
	v_cmp_eq_u32_e32 vcc, 7, v130
	v_cndmask_b32_e32 v133, v133, v41, vcc
	v_cmp_eq_u32_e32 vcc, 8, v130
	v_cndmask_b32_e32 v133, v133, v42, vcc
	v_cmp_eq_u32_e32 vcc, 9, v130
	v_cndmask_b32_e32 v133, v133, v43, vcc
	v_cmp_eq_u32_e32 vcc, 10, v130
	v_cndmask_b32_e32 v133, v133, v44, vcc
	v_cmp_eq_u32_e32 vcc, 11, v130
	v_cndmask_b32_e32 v133, v133, v45, vcc
	v_cmp_eq_u32_e32 vcc, 12, v130
	v_cndmask_b32_e32 v133, v133, v46, vcc
	v_cmp_eq_u32_e32 vcc, 13, v130
	v_cndmask_b32_e32 v133, v133, v47, vcc
	v_cmp_eq_u32_e32 vcc, 14, v130
	v_cndmask_b32_e32 v133, v133, v48, vcc
	v_cmp_eq_u32_e32 vcc, 15, v130
	v_cndmask_b32_e32 v133, v133, v49, vcc
	v_cmp_eq_u32_e32 vcc, 16, v130
	v_cndmask_b32_e32 v133, v133, v50, vcc
	v_cmp_eq_u32_e32 vcc, 17, v130
	v_cndmask_b32_e32 v133, v133, v51, vcc
	v_cmp_eq_u32_e32 vcc, 18, v130
	v_cndmask_b32_e32 v133, v133, v52, vcc
	v_cmp_eq_u32_e32 vcc, 19, v130
	v_cndmask_b32_e32 v133, v133, v53, vcc
	v_cmp_eq_u32_e32 vcc, 20, v130
	v_cndmask_b32_e32 v133, v133, v54, vcc
	v_cmp_eq_u32_e32 vcc, 21, v130
	v_cndmask_b32_e32 v133, v133, v55, vcc
	v_cmp_eq_u32_e32 vcc, 22, v130
	v_cndmask_b32_e32 v133, v133, v56, vcc
	v_cmp_eq_u32_e32 vcc, 23, v130
	v_cndmask_b32_e32 v133, v133, v57, vcc
	v_cmp_eq_u32_e32 vcc, 24, v130
	v_cndmask_b32_e32 v133, v133, v58, vcc
	v_cmp_eq_u32_e32 vcc, 25, v130
	v_cndmask_b32_e32 v133, v133, v59, vcc
	v_cmp_eq_u32_e32 vcc, 26, v130
	ds_read_b32 v134, v131
	v_cndmask_b32_e32 v133, v133, v60, vcc
	v_cmp_eq_u32_e32 vcc, 27, v130
	v_cndmask_b32_e32 v133, v133, v61, vcc
	v_cmp_eq_u32_e32 vcc, 28, v130
	v_cndmask_b32_e32 v133, v133, v62, vcc
	v_cmp_eq_u32_e32 vcc, 29, v130
	v_cndmask_b32_e32 v133, v133, v63, vcc
	v_cmp_eq_u32_e32 vcc, 30, v130
	v_add_co_u32_e64 v130, s[2:3], 1, v130
	v_cndmask_b32_e32 v133, v133, v64, vcc
	v_add_u32_e32 v131, 4, v131
	v_addc_co_u32_e64 v132, s[2:3], 0, v132, s[2:3]
	s_waitcnt lgkmcnt(0)
	v_fmac_f32_e32 v129, v133, v134
	s_andn2_b64 exec, exec, s[10:11]
	s_cbranch_execnz .LBB94_77
; %bb.78:
	s_or_b64 exec, exec, s[10:11]
.LBB94_79:
	s_or_b64 exec, exec, s[8:9]
.LBB94_80:
	s_or_b64 exec, exec, s[6:7]
	v_mov_b32_e32 v58, 0
	ds_read_b32 v58, v58 offset:96
	s_waitcnt lgkmcnt(0)
	v_mul_f32_e32 v58, v129, v58
.LBB94_81:
	s_or_b64 exec, exec, s[4:5]
	v_cmp_lt_u32_e64 s[2:3], 23, v0
	ds_write_b32 v128, v57
	s_waitcnt lgkmcnt(0)
	; wave barrier
	s_and_saveexec_b64 s[4:5], s[2:3]
	s_cbranch_execz .LBB94_97
; %bb.82:
	s_andn2_b64 vcc, exec, s[66:67]
	s_cbranch_vccnz .LBB94_84
; %bb.83:
	v_cmp_eq_u32_e32 vcc, 1, v0
	v_cndmask_b32_e32 v129, v34, v35, vcc
	v_cmp_eq_u32_e32 vcc, 2, v0
	v_cndmask_b32_e32 v129, v129, v36, vcc
	;; [unrolled: 2-line block ×26, first 2 shown]
	v_cmp_eq_u32_e32 vcc, 27, v0
	ds_read_b32 v130, v128
	v_cndmask_b32_e32 v129, v129, v61, vcc
	v_cmp_eq_u32_e32 vcc, 28, v0
	v_cndmask_b32_e32 v129, v129, v62, vcc
	v_cmp_eq_u32_e32 vcc, 29, v0
	v_cndmask_b32_e32 v129, v129, v63, vcc
	v_cmp_eq_u32_e32 vcc, 30, v0
	v_cndmask_b32_e32 v129, v129, v64, vcc
	s_waitcnt lgkmcnt(0)
	v_mul_f32_e32 v129, v129, v130
	s_cbranch_execz .LBB94_85
	s_branch .LBB94_86
.LBB94_84:
                                        ; implicit-def: $vgpr129
.LBB94_85:
	ds_read_b32 v129, v128
.LBB94_86:
	s_and_saveexec_b64 s[6:7], s[0:1]
	s_cbranch_execz .LBB94_96
; %bb.87:
	v_subrev_u32_e32 v130, 25, v0
	v_cmp_lt_u32_e32 vcc, 6, v130
	v_mov_b32_e32 v130, 24
	s_and_saveexec_b64 s[0:1], vcc
	s_cbranch_execz .LBB94_91
; %bb.88:
	v_and_b32_e32 v130, 24, v0
	v_sub_u32_e32 v131, 0, v130
	s_mov_b64 s[8:9], 31
	s_movk_i32 s12, 0xe0
	s_mov_b64 s[10:11], 0
.LBB94_89:                              ; =>This Inner Loop Header: Depth=1
	s_add_i32 s13, s8, -7
	v_mov_b32_e32 v130, s12
	s_add_i32 s14, s8, -6
	s_set_gpr_idx_on s13, gpr_idx(SRC0)
	v_mov_b32_e32 v140, v34
	s_set_gpr_idx_off
	s_add_i32 s15, s8, -5
	ds_read_b128 v[132:135], v130
	ds_read_b128 v[136:139], v130 offset:16
	s_set_gpr_idx_on s14, gpr_idx(SRC0)
	v_mov_b32_e32 v130, v34
	s_set_gpr_idx_off
	s_add_i32 s16, s8, -4
	s_set_gpr_idx_on s15, gpr_idx(SRC0)
	v_mov_b32_e32 v141, v34
	s_set_gpr_idx_off
	s_add_i32 s17, s8, -3
	;; [unrolled: 4-line block ×4, first 2 shown]
	s_waitcnt lgkmcnt(1)
	v_fmac_f32_e32 v129, v140, v132
	s_set_gpr_idx_on s18, gpr_idx(SRC0)
	v_mov_b32_e32 v132, v34
	s_set_gpr_idx_off
	v_fmac_f32_e32 v129, v130, v133
	s_set_gpr_idx_on s19, gpr_idx(SRC0)
	v_mov_b32_e32 v133, v34
	s_set_gpr_idx_off
	;; [unrolled: 4-line block ×3, first 2 shown]
	v_fmac_f32_e32 v129, v142, v135
	s_add_u32 s8, s8, 8
	s_waitcnt lgkmcnt(0)
	v_fmac_f32_e32 v129, v143, v136
	v_add_u32_e32 v130, s8, v131
	v_fmac_f32_e32 v129, v132, v137
	s_addc_u32 s9, s9, 0
	s_add_i32 s12, s12, 32
	s_add_i32 s13, s8, -7
	v_cmp_eq_u32_e32 vcc, 7, v130
	v_fmac_f32_e32 v129, v133, v138
	v_mov_b32_e32 v130, s13
	s_or_b64 s[10:11], vcc, s[10:11]
	v_fmac_f32_e32 v129, v134, v139
	s_andn2_b64 exec, exec, s[10:11]
	s_cbranch_execnz .LBB94_89
; %bb.90:
	s_or_b64 exec, exec, s[10:11]
.LBB94_91:
	s_or_b64 exec, exec, s[0:1]
	v_and_b32_e32 v65, 7, v0
	v_cmp_ne_u32_e32 vcc, 0, v65
	s_and_saveexec_b64 s[8:9], vcc
	s_cbranch_execz .LBB94_95
; %bb.92:
	v_mov_b32_e32 v131, 0x80
	v_lshl_add_u32 v131, v130, 2, v131
	v_mov_b32_e32 v132, 0
	s_mov_b64 s[10:11], 0
.LBB94_93:                              ; =>This Inner Loop Header: Depth=1
	v_cmp_eq_u32_e32 vcc, 1, v130
	v_cndmask_b32_e32 v133, v34, v35, vcc
	v_add_u32_e32 v65, -1, v65
	v_cmp_eq_u32_e32 vcc, 2, v130
	v_cndmask_b32_e32 v133, v133, v36, vcc
	v_cmp_eq_u32_e32 vcc, 0, v65
	v_cmp_eq_u32_e64 s[0:1], 3, v130
	v_cndmask_b32_e64 v133, v133, v37, s[0:1]
	s_or_b64 s[10:11], vcc, s[10:11]
	v_cmp_eq_u32_e32 vcc, 4, v130
	v_cndmask_b32_e32 v133, v133, v38, vcc
	v_cmp_eq_u32_e32 vcc, 5, v130
	v_cndmask_b32_e32 v133, v133, v39, vcc
	v_cmp_eq_u32_e32 vcc, 6, v130
	v_cndmask_b32_e32 v133, v133, v40, vcc
	v_cmp_eq_u32_e32 vcc, 7, v130
	v_cndmask_b32_e32 v133, v133, v41, vcc
	v_cmp_eq_u32_e32 vcc, 8, v130
	v_cndmask_b32_e32 v133, v133, v42, vcc
	v_cmp_eq_u32_e32 vcc, 9, v130
	v_cndmask_b32_e32 v133, v133, v43, vcc
	v_cmp_eq_u32_e32 vcc, 10, v130
	v_cndmask_b32_e32 v133, v133, v44, vcc
	v_cmp_eq_u32_e32 vcc, 11, v130
	v_cndmask_b32_e32 v133, v133, v45, vcc
	v_cmp_eq_u32_e32 vcc, 12, v130
	v_cndmask_b32_e32 v133, v133, v46, vcc
	v_cmp_eq_u32_e32 vcc, 13, v130
	v_cndmask_b32_e32 v133, v133, v47, vcc
	v_cmp_eq_u32_e32 vcc, 14, v130
	v_cndmask_b32_e32 v133, v133, v48, vcc
	v_cmp_eq_u32_e32 vcc, 15, v130
	v_cndmask_b32_e32 v133, v133, v49, vcc
	v_cmp_eq_u32_e32 vcc, 16, v130
	v_cndmask_b32_e32 v133, v133, v50, vcc
	v_cmp_eq_u32_e32 vcc, 17, v130
	v_cndmask_b32_e32 v133, v133, v51, vcc
	v_cmp_eq_u32_e32 vcc, 18, v130
	v_cndmask_b32_e32 v133, v133, v52, vcc
	v_cmp_eq_u32_e32 vcc, 19, v130
	v_cndmask_b32_e32 v133, v133, v53, vcc
	v_cmp_eq_u32_e32 vcc, 20, v130
	v_cndmask_b32_e32 v133, v133, v54, vcc
	v_cmp_eq_u32_e32 vcc, 21, v130
	v_cndmask_b32_e32 v133, v133, v55, vcc
	v_cmp_eq_u32_e32 vcc, 22, v130
	v_cndmask_b32_e32 v133, v133, v56, vcc
	v_cmp_eq_u32_e32 vcc, 23, v130
	v_cndmask_b32_e32 v133, v133, v57, vcc
	v_cmp_eq_u32_e32 vcc, 24, v130
	v_cndmask_b32_e32 v133, v133, v58, vcc
	v_cmp_eq_u32_e32 vcc, 25, v130
	v_cndmask_b32_e32 v133, v133, v59, vcc
	v_cmp_eq_u32_e32 vcc, 26, v130
	ds_read_b32 v134, v131
	v_cndmask_b32_e32 v133, v133, v60, vcc
	v_cmp_eq_u32_e32 vcc, 27, v130
	v_cndmask_b32_e32 v133, v133, v61, vcc
	v_cmp_eq_u32_e32 vcc, 28, v130
	;; [unrolled: 2-line block ×4, first 2 shown]
	v_add_co_u32_e64 v130, s[0:1], 1, v130
	v_cndmask_b32_e32 v133, v133, v64, vcc
	v_add_u32_e32 v131, 4, v131
	v_addc_co_u32_e64 v132, s[0:1], 0, v132, s[0:1]
	s_waitcnt lgkmcnt(0)
	v_fmac_f32_e32 v129, v133, v134
	s_andn2_b64 exec, exec, s[10:11]
	s_cbranch_execnz .LBB94_93
; %bb.94:
	s_or_b64 exec, exec, s[10:11]
.LBB94_95:
	s_or_b64 exec, exec, s[8:9]
.LBB94_96:
	s_or_b64 exec, exec, s[6:7]
	v_mov_b32_e32 v57, 0
	ds_read_b32 v57, v57 offset:92
	s_waitcnt lgkmcnt(0)
	v_mul_f32_e32 v57, v129, v57
.LBB94_97:
	s_or_b64 exec, exec, s[4:5]
	v_cmp_lt_u32_e64 s[0:1], 22, v0
	ds_write_b32 v128, v56
	s_waitcnt lgkmcnt(0)
	; wave barrier
	s_and_saveexec_b64 s[4:5], s[0:1]
	s_cbranch_execz .LBB94_113
; %bb.98:
	s_andn2_b64 vcc, exec, s[66:67]
	s_cbranch_vccnz .LBB94_100
; %bb.99:
	v_cmp_eq_u32_e32 vcc, 1, v0
	v_cndmask_b32_e32 v129, v34, v35, vcc
	v_cmp_eq_u32_e32 vcc, 2, v0
	v_cndmask_b32_e32 v129, v129, v36, vcc
	;; [unrolled: 2-line block ×26, first 2 shown]
	v_cmp_eq_u32_e32 vcc, 27, v0
	ds_read_b32 v130, v128
	v_cndmask_b32_e32 v129, v129, v61, vcc
	v_cmp_eq_u32_e32 vcc, 28, v0
	v_cndmask_b32_e32 v129, v129, v62, vcc
	v_cmp_eq_u32_e32 vcc, 29, v0
	;; [unrolled: 2-line block ×3, first 2 shown]
	v_cndmask_b32_e32 v129, v129, v64, vcc
	s_waitcnt lgkmcnt(0)
	v_mul_f32_e32 v129, v129, v130
	s_cbranch_execz .LBB94_101
	s_branch .LBB94_102
.LBB94_100:
                                        ; implicit-def: $vgpr129
.LBB94_101:
	ds_read_b32 v129, v128
.LBB94_102:
	s_and_saveexec_b64 s[6:7], s[2:3]
	s_cbranch_execz .LBB94_112
; %bb.103:
	v_subrev_u32_e32 v132, 24, v0
	v_mov_b32_e32 v130, 23
	v_subrev_u32_e32 v131, 23, v0
	v_cmp_lt_u32_e32 vcc, 6, v132
	s_and_saveexec_b64 s[2:3], vcc
	s_cbranch_execz .LBB94_107
; %bb.104:
	v_and_b32_e32 v130, -8, v131
	v_sub_u32_e32 v132, 0, v130
	s_mov_b64 s[8:9], 30
	s_movk_i32 s12, 0xdc
	s_mov_b64 s[10:11], 0
.LBB94_105:                             ; =>This Inner Loop Header: Depth=1
	s_add_i32 s13, s8, -7
	v_mov_b32_e32 v130, s12
	s_add_i32 s14, s8, -6
	s_set_gpr_idx_on s13, gpr_idx(SRC0)
	v_mov_b32_e32 v139, v34
	s_set_gpr_idx_off
	ds_read2_b32 v[133:134], v130 offset1:1
	s_add_i32 s15, s8, -5
	s_set_gpr_idx_on s14, gpr_idx(SRC0)
	v_mov_b32_e32 v140, v34
	s_set_gpr_idx_off
	s_add_i32 s16, s8, -4
	s_set_gpr_idx_on s15, gpr_idx(SRC0)
	v_mov_b32_e32 v141, v34
	s_set_gpr_idx_off
	ds_read2_b32 v[135:136], v130 offset0:2 offset1:3
	s_add_i32 s17, s8, -3
	s_set_gpr_idx_on s16, gpr_idx(SRC0)
	v_mov_b32_e32 v142, v34
	s_set_gpr_idx_off
	s_add_i32 s18, s8, -2
	s_set_gpr_idx_on s17, gpr_idx(SRC0)
	v_mov_b32_e32 v143, v34
	s_set_gpr_idx_off
	ds_read2_b32 v[137:138], v130 offset0:4 offset1:5
	s_add_i32 s19, s8, -1
	s_waitcnt lgkmcnt(2)
	v_fmac_f32_e32 v129, v139, v133
	s_set_gpr_idx_on s18, gpr_idx(SRC0)
	v_mov_b32_e32 v139, v34
	s_set_gpr_idx_off
	v_fmac_f32_e32 v129, v140, v134
	s_set_gpr_idx_on s19, gpr_idx(SRC0)
	v_mov_b32_e32 v140, v34
	s_set_gpr_idx_off
	ds_read2_b32 v[133:134], v130 offset0:6 offset1:7
	s_waitcnt lgkmcnt(2)
	v_fmac_f32_e32 v129, v141, v135
	s_set_gpr_idx_on s8, gpr_idx(SRC0)
	v_mov_b32_e32 v135, v34
	s_set_gpr_idx_off
	v_fmac_f32_e32 v129, v142, v136
	s_add_u32 s8, s8, 8
	s_waitcnt lgkmcnt(1)
	v_fmac_f32_e32 v129, v143, v137
	v_add_u32_e32 v130, s8, v132
	v_fmac_f32_e32 v129, v139, v138
	s_addc_u32 s9, s9, 0
	s_add_i32 s12, s12, 32
	s_add_i32 s13, s8, -7
	v_cmp_eq_u32_e32 vcc, 30, v130
	s_waitcnt lgkmcnt(0)
	v_fmac_f32_e32 v129, v140, v133
	v_mov_b32_e32 v130, s13
	s_or_b64 s[10:11], vcc, s[10:11]
	v_fmac_f32_e32 v129, v135, v134
	s_andn2_b64 exec, exec, s[10:11]
	s_cbranch_execnz .LBB94_105
; %bb.106:
	s_or_b64 exec, exec, s[10:11]
.LBB94_107:
	s_or_b64 exec, exec, s[2:3]
	v_and_b32_e32 v65, 7, v131
	v_cmp_ne_u32_e32 vcc, 0, v65
	s_and_saveexec_b64 s[8:9], vcc
	s_cbranch_execz .LBB94_111
; %bb.108:
	v_mov_b32_e32 v131, 0x80
	v_lshl_add_u32 v131, v130, 2, v131
	v_mov_b32_e32 v132, 0
	s_mov_b64 s[10:11], 0
.LBB94_109:                             ; =>This Inner Loop Header: Depth=1
	v_cmp_eq_u32_e32 vcc, 1, v130
	v_cndmask_b32_e32 v133, v34, v35, vcc
	v_add_u32_e32 v65, -1, v65
	v_cmp_eq_u32_e32 vcc, 2, v130
	v_cndmask_b32_e32 v133, v133, v36, vcc
	v_cmp_eq_u32_e32 vcc, 0, v65
	v_cmp_eq_u32_e64 s[2:3], 3, v130
	v_cndmask_b32_e64 v133, v133, v37, s[2:3]
	s_or_b64 s[10:11], vcc, s[10:11]
	v_cmp_eq_u32_e32 vcc, 4, v130
	v_cndmask_b32_e32 v133, v133, v38, vcc
	v_cmp_eq_u32_e32 vcc, 5, v130
	v_cndmask_b32_e32 v133, v133, v39, vcc
	;; [unrolled: 2-line block ×22, first 2 shown]
	v_cmp_eq_u32_e32 vcc, 26, v130
	ds_read_b32 v134, v131
	v_cndmask_b32_e32 v133, v133, v60, vcc
	v_cmp_eq_u32_e32 vcc, 27, v130
	v_cndmask_b32_e32 v133, v133, v61, vcc
	v_cmp_eq_u32_e32 vcc, 28, v130
	;; [unrolled: 2-line block ×4, first 2 shown]
	v_add_co_u32_e64 v130, s[2:3], 1, v130
	v_cndmask_b32_e32 v133, v133, v64, vcc
	v_add_u32_e32 v131, 4, v131
	v_addc_co_u32_e64 v132, s[2:3], 0, v132, s[2:3]
	s_waitcnt lgkmcnt(0)
	v_fmac_f32_e32 v129, v133, v134
	s_andn2_b64 exec, exec, s[10:11]
	s_cbranch_execnz .LBB94_109
; %bb.110:
	s_or_b64 exec, exec, s[10:11]
.LBB94_111:
	s_or_b64 exec, exec, s[8:9]
.LBB94_112:
	s_or_b64 exec, exec, s[6:7]
	v_mov_b32_e32 v56, 0
	ds_read_b32 v56, v56 offset:88
	s_waitcnt lgkmcnt(0)
	v_mul_f32_e32 v56, v129, v56
.LBB94_113:
	s_or_b64 exec, exec, s[4:5]
	v_cmp_lt_u32_e64 s[2:3], 21, v0
	ds_write_b32 v128, v55
	s_waitcnt lgkmcnt(0)
	; wave barrier
	s_and_saveexec_b64 s[4:5], s[2:3]
	s_cbranch_execz .LBB94_129
; %bb.114:
	s_andn2_b64 vcc, exec, s[66:67]
	s_cbranch_vccnz .LBB94_116
; %bb.115:
	v_cmp_eq_u32_e32 vcc, 1, v0
	v_cndmask_b32_e32 v129, v34, v35, vcc
	v_cmp_eq_u32_e32 vcc, 2, v0
	v_cndmask_b32_e32 v129, v129, v36, vcc
	;; [unrolled: 2-line block ×26, first 2 shown]
	v_cmp_eq_u32_e32 vcc, 27, v0
	ds_read_b32 v130, v128
	v_cndmask_b32_e32 v129, v129, v61, vcc
	v_cmp_eq_u32_e32 vcc, 28, v0
	v_cndmask_b32_e32 v129, v129, v62, vcc
	v_cmp_eq_u32_e32 vcc, 29, v0
	;; [unrolled: 2-line block ×3, first 2 shown]
	v_cndmask_b32_e32 v129, v129, v64, vcc
	s_waitcnt lgkmcnt(0)
	v_mul_f32_e32 v129, v129, v130
	s_cbranch_execz .LBB94_117
	s_branch .LBB94_118
.LBB94_116:
                                        ; implicit-def: $vgpr129
.LBB94_117:
	ds_read_b32 v129, v128
.LBB94_118:
	s_and_saveexec_b64 s[6:7], s[0:1]
	s_cbranch_execz .LBB94_128
; %bb.119:
	v_subrev_u32_e32 v132, 23, v0
	v_mov_b32_e32 v130, 22
	v_subrev_u32_e32 v131, 22, v0
	v_cmp_lt_u32_e32 vcc, 6, v132
	s_and_saveexec_b64 s[0:1], vcc
	s_cbranch_execz .LBB94_123
; %bb.120:
	v_and_b32_e32 v130, -8, v131
	v_sub_u32_e32 v132, 0, v130
	s_mov_b64 s[8:9], 29
	s_movk_i32 s12, 0xd8
	s_mov_b64 s[10:11], 0
.LBB94_121:                             ; =>This Inner Loop Header: Depth=1
	s_add_i32 s13, s8, -7
	v_mov_b32_e32 v130, s12
	s_add_i32 s14, s8, -6
	s_set_gpr_idx_on s13, gpr_idx(SRC0)
	v_mov_b32_e32 v141, v34
	s_set_gpr_idx_off
	ds_read2_b64 v[133:136], v130 offset1:1
	s_add_i32 s15, s8, -5
	s_set_gpr_idx_on s14, gpr_idx(SRC0)
	v_mov_b32_e32 v142, v34
	s_set_gpr_idx_off
	s_add_i32 s16, s8, -4
	s_set_gpr_idx_on s15, gpr_idx(SRC0)
	v_mov_b32_e32 v143, v34
	s_set_gpr_idx_off
	;; [unrolled: 4-line block ×4, first 2 shown]
	ds_read2_b64 v[137:140], v130 offset0:2 offset1:3
	s_add_i32 s19, s8, -1
	s_waitcnt lgkmcnt(1)
	v_fmac_f32_e32 v129, v141, v133
	s_set_gpr_idx_on s18, gpr_idx(SRC0)
	v_mov_b32_e32 v133, v34
	s_set_gpr_idx_off
	v_fmac_f32_e32 v129, v142, v134
	s_set_gpr_idx_on s19, gpr_idx(SRC0)
	v_mov_b32_e32 v134, v34
	s_set_gpr_idx_off
	;; [unrolled: 4-line block ×3, first 2 shown]
	v_fmac_f32_e32 v129, v144, v136
	s_add_u32 s8, s8, 8
	s_waitcnt lgkmcnt(0)
	v_fmac_f32_e32 v129, v145, v137
	v_add_u32_e32 v130, s8, v132
	v_fmac_f32_e32 v129, v133, v138
	s_addc_u32 s9, s9, 0
	s_add_i32 s12, s12, 32
	s_add_i32 s13, s8, -7
	v_cmp_eq_u32_e32 vcc, 29, v130
	v_fmac_f32_e32 v129, v134, v139
	v_mov_b32_e32 v130, s13
	s_or_b64 s[10:11], vcc, s[10:11]
	v_fmac_f32_e32 v129, v135, v140
	s_andn2_b64 exec, exec, s[10:11]
	s_cbranch_execnz .LBB94_121
; %bb.122:
	s_or_b64 exec, exec, s[10:11]
.LBB94_123:
	s_or_b64 exec, exec, s[0:1]
	v_and_b32_e32 v65, 7, v131
	v_cmp_ne_u32_e32 vcc, 0, v65
	s_and_saveexec_b64 s[8:9], vcc
	s_cbranch_execz .LBB94_127
; %bb.124:
	v_mov_b32_e32 v131, 0x80
	v_lshl_add_u32 v131, v130, 2, v131
	v_mov_b32_e32 v132, 0
	s_mov_b64 s[10:11], 0
.LBB94_125:                             ; =>This Inner Loop Header: Depth=1
	v_cmp_eq_u32_e32 vcc, 1, v130
	v_cndmask_b32_e32 v133, v34, v35, vcc
	v_add_u32_e32 v65, -1, v65
	v_cmp_eq_u32_e32 vcc, 2, v130
	v_cndmask_b32_e32 v133, v133, v36, vcc
	v_cmp_eq_u32_e32 vcc, 0, v65
	v_cmp_eq_u32_e64 s[0:1], 3, v130
	v_cndmask_b32_e64 v133, v133, v37, s[0:1]
	s_or_b64 s[10:11], vcc, s[10:11]
	v_cmp_eq_u32_e32 vcc, 4, v130
	v_cndmask_b32_e32 v133, v133, v38, vcc
	v_cmp_eq_u32_e32 vcc, 5, v130
	v_cndmask_b32_e32 v133, v133, v39, vcc
	v_cmp_eq_u32_e32 vcc, 6, v130
	v_cndmask_b32_e32 v133, v133, v40, vcc
	v_cmp_eq_u32_e32 vcc, 7, v130
	v_cndmask_b32_e32 v133, v133, v41, vcc
	v_cmp_eq_u32_e32 vcc, 8, v130
	v_cndmask_b32_e32 v133, v133, v42, vcc
	v_cmp_eq_u32_e32 vcc, 9, v130
	v_cndmask_b32_e32 v133, v133, v43, vcc
	v_cmp_eq_u32_e32 vcc, 10, v130
	v_cndmask_b32_e32 v133, v133, v44, vcc
	v_cmp_eq_u32_e32 vcc, 11, v130
	v_cndmask_b32_e32 v133, v133, v45, vcc
	v_cmp_eq_u32_e32 vcc, 12, v130
	v_cndmask_b32_e32 v133, v133, v46, vcc
	v_cmp_eq_u32_e32 vcc, 13, v130
	v_cndmask_b32_e32 v133, v133, v47, vcc
	v_cmp_eq_u32_e32 vcc, 14, v130
	v_cndmask_b32_e32 v133, v133, v48, vcc
	v_cmp_eq_u32_e32 vcc, 15, v130
	v_cndmask_b32_e32 v133, v133, v49, vcc
	v_cmp_eq_u32_e32 vcc, 16, v130
	v_cndmask_b32_e32 v133, v133, v50, vcc
	v_cmp_eq_u32_e32 vcc, 17, v130
	v_cndmask_b32_e32 v133, v133, v51, vcc
	v_cmp_eq_u32_e32 vcc, 18, v130
	v_cndmask_b32_e32 v133, v133, v52, vcc
	v_cmp_eq_u32_e32 vcc, 19, v130
	v_cndmask_b32_e32 v133, v133, v53, vcc
	v_cmp_eq_u32_e32 vcc, 20, v130
	v_cndmask_b32_e32 v133, v133, v54, vcc
	v_cmp_eq_u32_e32 vcc, 21, v130
	v_cndmask_b32_e32 v133, v133, v55, vcc
	v_cmp_eq_u32_e32 vcc, 22, v130
	v_cndmask_b32_e32 v133, v133, v56, vcc
	v_cmp_eq_u32_e32 vcc, 23, v130
	v_cndmask_b32_e32 v133, v133, v57, vcc
	v_cmp_eq_u32_e32 vcc, 24, v130
	v_cndmask_b32_e32 v133, v133, v58, vcc
	v_cmp_eq_u32_e32 vcc, 25, v130
	v_cndmask_b32_e32 v133, v133, v59, vcc
	v_cmp_eq_u32_e32 vcc, 26, v130
	ds_read_b32 v134, v131
	v_cndmask_b32_e32 v133, v133, v60, vcc
	v_cmp_eq_u32_e32 vcc, 27, v130
	v_cndmask_b32_e32 v133, v133, v61, vcc
	v_cmp_eq_u32_e32 vcc, 28, v130
	;; [unrolled: 2-line block ×4, first 2 shown]
	v_add_co_u32_e64 v130, s[0:1], 1, v130
	v_cndmask_b32_e32 v133, v133, v64, vcc
	v_add_u32_e32 v131, 4, v131
	v_addc_co_u32_e64 v132, s[0:1], 0, v132, s[0:1]
	s_waitcnt lgkmcnt(0)
	v_fmac_f32_e32 v129, v133, v134
	s_andn2_b64 exec, exec, s[10:11]
	s_cbranch_execnz .LBB94_125
; %bb.126:
	s_or_b64 exec, exec, s[10:11]
.LBB94_127:
	s_or_b64 exec, exec, s[8:9]
.LBB94_128:
	s_or_b64 exec, exec, s[6:7]
	v_mov_b32_e32 v55, 0
	ds_read_b32 v55, v55 offset:84
	s_waitcnt lgkmcnt(0)
	v_mul_f32_e32 v55, v129, v55
.LBB94_129:
	s_or_b64 exec, exec, s[4:5]
	v_cmp_lt_u32_e64 s[0:1], 20, v0
	ds_write_b32 v128, v54
	s_waitcnt lgkmcnt(0)
	; wave barrier
	s_and_saveexec_b64 s[4:5], s[0:1]
	s_cbranch_execz .LBB94_145
; %bb.130:
	s_andn2_b64 vcc, exec, s[66:67]
	s_cbranch_vccnz .LBB94_132
; %bb.131:
	v_cmp_eq_u32_e32 vcc, 1, v0
	v_cndmask_b32_e32 v129, v34, v35, vcc
	v_cmp_eq_u32_e32 vcc, 2, v0
	v_cndmask_b32_e32 v129, v129, v36, vcc
	v_cmp_eq_u32_e32 vcc, 3, v0
	v_cndmask_b32_e32 v129, v129, v37, vcc
	v_cmp_eq_u32_e32 vcc, 4, v0
	v_cndmask_b32_e32 v129, v129, v38, vcc
	v_cmp_eq_u32_e32 vcc, 5, v0
	v_cndmask_b32_e32 v129, v129, v39, vcc
	v_cmp_eq_u32_e32 vcc, 6, v0
	v_cndmask_b32_e32 v129, v129, v40, vcc
	v_cmp_eq_u32_e32 vcc, 7, v0
	v_cndmask_b32_e32 v129, v129, v41, vcc
	v_cmp_eq_u32_e32 vcc, 8, v0
	v_cndmask_b32_e32 v129, v129, v42, vcc
	v_cmp_eq_u32_e32 vcc, 9, v0
	v_cndmask_b32_e32 v129, v129, v43, vcc
	v_cmp_eq_u32_e32 vcc, 10, v0
	v_cndmask_b32_e32 v129, v129, v44, vcc
	v_cmp_eq_u32_e32 vcc, 11, v0
	v_cndmask_b32_e32 v129, v129, v45, vcc
	v_cmp_eq_u32_e32 vcc, 12, v0
	v_cndmask_b32_e32 v129, v129, v46, vcc
	v_cmp_eq_u32_e32 vcc, 13, v0
	v_cndmask_b32_e32 v129, v129, v47, vcc
	v_cmp_eq_u32_e32 vcc, 14, v0
	v_cndmask_b32_e32 v129, v129, v48, vcc
	v_cmp_eq_u32_e32 vcc, 15, v0
	v_cndmask_b32_e32 v129, v129, v49, vcc
	v_cmp_eq_u32_e32 vcc, 16, v0
	v_cndmask_b32_e32 v129, v129, v50, vcc
	v_cmp_eq_u32_e32 vcc, 17, v0
	v_cndmask_b32_e32 v129, v129, v51, vcc
	v_cmp_eq_u32_e32 vcc, 18, v0
	v_cndmask_b32_e32 v129, v129, v52, vcc
	v_cmp_eq_u32_e32 vcc, 19, v0
	v_cndmask_b32_e32 v129, v129, v53, vcc
	v_cmp_eq_u32_e32 vcc, 20, v0
	v_cndmask_b32_e32 v129, v129, v54, vcc
	v_cmp_eq_u32_e32 vcc, 21, v0
	v_cndmask_b32_e32 v129, v129, v55, vcc
	v_cmp_eq_u32_e32 vcc, 22, v0
	v_cndmask_b32_e32 v129, v129, v56, vcc
	v_cmp_eq_u32_e32 vcc, 23, v0
	v_cndmask_b32_e32 v129, v129, v57, vcc
	v_cmp_eq_u32_e32 vcc, 24, v0
	v_cndmask_b32_e32 v129, v129, v58, vcc
	v_cmp_eq_u32_e32 vcc, 25, v0
	v_cndmask_b32_e32 v129, v129, v59, vcc
	v_cmp_eq_u32_e32 vcc, 26, v0
	v_cndmask_b32_e32 v129, v129, v60, vcc
	v_cmp_eq_u32_e32 vcc, 27, v0
	ds_read_b32 v130, v128
	v_cndmask_b32_e32 v129, v129, v61, vcc
	v_cmp_eq_u32_e32 vcc, 28, v0
	v_cndmask_b32_e32 v129, v129, v62, vcc
	v_cmp_eq_u32_e32 vcc, 29, v0
	;; [unrolled: 2-line block ×3, first 2 shown]
	v_cndmask_b32_e32 v129, v129, v64, vcc
	s_waitcnt lgkmcnt(0)
	v_mul_f32_e32 v129, v129, v130
	s_cbranch_execz .LBB94_133
	s_branch .LBB94_134
.LBB94_132:
                                        ; implicit-def: $vgpr129
.LBB94_133:
	ds_read_b32 v129, v128
.LBB94_134:
	s_and_saveexec_b64 s[6:7], s[2:3]
	s_cbranch_execz .LBB94_144
; %bb.135:
	v_subrev_u32_e32 v132, 22, v0
	v_mov_b32_e32 v130, 21
	v_subrev_u32_e32 v131, 21, v0
	v_cmp_lt_u32_e32 vcc, 6, v132
	s_and_saveexec_b64 s[2:3], vcc
	s_cbranch_execz .LBB94_139
; %bb.136:
	v_and_b32_e32 v130, -8, v131
	v_sub_u32_e32 v132, 0, v130
	s_mov_b64 s[8:9], 28
	s_movk_i32 s12, 0xd4
	s_mov_b64 s[10:11], 0
.LBB94_137:                             ; =>This Inner Loop Header: Depth=1
	s_add_i32 s13, s8, -7
	v_mov_b32_e32 v130, s12
	s_add_i32 s14, s8, -6
	s_set_gpr_idx_on s13, gpr_idx(SRC0)
	v_mov_b32_e32 v139, v34
	s_set_gpr_idx_off
	ds_read2_b32 v[133:134], v130 offset1:1
	s_add_i32 s15, s8, -5
	s_set_gpr_idx_on s14, gpr_idx(SRC0)
	v_mov_b32_e32 v140, v34
	s_set_gpr_idx_off
	s_add_i32 s16, s8, -4
	s_set_gpr_idx_on s15, gpr_idx(SRC0)
	v_mov_b32_e32 v141, v34
	s_set_gpr_idx_off
	ds_read2_b32 v[135:136], v130 offset0:2 offset1:3
	s_add_i32 s17, s8, -3
	s_set_gpr_idx_on s16, gpr_idx(SRC0)
	v_mov_b32_e32 v142, v34
	s_set_gpr_idx_off
	s_add_i32 s18, s8, -2
	s_set_gpr_idx_on s17, gpr_idx(SRC0)
	v_mov_b32_e32 v143, v34
	s_set_gpr_idx_off
	ds_read2_b32 v[137:138], v130 offset0:4 offset1:5
	s_add_i32 s19, s8, -1
	s_waitcnt lgkmcnt(2)
	v_fmac_f32_e32 v129, v139, v133
	s_set_gpr_idx_on s18, gpr_idx(SRC0)
	v_mov_b32_e32 v139, v34
	s_set_gpr_idx_off
	v_fmac_f32_e32 v129, v140, v134
	s_set_gpr_idx_on s19, gpr_idx(SRC0)
	v_mov_b32_e32 v140, v34
	s_set_gpr_idx_off
	ds_read2_b32 v[133:134], v130 offset0:6 offset1:7
	s_waitcnt lgkmcnt(2)
	v_fmac_f32_e32 v129, v141, v135
	s_set_gpr_idx_on s8, gpr_idx(SRC0)
	v_mov_b32_e32 v135, v34
	s_set_gpr_idx_off
	v_fmac_f32_e32 v129, v142, v136
	s_add_u32 s8, s8, 8
	s_waitcnt lgkmcnt(1)
	v_fmac_f32_e32 v129, v143, v137
	v_add_u32_e32 v130, s8, v132
	v_fmac_f32_e32 v129, v139, v138
	s_addc_u32 s9, s9, 0
	s_add_i32 s12, s12, 32
	s_add_i32 s13, s8, -7
	v_cmp_eq_u32_e32 vcc, 28, v130
	s_waitcnt lgkmcnt(0)
	v_fmac_f32_e32 v129, v140, v133
	v_mov_b32_e32 v130, s13
	s_or_b64 s[10:11], vcc, s[10:11]
	v_fmac_f32_e32 v129, v135, v134
	s_andn2_b64 exec, exec, s[10:11]
	s_cbranch_execnz .LBB94_137
; %bb.138:
	s_or_b64 exec, exec, s[10:11]
.LBB94_139:
	s_or_b64 exec, exec, s[2:3]
	v_and_b32_e32 v65, 7, v131
	v_cmp_ne_u32_e32 vcc, 0, v65
	s_and_saveexec_b64 s[8:9], vcc
	s_cbranch_execz .LBB94_143
; %bb.140:
	v_mov_b32_e32 v131, 0x80
	v_lshl_add_u32 v131, v130, 2, v131
	v_mov_b32_e32 v132, 0
	s_mov_b64 s[10:11], 0
.LBB94_141:                             ; =>This Inner Loop Header: Depth=1
	v_cmp_eq_u32_e32 vcc, 1, v130
	v_cndmask_b32_e32 v133, v34, v35, vcc
	v_add_u32_e32 v65, -1, v65
	v_cmp_eq_u32_e32 vcc, 2, v130
	v_cndmask_b32_e32 v133, v133, v36, vcc
	v_cmp_eq_u32_e32 vcc, 0, v65
	v_cmp_eq_u32_e64 s[2:3], 3, v130
	v_cndmask_b32_e64 v133, v133, v37, s[2:3]
	s_or_b64 s[10:11], vcc, s[10:11]
	v_cmp_eq_u32_e32 vcc, 4, v130
	v_cndmask_b32_e32 v133, v133, v38, vcc
	v_cmp_eq_u32_e32 vcc, 5, v130
	v_cndmask_b32_e32 v133, v133, v39, vcc
	;; [unrolled: 2-line block ×22, first 2 shown]
	v_cmp_eq_u32_e32 vcc, 26, v130
	ds_read_b32 v134, v131
	v_cndmask_b32_e32 v133, v133, v60, vcc
	v_cmp_eq_u32_e32 vcc, 27, v130
	v_cndmask_b32_e32 v133, v133, v61, vcc
	v_cmp_eq_u32_e32 vcc, 28, v130
	;; [unrolled: 2-line block ×4, first 2 shown]
	v_add_co_u32_e64 v130, s[2:3], 1, v130
	v_cndmask_b32_e32 v133, v133, v64, vcc
	v_add_u32_e32 v131, 4, v131
	v_addc_co_u32_e64 v132, s[2:3], 0, v132, s[2:3]
	s_waitcnt lgkmcnt(0)
	v_fmac_f32_e32 v129, v133, v134
	s_andn2_b64 exec, exec, s[10:11]
	s_cbranch_execnz .LBB94_141
; %bb.142:
	s_or_b64 exec, exec, s[10:11]
.LBB94_143:
	s_or_b64 exec, exec, s[8:9]
.LBB94_144:
	s_or_b64 exec, exec, s[6:7]
	v_mov_b32_e32 v54, 0
	ds_read_b32 v54, v54 offset:80
	s_waitcnt lgkmcnt(0)
	v_mul_f32_e32 v54, v129, v54
.LBB94_145:
	s_or_b64 exec, exec, s[4:5]
	v_cmp_lt_u32_e64 s[2:3], 19, v0
	ds_write_b32 v128, v53
	s_waitcnt lgkmcnt(0)
	; wave barrier
	s_and_saveexec_b64 s[4:5], s[2:3]
	s_cbranch_execz .LBB94_161
; %bb.146:
	s_andn2_b64 vcc, exec, s[66:67]
	s_cbranch_vccnz .LBB94_148
; %bb.147:
	v_cmp_eq_u32_e32 vcc, 1, v0
	v_cndmask_b32_e32 v129, v34, v35, vcc
	v_cmp_eq_u32_e32 vcc, 2, v0
	v_cndmask_b32_e32 v129, v129, v36, vcc
	v_cmp_eq_u32_e32 vcc, 3, v0
	v_cndmask_b32_e32 v129, v129, v37, vcc
	v_cmp_eq_u32_e32 vcc, 4, v0
	v_cndmask_b32_e32 v129, v129, v38, vcc
	v_cmp_eq_u32_e32 vcc, 5, v0
	v_cndmask_b32_e32 v129, v129, v39, vcc
	v_cmp_eq_u32_e32 vcc, 6, v0
	v_cndmask_b32_e32 v129, v129, v40, vcc
	v_cmp_eq_u32_e32 vcc, 7, v0
	v_cndmask_b32_e32 v129, v129, v41, vcc
	v_cmp_eq_u32_e32 vcc, 8, v0
	v_cndmask_b32_e32 v129, v129, v42, vcc
	v_cmp_eq_u32_e32 vcc, 9, v0
	v_cndmask_b32_e32 v129, v129, v43, vcc
	v_cmp_eq_u32_e32 vcc, 10, v0
	v_cndmask_b32_e32 v129, v129, v44, vcc
	v_cmp_eq_u32_e32 vcc, 11, v0
	v_cndmask_b32_e32 v129, v129, v45, vcc
	v_cmp_eq_u32_e32 vcc, 12, v0
	v_cndmask_b32_e32 v129, v129, v46, vcc
	v_cmp_eq_u32_e32 vcc, 13, v0
	v_cndmask_b32_e32 v129, v129, v47, vcc
	v_cmp_eq_u32_e32 vcc, 14, v0
	v_cndmask_b32_e32 v129, v129, v48, vcc
	v_cmp_eq_u32_e32 vcc, 15, v0
	v_cndmask_b32_e32 v129, v129, v49, vcc
	v_cmp_eq_u32_e32 vcc, 16, v0
	v_cndmask_b32_e32 v129, v129, v50, vcc
	v_cmp_eq_u32_e32 vcc, 17, v0
	v_cndmask_b32_e32 v129, v129, v51, vcc
	v_cmp_eq_u32_e32 vcc, 18, v0
	v_cndmask_b32_e32 v129, v129, v52, vcc
	v_cmp_eq_u32_e32 vcc, 19, v0
	v_cndmask_b32_e32 v129, v129, v53, vcc
	v_cmp_eq_u32_e32 vcc, 20, v0
	v_cndmask_b32_e32 v129, v129, v54, vcc
	v_cmp_eq_u32_e32 vcc, 21, v0
	v_cndmask_b32_e32 v129, v129, v55, vcc
	v_cmp_eq_u32_e32 vcc, 22, v0
	v_cndmask_b32_e32 v129, v129, v56, vcc
	v_cmp_eq_u32_e32 vcc, 23, v0
	v_cndmask_b32_e32 v129, v129, v57, vcc
	v_cmp_eq_u32_e32 vcc, 24, v0
	v_cndmask_b32_e32 v129, v129, v58, vcc
	v_cmp_eq_u32_e32 vcc, 25, v0
	v_cndmask_b32_e32 v129, v129, v59, vcc
	v_cmp_eq_u32_e32 vcc, 26, v0
	v_cndmask_b32_e32 v129, v129, v60, vcc
	v_cmp_eq_u32_e32 vcc, 27, v0
	ds_read_b32 v130, v128
	v_cndmask_b32_e32 v129, v129, v61, vcc
	v_cmp_eq_u32_e32 vcc, 28, v0
	v_cndmask_b32_e32 v129, v129, v62, vcc
	v_cmp_eq_u32_e32 vcc, 29, v0
	;; [unrolled: 2-line block ×3, first 2 shown]
	v_cndmask_b32_e32 v129, v129, v64, vcc
	s_waitcnt lgkmcnt(0)
	v_mul_f32_e32 v129, v129, v130
	s_cbranch_execz .LBB94_149
	s_branch .LBB94_150
.LBB94_148:
                                        ; implicit-def: $vgpr129
.LBB94_149:
	ds_read_b32 v129, v128
.LBB94_150:
	s_and_saveexec_b64 s[6:7], s[0:1]
	s_cbranch_execz .LBB94_160
; %bb.151:
	v_subrev_u32_e32 v132, 21, v0
	v_mov_b32_e32 v130, 20
	v_subrev_u32_e32 v131, 20, v0
	v_cmp_lt_u32_e32 vcc, 6, v132
	s_and_saveexec_b64 s[0:1], vcc
	s_cbranch_execz .LBB94_155
; %bb.152:
	v_and_b32_e32 v130, -8, v131
	v_sub_u32_e32 v132, 0, v130
	s_mov_b64 s[8:9], 27
	s_movk_i32 s12, 0xd0
	s_mov_b64 s[10:11], 0
.LBB94_153:                             ; =>This Inner Loop Header: Depth=1
	s_add_i32 s13, s8, -7
	v_mov_b32_e32 v130, s12
	s_add_i32 s14, s8, -6
	s_set_gpr_idx_on s13, gpr_idx(SRC0)
	v_mov_b32_e32 v141, v34
	s_set_gpr_idx_off
	s_add_i32 s15, s8, -5
	ds_read_b128 v[133:136], v130
	ds_read_b128 v[137:140], v130 offset:16
	s_set_gpr_idx_on s14, gpr_idx(SRC0)
	v_mov_b32_e32 v130, v34
	s_set_gpr_idx_off
	s_add_i32 s16, s8, -4
	s_set_gpr_idx_on s15, gpr_idx(SRC0)
	v_mov_b32_e32 v142, v34
	s_set_gpr_idx_off
	s_add_i32 s17, s8, -3
	;; [unrolled: 4-line block ×4, first 2 shown]
	s_waitcnt lgkmcnt(1)
	v_fmac_f32_e32 v129, v141, v133
	s_set_gpr_idx_on s18, gpr_idx(SRC0)
	v_mov_b32_e32 v133, v34
	s_set_gpr_idx_off
	v_fmac_f32_e32 v129, v130, v134
	s_set_gpr_idx_on s19, gpr_idx(SRC0)
	v_mov_b32_e32 v134, v34
	s_set_gpr_idx_off
	;; [unrolled: 4-line block ×3, first 2 shown]
	v_fmac_f32_e32 v129, v143, v136
	s_add_u32 s8, s8, 8
	s_waitcnt lgkmcnt(0)
	v_fmac_f32_e32 v129, v144, v137
	v_add_u32_e32 v130, s8, v132
	v_fmac_f32_e32 v129, v133, v138
	s_addc_u32 s9, s9, 0
	s_add_i32 s12, s12, 32
	s_add_i32 s13, s8, -7
	v_cmp_eq_u32_e32 vcc, 27, v130
	v_fmac_f32_e32 v129, v134, v139
	v_mov_b32_e32 v130, s13
	s_or_b64 s[10:11], vcc, s[10:11]
	v_fmac_f32_e32 v129, v135, v140
	s_andn2_b64 exec, exec, s[10:11]
	s_cbranch_execnz .LBB94_153
; %bb.154:
	s_or_b64 exec, exec, s[10:11]
.LBB94_155:
	s_or_b64 exec, exec, s[0:1]
	v_and_b32_e32 v65, 7, v131
	v_cmp_ne_u32_e32 vcc, 0, v65
	s_and_saveexec_b64 s[8:9], vcc
	s_cbranch_execz .LBB94_159
; %bb.156:
	v_mov_b32_e32 v131, 0x80
	v_lshl_add_u32 v131, v130, 2, v131
	v_mov_b32_e32 v132, 0
	s_mov_b64 s[10:11], 0
.LBB94_157:                             ; =>This Inner Loop Header: Depth=1
	v_cmp_eq_u32_e32 vcc, 1, v130
	v_cndmask_b32_e32 v133, v34, v35, vcc
	v_add_u32_e32 v65, -1, v65
	v_cmp_eq_u32_e32 vcc, 2, v130
	v_cndmask_b32_e32 v133, v133, v36, vcc
	v_cmp_eq_u32_e32 vcc, 0, v65
	v_cmp_eq_u32_e64 s[0:1], 3, v130
	v_cndmask_b32_e64 v133, v133, v37, s[0:1]
	s_or_b64 s[10:11], vcc, s[10:11]
	v_cmp_eq_u32_e32 vcc, 4, v130
	v_cndmask_b32_e32 v133, v133, v38, vcc
	v_cmp_eq_u32_e32 vcc, 5, v130
	v_cndmask_b32_e32 v133, v133, v39, vcc
	v_cmp_eq_u32_e32 vcc, 6, v130
	v_cndmask_b32_e32 v133, v133, v40, vcc
	v_cmp_eq_u32_e32 vcc, 7, v130
	v_cndmask_b32_e32 v133, v133, v41, vcc
	v_cmp_eq_u32_e32 vcc, 8, v130
	v_cndmask_b32_e32 v133, v133, v42, vcc
	v_cmp_eq_u32_e32 vcc, 9, v130
	v_cndmask_b32_e32 v133, v133, v43, vcc
	v_cmp_eq_u32_e32 vcc, 10, v130
	v_cndmask_b32_e32 v133, v133, v44, vcc
	v_cmp_eq_u32_e32 vcc, 11, v130
	v_cndmask_b32_e32 v133, v133, v45, vcc
	v_cmp_eq_u32_e32 vcc, 12, v130
	v_cndmask_b32_e32 v133, v133, v46, vcc
	v_cmp_eq_u32_e32 vcc, 13, v130
	v_cndmask_b32_e32 v133, v133, v47, vcc
	v_cmp_eq_u32_e32 vcc, 14, v130
	v_cndmask_b32_e32 v133, v133, v48, vcc
	v_cmp_eq_u32_e32 vcc, 15, v130
	v_cndmask_b32_e32 v133, v133, v49, vcc
	v_cmp_eq_u32_e32 vcc, 16, v130
	v_cndmask_b32_e32 v133, v133, v50, vcc
	v_cmp_eq_u32_e32 vcc, 17, v130
	v_cndmask_b32_e32 v133, v133, v51, vcc
	v_cmp_eq_u32_e32 vcc, 18, v130
	v_cndmask_b32_e32 v133, v133, v52, vcc
	v_cmp_eq_u32_e32 vcc, 19, v130
	v_cndmask_b32_e32 v133, v133, v53, vcc
	v_cmp_eq_u32_e32 vcc, 20, v130
	v_cndmask_b32_e32 v133, v133, v54, vcc
	v_cmp_eq_u32_e32 vcc, 21, v130
	v_cndmask_b32_e32 v133, v133, v55, vcc
	v_cmp_eq_u32_e32 vcc, 22, v130
	v_cndmask_b32_e32 v133, v133, v56, vcc
	v_cmp_eq_u32_e32 vcc, 23, v130
	v_cndmask_b32_e32 v133, v133, v57, vcc
	v_cmp_eq_u32_e32 vcc, 24, v130
	v_cndmask_b32_e32 v133, v133, v58, vcc
	v_cmp_eq_u32_e32 vcc, 25, v130
	v_cndmask_b32_e32 v133, v133, v59, vcc
	v_cmp_eq_u32_e32 vcc, 26, v130
	ds_read_b32 v134, v131
	v_cndmask_b32_e32 v133, v133, v60, vcc
	v_cmp_eq_u32_e32 vcc, 27, v130
	v_cndmask_b32_e32 v133, v133, v61, vcc
	v_cmp_eq_u32_e32 vcc, 28, v130
	;; [unrolled: 2-line block ×4, first 2 shown]
	v_add_co_u32_e64 v130, s[0:1], 1, v130
	v_cndmask_b32_e32 v133, v133, v64, vcc
	v_add_u32_e32 v131, 4, v131
	v_addc_co_u32_e64 v132, s[0:1], 0, v132, s[0:1]
	s_waitcnt lgkmcnt(0)
	v_fmac_f32_e32 v129, v133, v134
	s_andn2_b64 exec, exec, s[10:11]
	s_cbranch_execnz .LBB94_157
; %bb.158:
	s_or_b64 exec, exec, s[10:11]
.LBB94_159:
	s_or_b64 exec, exec, s[8:9]
.LBB94_160:
	s_or_b64 exec, exec, s[6:7]
	v_mov_b32_e32 v53, 0
	ds_read_b32 v53, v53 offset:76
	s_waitcnt lgkmcnt(0)
	v_mul_f32_e32 v53, v129, v53
.LBB94_161:
	s_or_b64 exec, exec, s[4:5]
	v_cmp_lt_u32_e64 s[0:1], 18, v0
	ds_write_b32 v128, v52
	s_waitcnt lgkmcnt(0)
	; wave barrier
	s_and_saveexec_b64 s[4:5], s[0:1]
	s_cbranch_execz .LBB94_177
; %bb.162:
	s_andn2_b64 vcc, exec, s[66:67]
	s_cbranch_vccnz .LBB94_164
; %bb.163:
	v_cmp_eq_u32_e32 vcc, 1, v0
	v_cndmask_b32_e32 v129, v34, v35, vcc
	v_cmp_eq_u32_e32 vcc, 2, v0
	v_cndmask_b32_e32 v129, v129, v36, vcc
	;; [unrolled: 2-line block ×26, first 2 shown]
	v_cmp_eq_u32_e32 vcc, 27, v0
	ds_read_b32 v130, v128
	v_cndmask_b32_e32 v129, v129, v61, vcc
	v_cmp_eq_u32_e32 vcc, 28, v0
	v_cndmask_b32_e32 v129, v129, v62, vcc
	v_cmp_eq_u32_e32 vcc, 29, v0
	;; [unrolled: 2-line block ×3, first 2 shown]
	v_cndmask_b32_e32 v129, v129, v64, vcc
	s_waitcnt lgkmcnt(0)
	v_mul_f32_e32 v129, v129, v130
	s_cbranch_execz .LBB94_165
	s_branch .LBB94_166
.LBB94_164:
                                        ; implicit-def: $vgpr129
.LBB94_165:
	ds_read_b32 v129, v128
.LBB94_166:
	s_and_saveexec_b64 s[6:7], s[2:3]
	s_cbranch_execz .LBB94_176
; %bb.167:
	v_subrev_u32_e32 v132, 20, v0
	v_mov_b32_e32 v130, 19
	v_subrev_u32_e32 v131, 19, v0
	v_cmp_lt_u32_e32 vcc, 6, v132
	s_and_saveexec_b64 s[2:3], vcc
	s_cbranch_execz .LBB94_171
; %bb.168:
	v_and_b32_e32 v130, -8, v131
	v_sub_u32_e32 v132, 0, v130
	s_mov_b64 s[8:9], 26
	s_movk_i32 s12, 0xcc
	s_mov_b64 s[10:11], 0
.LBB94_169:                             ; =>This Inner Loop Header: Depth=1
	s_add_i32 s13, s8, -7
	v_mov_b32_e32 v130, s12
	s_add_i32 s14, s8, -6
	s_set_gpr_idx_on s13, gpr_idx(SRC0)
	v_mov_b32_e32 v139, v34
	s_set_gpr_idx_off
	ds_read2_b32 v[133:134], v130 offset1:1
	s_add_i32 s15, s8, -5
	s_set_gpr_idx_on s14, gpr_idx(SRC0)
	v_mov_b32_e32 v140, v34
	s_set_gpr_idx_off
	s_add_i32 s16, s8, -4
	s_set_gpr_idx_on s15, gpr_idx(SRC0)
	v_mov_b32_e32 v141, v34
	s_set_gpr_idx_off
	ds_read2_b32 v[135:136], v130 offset0:2 offset1:3
	s_add_i32 s17, s8, -3
	s_set_gpr_idx_on s16, gpr_idx(SRC0)
	v_mov_b32_e32 v142, v34
	s_set_gpr_idx_off
	s_add_i32 s18, s8, -2
	s_set_gpr_idx_on s17, gpr_idx(SRC0)
	v_mov_b32_e32 v143, v34
	s_set_gpr_idx_off
	ds_read2_b32 v[137:138], v130 offset0:4 offset1:5
	s_add_i32 s19, s8, -1
	s_waitcnt lgkmcnt(2)
	v_fmac_f32_e32 v129, v139, v133
	s_set_gpr_idx_on s18, gpr_idx(SRC0)
	v_mov_b32_e32 v139, v34
	s_set_gpr_idx_off
	v_fmac_f32_e32 v129, v140, v134
	s_set_gpr_idx_on s19, gpr_idx(SRC0)
	v_mov_b32_e32 v140, v34
	s_set_gpr_idx_off
	ds_read2_b32 v[133:134], v130 offset0:6 offset1:7
	s_waitcnt lgkmcnt(2)
	v_fmac_f32_e32 v129, v141, v135
	s_set_gpr_idx_on s8, gpr_idx(SRC0)
	v_mov_b32_e32 v135, v34
	s_set_gpr_idx_off
	v_fmac_f32_e32 v129, v142, v136
	s_add_u32 s8, s8, 8
	s_waitcnt lgkmcnt(1)
	v_fmac_f32_e32 v129, v143, v137
	v_add_u32_e32 v130, s8, v132
	v_fmac_f32_e32 v129, v139, v138
	s_addc_u32 s9, s9, 0
	s_add_i32 s12, s12, 32
	s_add_i32 s13, s8, -7
	v_cmp_eq_u32_e32 vcc, 26, v130
	s_waitcnt lgkmcnt(0)
	v_fmac_f32_e32 v129, v140, v133
	v_mov_b32_e32 v130, s13
	s_or_b64 s[10:11], vcc, s[10:11]
	v_fmac_f32_e32 v129, v135, v134
	s_andn2_b64 exec, exec, s[10:11]
	s_cbranch_execnz .LBB94_169
; %bb.170:
	s_or_b64 exec, exec, s[10:11]
.LBB94_171:
	s_or_b64 exec, exec, s[2:3]
	v_and_b32_e32 v65, 7, v131
	v_cmp_ne_u32_e32 vcc, 0, v65
	s_and_saveexec_b64 s[8:9], vcc
	s_cbranch_execz .LBB94_175
; %bb.172:
	v_mov_b32_e32 v131, 0x80
	v_lshl_add_u32 v131, v130, 2, v131
	v_mov_b32_e32 v132, 0
	s_mov_b64 s[10:11], 0
.LBB94_173:                             ; =>This Inner Loop Header: Depth=1
	v_cmp_eq_u32_e32 vcc, 1, v130
	v_cndmask_b32_e32 v133, v34, v35, vcc
	v_add_u32_e32 v65, -1, v65
	v_cmp_eq_u32_e32 vcc, 2, v130
	v_cndmask_b32_e32 v133, v133, v36, vcc
	v_cmp_eq_u32_e32 vcc, 0, v65
	v_cmp_eq_u32_e64 s[2:3], 3, v130
	v_cndmask_b32_e64 v133, v133, v37, s[2:3]
	s_or_b64 s[10:11], vcc, s[10:11]
	v_cmp_eq_u32_e32 vcc, 4, v130
	v_cndmask_b32_e32 v133, v133, v38, vcc
	v_cmp_eq_u32_e32 vcc, 5, v130
	v_cndmask_b32_e32 v133, v133, v39, vcc
	;; [unrolled: 2-line block ×22, first 2 shown]
	v_cmp_eq_u32_e32 vcc, 26, v130
	ds_read_b32 v134, v131
	v_cndmask_b32_e32 v133, v133, v60, vcc
	v_cmp_eq_u32_e32 vcc, 27, v130
	v_cndmask_b32_e32 v133, v133, v61, vcc
	v_cmp_eq_u32_e32 vcc, 28, v130
	;; [unrolled: 2-line block ×4, first 2 shown]
	v_add_co_u32_e64 v130, s[2:3], 1, v130
	v_cndmask_b32_e32 v133, v133, v64, vcc
	v_add_u32_e32 v131, 4, v131
	v_addc_co_u32_e64 v132, s[2:3], 0, v132, s[2:3]
	s_waitcnt lgkmcnt(0)
	v_fmac_f32_e32 v129, v133, v134
	s_andn2_b64 exec, exec, s[10:11]
	s_cbranch_execnz .LBB94_173
; %bb.174:
	s_or_b64 exec, exec, s[10:11]
.LBB94_175:
	s_or_b64 exec, exec, s[8:9]
.LBB94_176:
	s_or_b64 exec, exec, s[6:7]
	v_mov_b32_e32 v52, 0
	ds_read_b32 v52, v52 offset:72
	s_waitcnt lgkmcnt(0)
	v_mul_f32_e32 v52, v129, v52
.LBB94_177:
	s_or_b64 exec, exec, s[4:5]
	v_cmp_lt_u32_e64 s[2:3], 17, v0
	ds_write_b32 v128, v51
	s_waitcnt lgkmcnt(0)
	; wave barrier
	s_and_saveexec_b64 s[4:5], s[2:3]
	s_cbranch_execz .LBB94_193
; %bb.178:
	s_andn2_b64 vcc, exec, s[66:67]
	s_cbranch_vccnz .LBB94_180
; %bb.179:
	v_cmp_eq_u32_e32 vcc, 1, v0
	v_cndmask_b32_e32 v129, v34, v35, vcc
	v_cmp_eq_u32_e32 vcc, 2, v0
	v_cndmask_b32_e32 v129, v129, v36, vcc
	;; [unrolled: 2-line block ×26, first 2 shown]
	v_cmp_eq_u32_e32 vcc, 27, v0
	ds_read_b32 v130, v128
	v_cndmask_b32_e32 v129, v129, v61, vcc
	v_cmp_eq_u32_e32 vcc, 28, v0
	v_cndmask_b32_e32 v129, v129, v62, vcc
	v_cmp_eq_u32_e32 vcc, 29, v0
	v_cndmask_b32_e32 v129, v129, v63, vcc
	v_cmp_eq_u32_e32 vcc, 30, v0
	v_cndmask_b32_e32 v129, v129, v64, vcc
	s_waitcnt lgkmcnt(0)
	v_mul_f32_e32 v129, v129, v130
	s_cbranch_execz .LBB94_181
	s_branch .LBB94_182
.LBB94_180:
                                        ; implicit-def: $vgpr129
.LBB94_181:
	ds_read_b32 v129, v128
.LBB94_182:
	s_and_saveexec_b64 s[6:7], s[0:1]
	s_cbranch_execz .LBB94_192
; %bb.183:
	v_subrev_u32_e32 v132, 19, v0
	v_mov_b32_e32 v130, 18
	v_subrev_u32_e32 v131, 18, v0
	v_cmp_lt_u32_e32 vcc, 6, v132
	s_and_saveexec_b64 s[0:1], vcc
	s_cbranch_execz .LBB94_187
; %bb.184:
	v_and_b32_e32 v130, -8, v131
	v_sub_u32_e32 v132, 0, v130
	s_mov_b64 s[8:9], 25
	s_movk_i32 s12, 0xc8
	s_mov_b64 s[10:11], 0
.LBB94_185:                             ; =>This Inner Loop Header: Depth=1
	s_add_i32 s13, s8, -7
	v_mov_b32_e32 v130, s12
	s_add_i32 s14, s8, -6
	s_set_gpr_idx_on s13, gpr_idx(SRC0)
	v_mov_b32_e32 v141, v34
	s_set_gpr_idx_off
	ds_read2_b64 v[133:136], v130 offset1:1
	s_add_i32 s15, s8, -5
	s_set_gpr_idx_on s14, gpr_idx(SRC0)
	v_mov_b32_e32 v142, v34
	s_set_gpr_idx_off
	s_add_i32 s16, s8, -4
	s_set_gpr_idx_on s15, gpr_idx(SRC0)
	v_mov_b32_e32 v143, v34
	s_set_gpr_idx_off
	;; [unrolled: 4-line block ×4, first 2 shown]
	ds_read2_b64 v[137:140], v130 offset0:2 offset1:3
	s_add_i32 s19, s8, -1
	s_waitcnt lgkmcnt(1)
	v_fmac_f32_e32 v129, v141, v133
	s_set_gpr_idx_on s18, gpr_idx(SRC0)
	v_mov_b32_e32 v133, v34
	s_set_gpr_idx_off
	v_fmac_f32_e32 v129, v142, v134
	s_set_gpr_idx_on s19, gpr_idx(SRC0)
	v_mov_b32_e32 v134, v34
	s_set_gpr_idx_off
	;; [unrolled: 4-line block ×3, first 2 shown]
	v_fmac_f32_e32 v129, v144, v136
	s_add_u32 s8, s8, 8
	s_waitcnt lgkmcnt(0)
	v_fmac_f32_e32 v129, v145, v137
	v_add_u32_e32 v130, s8, v132
	v_fmac_f32_e32 v129, v133, v138
	s_addc_u32 s9, s9, 0
	s_add_i32 s12, s12, 32
	s_add_i32 s13, s8, -7
	v_cmp_eq_u32_e32 vcc, 25, v130
	v_fmac_f32_e32 v129, v134, v139
	v_mov_b32_e32 v130, s13
	s_or_b64 s[10:11], vcc, s[10:11]
	v_fmac_f32_e32 v129, v135, v140
	s_andn2_b64 exec, exec, s[10:11]
	s_cbranch_execnz .LBB94_185
; %bb.186:
	s_or_b64 exec, exec, s[10:11]
.LBB94_187:
	s_or_b64 exec, exec, s[0:1]
	v_and_b32_e32 v65, 7, v131
	v_cmp_ne_u32_e32 vcc, 0, v65
	s_and_saveexec_b64 s[8:9], vcc
	s_cbranch_execz .LBB94_191
; %bb.188:
	v_mov_b32_e32 v131, 0x80
	v_lshl_add_u32 v131, v130, 2, v131
	v_mov_b32_e32 v132, 0
	s_mov_b64 s[10:11], 0
.LBB94_189:                             ; =>This Inner Loop Header: Depth=1
	v_cmp_eq_u32_e32 vcc, 1, v130
	v_cndmask_b32_e32 v133, v34, v35, vcc
	v_add_u32_e32 v65, -1, v65
	v_cmp_eq_u32_e32 vcc, 2, v130
	v_cndmask_b32_e32 v133, v133, v36, vcc
	v_cmp_eq_u32_e32 vcc, 0, v65
	v_cmp_eq_u32_e64 s[0:1], 3, v130
	v_cndmask_b32_e64 v133, v133, v37, s[0:1]
	s_or_b64 s[10:11], vcc, s[10:11]
	v_cmp_eq_u32_e32 vcc, 4, v130
	v_cndmask_b32_e32 v133, v133, v38, vcc
	v_cmp_eq_u32_e32 vcc, 5, v130
	v_cndmask_b32_e32 v133, v133, v39, vcc
	;; [unrolled: 2-line block ×22, first 2 shown]
	v_cmp_eq_u32_e32 vcc, 26, v130
	ds_read_b32 v134, v131
	v_cndmask_b32_e32 v133, v133, v60, vcc
	v_cmp_eq_u32_e32 vcc, 27, v130
	v_cndmask_b32_e32 v133, v133, v61, vcc
	v_cmp_eq_u32_e32 vcc, 28, v130
	;; [unrolled: 2-line block ×4, first 2 shown]
	v_add_co_u32_e64 v130, s[0:1], 1, v130
	v_cndmask_b32_e32 v133, v133, v64, vcc
	v_add_u32_e32 v131, 4, v131
	v_addc_co_u32_e64 v132, s[0:1], 0, v132, s[0:1]
	s_waitcnt lgkmcnt(0)
	v_fmac_f32_e32 v129, v133, v134
	s_andn2_b64 exec, exec, s[10:11]
	s_cbranch_execnz .LBB94_189
; %bb.190:
	s_or_b64 exec, exec, s[10:11]
.LBB94_191:
	s_or_b64 exec, exec, s[8:9]
.LBB94_192:
	s_or_b64 exec, exec, s[6:7]
	v_mov_b32_e32 v51, 0
	ds_read_b32 v51, v51 offset:68
	s_waitcnt lgkmcnt(0)
	v_mul_f32_e32 v51, v129, v51
.LBB94_193:
	s_or_b64 exec, exec, s[4:5]
	v_cmp_lt_u32_e64 s[0:1], 16, v0
	ds_write_b32 v128, v50
	s_waitcnt lgkmcnt(0)
	; wave barrier
	s_and_saveexec_b64 s[4:5], s[0:1]
	s_cbranch_execz .LBB94_209
; %bb.194:
	s_andn2_b64 vcc, exec, s[66:67]
	s_cbranch_vccnz .LBB94_196
; %bb.195:
	v_cmp_eq_u32_e32 vcc, 1, v0
	v_cndmask_b32_e32 v129, v34, v35, vcc
	v_cmp_eq_u32_e32 vcc, 2, v0
	v_cndmask_b32_e32 v129, v129, v36, vcc
	;; [unrolled: 2-line block ×26, first 2 shown]
	v_cmp_eq_u32_e32 vcc, 27, v0
	ds_read_b32 v130, v128
	v_cndmask_b32_e32 v129, v129, v61, vcc
	v_cmp_eq_u32_e32 vcc, 28, v0
	v_cndmask_b32_e32 v129, v129, v62, vcc
	v_cmp_eq_u32_e32 vcc, 29, v0
	;; [unrolled: 2-line block ×3, first 2 shown]
	v_cndmask_b32_e32 v129, v129, v64, vcc
	s_waitcnt lgkmcnt(0)
	v_mul_f32_e32 v129, v129, v130
	s_cbranch_execz .LBB94_197
	s_branch .LBB94_198
.LBB94_196:
                                        ; implicit-def: $vgpr129
.LBB94_197:
	ds_read_b32 v129, v128
.LBB94_198:
	s_and_saveexec_b64 s[6:7], s[2:3]
	s_cbranch_execz .LBB94_208
; %bb.199:
	v_subrev_u32_e32 v132, 18, v0
	v_mov_b32_e32 v130, 17
	v_subrev_u32_e32 v131, 17, v0
	v_cmp_lt_u32_e32 vcc, 6, v132
	s_and_saveexec_b64 s[2:3], vcc
	s_cbranch_execz .LBB94_203
; %bb.200:
	v_and_b32_e32 v130, -8, v131
	v_sub_u32_e32 v132, 0, v130
	s_mov_b64 s[8:9], 24
	s_movk_i32 s12, 0xc4
	s_mov_b64 s[10:11], 0
.LBB94_201:                             ; =>This Inner Loop Header: Depth=1
	s_add_i32 s13, s8, -7
	v_mov_b32_e32 v130, s12
	s_add_i32 s14, s8, -6
	s_set_gpr_idx_on s13, gpr_idx(SRC0)
	v_mov_b32_e32 v139, v34
	s_set_gpr_idx_off
	ds_read2_b32 v[133:134], v130 offset1:1
	s_add_i32 s15, s8, -5
	s_set_gpr_idx_on s14, gpr_idx(SRC0)
	v_mov_b32_e32 v140, v34
	s_set_gpr_idx_off
	s_add_i32 s16, s8, -4
	s_set_gpr_idx_on s15, gpr_idx(SRC0)
	v_mov_b32_e32 v141, v34
	s_set_gpr_idx_off
	ds_read2_b32 v[135:136], v130 offset0:2 offset1:3
	s_add_i32 s17, s8, -3
	s_set_gpr_idx_on s16, gpr_idx(SRC0)
	v_mov_b32_e32 v142, v34
	s_set_gpr_idx_off
	s_add_i32 s18, s8, -2
	s_set_gpr_idx_on s17, gpr_idx(SRC0)
	v_mov_b32_e32 v143, v34
	s_set_gpr_idx_off
	ds_read2_b32 v[137:138], v130 offset0:4 offset1:5
	s_add_i32 s19, s8, -1
	s_waitcnt lgkmcnt(2)
	v_fmac_f32_e32 v129, v139, v133
	s_set_gpr_idx_on s18, gpr_idx(SRC0)
	v_mov_b32_e32 v139, v34
	s_set_gpr_idx_off
	v_fmac_f32_e32 v129, v140, v134
	s_set_gpr_idx_on s19, gpr_idx(SRC0)
	v_mov_b32_e32 v140, v34
	s_set_gpr_idx_off
	ds_read2_b32 v[133:134], v130 offset0:6 offset1:7
	s_waitcnt lgkmcnt(2)
	v_fmac_f32_e32 v129, v141, v135
	s_set_gpr_idx_on s8, gpr_idx(SRC0)
	v_mov_b32_e32 v135, v34
	s_set_gpr_idx_off
	v_fmac_f32_e32 v129, v142, v136
	s_add_u32 s8, s8, 8
	s_waitcnt lgkmcnt(1)
	v_fmac_f32_e32 v129, v143, v137
	v_add_u32_e32 v130, s8, v132
	v_fmac_f32_e32 v129, v139, v138
	s_addc_u32 s9, s9, 0
	s_add_i32 s12, s12, 32
	s_add_i32 s13, s8, -7
	v_cmp_eq_u32_e32 vcc, 24, v130
	s_waitcnt lgkmcnt(0)
	v_fmac_f32_e32 v129, v140, v133
	v_mov_b32_e32 v130, s13
	s_or_b64 s[10:11], vcc, s[10:11]
	v_fmac_f32_e32 v129, v135, v134
	s_andn2_b64 exec, exec, s[10:11]
	s_cbranch_execnz .LBB94_201
; %bb.202:
	s_or_b64 exec, exec, s[10:11]
.LBB94_203:
	s_or_b64 exec, exec, s[2:3]
	v_and_b32_e32 v65, 7, v131
	v_cmp_ne_u32_e32 vcc, 0, v65
	s_and_saveexec_b64 s[8:9], vcc
	s_cbranch_execz .LBB94_207
; %bb.204:
	v_mov_b32_e32 v131, 0x80
	v_lshl_add_u32 v131, v130, 2, v131
	v_mov_b32_e32 v132, 0
	s_mov_b64 s[10:11], 0
.LBB94_205:                             ; =>This Inner Loop Header: Depth=1
	v_cmp_eq_u32_e32 vcc, 1, v130
	v_cndmask_b32_e32 v133, v34, v35, vcc
	v_add_u32_e32 v65, -1, v65
	v_cmp_eq_u32_e32 vcc, 2, v130
	v_cndmask_b32_e32 v133, v133, v36, vcc
	v_cmp_eq_u32_e32 vcc, 0, v65
	v_cmp_eq_u32_e64 s[2:3], 3, v130
	v_cndmask_b32_e64 v133, v133, v37, s[2:3]
	s_or_b64 s[10:11], vcc, s[10:11]
	v_cmp_eq_u32_e32 vcc, 4, v130
	v_cndmask_b32_e32 v133, v133, v38, vcc
	v_cmp_eq_u32_e32 vcc, 5, v130
	v_cndmask_b32_e32 v133, v133, v39, vcc
	;; [unrolled: 2-line block ×22, first 2 shown]
	v_cmp_eq_u32_e32 vcc, 26, v130
	ds_read_b32 v134, v131
	v_cndmask_b32_e32 v133, v133, v60, vcc
	v_cmp_eq_u32_e32 vcc, 27, v130
	v_cndmask_b32_e32 v133, v133, v61, vcc
	v_cmp_eq_u32_e32 vcc, 28, v130
	;; [unrolled: 2-line block ×4, first 2 shown]
	v_add_co_u32_e64 v130, s[2:3], 1, v130
	v_cndmask_b32_e32 v133, v133, v64, vcc
	v_add_u32_e32 v131, 4, v131
	v_addc_co_u32_e64 v132, s[2:3], 0, v132, s[2:3]
	s_waitcnt lgkmcnt(0)
	v_fmac_f32_e32 v129, v133, v134
	s_andn2_b64 exec, exec, s[10:11]
	s_cbranch_execnz .LBB94_205
; %bb.206:
	s_or_b64 exec, exec, s[10:11]
.LBB94_207:
	s_or_b64 exec, exec, s[8:9]
.LBB94_208:
	s_or_b64 exec, exec, s[6:7]
	v_mov_b32_e32 v50, 0
	ds_read_b32 v50, v50 offset:64
	s_waitcnt lgkmcnt(0)
	v_mul_f32_e32 v50, v129, v50
.LBB94_209:
	s_or_b64 exec, exec, s[4:5]
	v_cmp_lt_u32_e64 s[2:3], 15, v0
	ds_write_b32 v128, v49
	s_waitcnt lgkmcnt(0)
	; wave barrier
	s_and_saveexec_b64 s[4:5], s[2:3]
	s_cbranch_execz .LBB94_225
; %bb.210:
	s_andn2_b64 vcc, exec, s[66:67]
	s_cbranch_vccnz .LBB94_212
; %bb.211:
	v_cmp_eq_u32_e32 vcc, 1, v0
	v_cndmask_b32_e32 v129, v34, v35, vcc
	v_cmp_eq_u32_e32 vcc, 2, v0
	v_cndmask_b32_e32 v129, v129, v36, vcc
	;; [unrolled: 2-line block ×26, first 2 shown]
	v_cmp_eq_u32_e32 vcc, 27, v0
	ds_read_b32 v130, v128
	v_cndmask_b32_e32 v129, v129, v61, vcc
	v_cmp_eq_u32_e32 vcc, 28, v0
	v_cndmask_b32_e32 v129, v129, v62, vcc
	v_cmp_eq_u32_e32 vcc, 29, v0
	;; [unrolled: 2-line block ×3, first 2 shown]
	v_cndmask_b32_e32 v129, v129, v64, vcc
	s_waitcnt lgkmcnt(0)
	v_mul_f32_e32 v129, v129, v130
	s_cbranch_execz .LBB94_213
	s_branch .LBB94_214
.LBB94_212:
                                        ; implicit-def: $vgpr129
.LBB94_213:
	ds_read_b32 v129, v128
.LBB94_214:
	s_and_saveexec_b64 s[6:7], s[0:1]
	s_cbranch_execz .LBB94_224
; %bb.215:
	v_subrev_u32_e32 v130, 17, v0
	v_cmp_lt_u32_e32 vcc, 6, v130
	v_mov_b32_e32 v130, 16
	s_and_saveexec_b64 s[0:1], vcc
	s_cbranch_execz .LBB94_219
; %bb.216:
	v_and_b32_e32 v130, 24, v0
	v_sub_u32_e32 v131, 0, v130
	s_mov_b64 s[8:9], 23
	s_movk_i32 s12, 0xc0
	s_mov_b64 s[10:11], 0
.LBB94_217:                             ; =>This Inner Loop Header: Depth=1
	s_add_i32 s13, s8, -7
	v_mov_b32_e32 v130, s12
	s_add_i32 s14, s8, -6
	s_set_gpr_idx_on s13, gpr_idx(SRC0)
	v_mov_b32_e32 v140, v34
	s_set_gpr_idx_off
	s_add_i32 s15, s8, -5
	ds_read_b128 v[132:135], v130
	ds_read_b128 v[136:139], v130 offset:16
	s_set_gpr_idx_on s14, gpr_idx(SRC0)
	v_mov_b32_e32 v130, v34
	s_set_gpr_idx_off
	s_add_i32 s16, s8, -4
	s_set_gpr_idx_on s15, gpr_idx(SRC0)
	v_mov_b32_e32 v141, v34
	s_set_gpr_idx_off
	s_add_i32 s17, s8, -3
	;; [unrolled: 4-line block ×4, first 2 shown]
	s_waitcnt lgkmcnt(1)
	v_fmac_f32_e32 v129, v140, v132
	s_set_gpr_idx_on s18, gpr_idx(SRC0)
	v_mov_b32_e32 v132, v34
	s_set_gpr_idx_off
	v_fmac_f32_e32 v129, v130, v133
	s_set_gpr_idx_on s19, gpr_idx(SRC0)
	v_mov_b32_e32 v133, v34
	s_set_gpr_idx_off
	;; [unrolled: 4-line block ×3, first 2 shown]
	v_fmac_f32_e32 v129, v142, v135
	s_add_u32 s8, s8, 8
	s_waitcnt lgkmcnt(0)
	v_fmac_f32_e32 v129, v143, v136
	v_add_u32_e32 v130, s8, v131
	v_fmac_f32_e32 v129, v132, v137
	s_addc_u32 s9, s9, 0
	s_add_i32 s12, s12, 32
	s_add_i32 s13, s8, -7
	v_cmp_eq_u32_e32 vcc, 7, v130
	v_fmac_f32_e32 v129, v133, v138
	v_mov_b32_e32 v130, s13
	s_or_b64 s[10:11], vcc, s[10:11]
	v_fmac_f32_e32 v129, v134, v139
	s_andn2_b64 exec, exec, s[10:11]
	s_cbranch_execnz .LBB94_217
; %bb.218:
	s_or_b64 exec, exec, s[10:11]
.LBB94_219:
	s_or_b64 exec, exec, s[0:1]
	v_and_b32_e32 v65, 7, v0
	v_cmp_ne_u32_e32 vcc, 0, v65
	s_and_saveexec_b64 s[8:9], vcc
	s_cbranch_execz .LBB94_223
; %bb.220:
	v_mov_b32_e32 v131, 0x80
	v_lshl_add_u32 v131, v130, 2, v131
	v_mov_b32_e32 v132, 0
	s_mov_b64 s[10:11], 0
.LBB94_221:                             ; =>This Inner Loop Header: Depth=1
	v_cmp_eq_u32_e32 vcc, 1, v130
	v_cndmask_b32_e32 v133, v34, v35, vcc
	v_add_u32_e32 v65, -1, v65
	v_cmp_eq_u32_e32 vcc, 2, v130
	v_cndmask_b32_e32 v133, v133, v36, vcc
	v_cmp_eq_u32_e32 vcc, 0, v65
	v_cmp_eq_u32_e64 s[0:1], 3, v130
	v_cndmask_b32_e64 v133, v133, v37, s[0:1]
	s_or_b64 s[10:11], vcc, s[10:11]
	v_cmp_eq_u32_e32 vcc, 4, v130
	v_cndmask_b32_e32 v133, v133, v38, vcc
	v_cmp_eq_u32_e32 vcc, 5, v130
	v_cndmask_b32_e32 v133, v133, v39, vcc
	;; [unrolled: 2-line block ×22, first 2 shown]
	v_cmp_eq_u32_e32 vcc, 26, v130
	ds_read_b32 v134, v131
	v_cndmask_b32_e32 v133, v133, v60, vcc
	v_cmp_eq_u32_e32 vcc, 27, v130
	v_cndmask_b32_e32 v133, v133, v61, vcc
	v_cmp_eq_u32_e32 vcc, 28, v130
	;; [unrolled: 2-line block ×4, first 2 shown]
	v_add_co_u32_e64 v130, s[0:1], 1, v130
	v_cndmask_b32_e32 v133, v133, v64, vcc
	v_add_u32_e32 v131, 4, v131
	v_addc_co_u32_e64 v132, s[0:1], 0, v132, s[0:1]
	s_waitcnt lgkmcnt(0)
	v_fmac_f32_e32 v129, v133, v134
	s_andn2_b64 exec, exec, s[10:11]
	s_cbranch_execnz .LBB94_221
; %bb.222:
	s_or_b64 exec, exec, s[10:11]
.LBB94_223:
	s_or_b64 exec, exec, s[8:9]
.LBB94_224:
	s_or_b64 exec, exec, s[6:7]
	v_mov_b32_e32 v49, 0
	ds_read_b32 v49, v49 offset:60
	s_waitcnt lgkmcnt(0)
	v_mul_f32_e32 v49, v129, v49
.LBB94_225:
	s_or_b64 exec, exec, s[4:5]
	v_cmp_lt_u32_e64 s[0:1], 14, v0
	ds_write_b32 v128, v48
	s_waitcnt lgkmcnt(0)
	; wave barrier
	s_and_saveexec_b64 s[4:5], s[0:1]
	s_cbranch_execz .LBB94_241
; %bb.226:
	s_andn2_b64 vcc, exec, s[66:67]
	s_cbranch_vccnz .LBB94_228
; %bb.227:
	v_cmp_eq_u32_e32 vcc, 1, v0
	v_cndmask_b32_e32 v129, v34, v35, vcc
	v_cmp_eq_u32_e32 vcc, 2, v0
	v_cndmask_b32_e32 v129, v129, v36, vcc
	;; [unrolled: 2-line block ×26, first 2 shown]
	v_cmp_eq_u32_e32 vcc, 27, v0
	ds_read_b32 v130, v128
	v_cndmask_b32_e32 v129, v129, v61, vcc
	v_cmp_eq_u32_e32 vcc, 28, v0
	v_cndmask_b32_e32 v129, v129, v62, vcc
	v_cmp_eq_u32_e32 vcc, 29, v0
	;; [unrolled: 2-line block ×3, first 2 shown]
	v_cndmask_b32_e32 v129, v129, v64, vcc
	s_waitcnt lgkmcnt(0)
	v_mul_f32_e32 v129, v129, v130
	s_cbranch_execz .LBB94_229
	s_branch .LBB94_230
.LBB94_228:
                                        ; implicit-def: $vgpr129
.LBB94_229:
	ds_read_b32 v129, v128
.LBB94_230:
	s_and_saveexec_b64 s[6:7], s[2:3]
	s_cbranch_execz .LBB94_240
; %bb.231:
	v_add_u32_e32 v130, -16, v0
	v_add_u32_e32 v131, -15, v0
	v_cmp_lt_u32_e32 vcc, 6, v130
	v_mov_b32_e32 v130, 15
	s_and_saveexec_b64 s[2:3], vcc
	s_cbranch_execz .LBB94_235
; %bb.232:
	v_and_b32_e32 v130, -8, v131
	v_sub_u32_e32 v132, 0, v130
	s_mov_b64 s[8:9], 22
	s_movk_i32 s12, 0xbc
	s_mov_b64 s[10:11], 0
.LBB94_233:                             ; =>This Inner Loop Header: Depth=1
	s_add_i32 s13, s8, -7
	v_mov_b32_e32 v130, s12
	s_add_i32 s14, s8, -6
	s_set_gpr_idx_on s13, gpr_idx(SRC0)
	v_mov_b32_e32 v139, v34
	s_set_gpr_idx_off
	ds_read2_b32 v[133:134], v130 offset1:1
	s_add_i32 s15, s8, -5
	s_set_gpr_idx_on s14, gpr_idx(SRC0)
	v_mov_b32_e32 v140, v34
	s_set_gpr_idx_off
	s_add_i32 s16, s8, -4
	s_set_gpr_idx_on s15, gpr_idx(SRC0)
	v_mov_b32_e32 v141, v34
	s_set_gpr_idx_off
	ds_read2_b32 v[135:136], v130 offset0:2 offset1:3
	s_add_i32 s17, s8, -3
	s_set_gpr_idx_on s16, gpr_idx(SRC0)
	v_mov_b32_e32 v142, v34
	s_set_gpr_idx_off
	s_add_i32 s18, s8, -2
	s_set_gpr_idx_on s17, gpr_idx(SRC0)
	v_mov_b32_e32 v143, v34
	s_set_gpr_idx_off
	ds_read2_b32 v[137:138], v130 offset0:4 offset1:5
	s_add_i32 s19, s8, -1
	s_waitcnt lgkmcnt(2)
	v_fmac_f32_e32 v129, v139, v133
	s_set_gpr_idx_on s18, gpr_idx(SRC0)
	v_mov_b32_e32 v139, v34
	s_set_gpr_idx_off
	v_fmac_f32_e32 v129, v140, v134
	s_set_gpr_idx_on s19, gpr_idx(SRC0)
	v_mov_b32_e32 v140, v34
	s_set_gpr_idx_off
	ds_read2_b32 v[133:134], v130 offset0:6 offset1:7
	s_waitcnt lgkmcnt(2)
	v_fmac_f32_e32 v129, v141, v135
	s_set_gpr_idx_on s8, gpr_idx(SRC0)
	v_mov_b32_e32 v135, v34
	s_set_gpr_idx_off
	v_fmac_f32_e32 v129, v142, v136
	s_add_u32 s8, s8, 8
	s_waitcnt lgkmcnt(1)
	v_fmac_f32_e32 v129, v143, v137
	v_add_u32_e32 v130, s8, v132
	v_fmac_f32_e32 v129, v139, v138
	s_addc_u32 s9, s9, 0
	s_add_i32 s12, s12, 32
	s_add_i32 s13, s8, -7
	v_cmp_eq_u32_e32 vcc, 22, v130
	s_waitcnt lgkmcnt(0)
	v_fmac_f32_e32 v129, v140, v133
	v_mov_b32_e32 v130, s13
	s_or_b64 s[10:11], vcc, s[10:11]
	v_fmac_f32_e32 v129, v135, v134
	s_andn2_b64 exec, exec, s[10:11]
	s_cbranch_execnz .LBB94_233
; %bb.234:
	s_or_b64 exec, exec, s[10:11]
.LBB94_235:
	s_or_b64 exec, exec, s[2:3]
	v_and_b32_e32 v65, 7, v131
	v_cmp_ne_u32_e32 vcc, 0, v65
	s_and_saveexec_b64 s[8:9], vcc
	s_cbranch_execz .LBB94_239
; %bb.236:
	v_mov_b32_e32 v131, 0x80
	v_lshl_add_u32 v131, v130, 2, v131
	v_mov_b32_e32 v132, 0
	s_mov_b64 s[10:11], 0
.LBB94_237:                             ; =>This Inner Loop Header: Depth=1
	v_cmp_eq_u32_e32 vcc, 1, v130
	v_cndmask_b32_e32 v133, v34, v35, vcc
	v_add_u32_e32 v65, -1, v65
	v_cmp_eq_u32_e32 vcc, 2, v130
	v_cndmask_b32_e32 v133, v133, v36, vcc
	v_cmp_eq_u32_e32 vcc, 0, v65
	v_cmp_eq_u32_e64 s[2:3], 3, v130
	v_cndmask_b32_e64 v133, v133, v37, s[2:3]
	s_or_b64 s[10:11], vcc, s[10:11]
	v_cmp_eq_u32_e32 vcc, 4, v130
	v_cndmask_b32_e32 v133, v133, v38, vcc
	v_cmp_eq_u32_e32 vcc, 5, v130
	v_cndmask_b32_e32 v133, v133, v39, vcc
	;; [unrolled: 2-line block ×22, first 2 shown]
	v_cmp_eq_u32_e32 vcc, 26, v130
	ds_read_b32 v134, v131
	v_cndmask_b32_e32 v133, v133, v60, vcc
	v_cmp_eq_u32_e32 vcc, 27, v130
	v_cndmask_b32_e32 v133, v133, v61, vcc
	v_cmp_eq_u32_e32 vcc, 28, v130
	;; [unrolled: 2-line block ×4, first 2 shown]
	v_add_co_u32_e64 v130, s[2:3], 1, v130
	v_cndmask_b32_e32 v133, v133, v64, vcc
	v_add_u32_e32 v131, 4, v131
	v_addc_co_u32_e64 v132, s[2:3], 0, v132, s[2:3]
	s_waitcnt lgkmcnt(0)
	v_fmac_f32_e32 v129, v133, v134
	s_andn2_b64 exec, exec, s[10:11]
	s_cbranch_execnz .LBB94_237
; %bb.238:
	s_or_b64 exec, exec, s[10:11]
.LBB94_239:
	s_or_b64 exec, exec, s[8:9]
.LBB94_240:
	s_or_b64 exec, exec, s[6:7]
	v_mov_b32_e32 v48, 0
	ds_read_b32 v48, v48 offset:56
	s_waitcnt lgkmcnt(0)
	v_mul_f32_e32 v48, v129, v48
.LBB94_241:
	s_or_b64 exec, exec, s[4:5]
	v_cmp_lt_u32_e64 s[2:3], 13, v0
	ds_write_b32 v128, v47
	s_waitcnt lgkmcnt(0)
	; wave barrier
	s_and_saveexec_b64 s[4:5], s[2:3]
	s_cbranch_execz .LBB94_257
; %bb.242:
	s_andn2_b64 vcc, exec, s[66:67]
	s_cbranch_vccnz .LBB94_244
; %bb.243:
	v_cmp_eq_u32_e32 vcc, 1, v0
	v_cndmask_b32_e32 v129, v34, v35, vcc
	v_cmp_eq_u32_e32 vcc, 2, v0
	v_cndmask_b32_e32 v129, v129, v36, vcc
	v_cmp_eq_u32_e32 vcc, 3, v0
	v_cndmask_b32_e32 v129, v129, v37, vcc
	v_cmp_eq_u32_e32 vcc, 4, v0
	v_cndmask_b32_e32 v129, v129, v38, vcc
	v_cmp_eq_u32_e32 vcc, 5, v0
	v_cndmask_b32_e32 v129, v129, v39, vcc
	v_cmp_eq_u32_e32 vcc, 6, v0
	v_cndmask_b32_e32 v129, v129, v40, vcc
	v_cmp_eq_u32_e32 vcc, 7, v0
	v_cndmask_b32_e32 v129, v129, v41, vcc
	v_cmp_eq_u32_e32 vcc, 8, v0
	v_cndmask_b32_e32 v129, v129, v42, vcc
	v_cmp_eq_u32_e32 vcc, 9, v0
	v_cndmask_b32_e32 v129, v129, v43, vcc
	v_cmp_eq_u32_e32 vcc, 10, v0
	v_cndmask_b32_e32 v129, v129, v44, vcc
	v_cmp_eq_u32_e32 vcc, 11, v0
	v_cndmask_b32_e32 v129, v129, v45, vcc
	v_cmp_eq_u32_e32 vcc, 12, v0
	v_cndmask_b32_e32 v129, v129, v46, vcc
	v_cmp_eq_u32_e32 vcc, 13, v0
	v_cndmask_b32_e32 v129, v129, v47, vcc
	v_cmp_eq_u32_e32 vcc, 14, v0
	v_cndmask_b32_e32 v129, v129, v48, vcc
	v_cmp_eq_u32_e32 vcc, 15, v0
	v_cndmask_b32_e32 v129, v129, v49, vcc
	v_cmp_eq_u32_e32 vcc, 16, v0
	v_cndmask_b32_e32 v129, v129, v50, vcc
	v_cmp_eq_u32_e32 vcc, 17, v0
	v_cndmask_b32_e32 v129, v129, v51, vcc
	v_cmp_eq_u32_e32 vcc, 18, v0
	v_cndmask_b32_e32 v129, v129, v52, vcc
	v_cmp_eq_u32_e32 vcc, 19, v0
	v_cndmask_b32_e32 v129, v129, v53, vcc
	v_cmp_eq_u32_e32 vcc, 20, v0
	v_cndmask_b32_e32 v129, v129, v54, vcc
	v_cmp_eq_u32_e32 vcc, 21, v0
	v_cndmask_b32_e32 v129, v129, v55, vcc
	v_cmp_eq_u32_e32 vcc, 22, v0
	v_cndmask_b32_e32 v129, v129, v56, vcc
	v_cmp_eq_u32_e32 vcc, 23, v0
	v_cndmask_b32_e32 v129, v129, v57, vcc
	v_cmp_eq_u32_e32 vcc, 24, v0
	v_cndmask_b32_e32 v129, v129, v58, vcc
	v_cmp_eq_u32_e32 vcc, 25, v0
	v_cndmask_b32_e32 v129, v129, v59, vcc
	v_cmp_eq_u32_e32 vcc, 26, v0
	v_cndmask_b32_e32 v129, v129, v60, vcc
	v_cmp_eq_u32_e32 vcc, 27, v0
	ds_read_b32 v130, v128
	v_cndmask_b32_e32 v129, v129, v61, vcc
	v_cmp_eq_u32_e32 vcc, 28, v0
	v_cndmask_b32_e32 v129, v129, v62, vcc
	v_cmp_eq_u32_e32 vcc, 29, v0
	v_cndmask_b32_e32 v129, v129, v63, vcc
	v_cmp_eq_u32_e32 vcc, 30, v0
	v_cndmask_b32_e32 v129, v129, v64, vcc
	s_waitcnt lgkmcnt(0)
	v_mul_f32_e32 v129, v129, v130
	s_cbranch_execz .LBB94_245
	s_branch .LBB94_246
.LBB94_244:
                                        ; implicit-def: $vgpr129
.LBB94_245:
	ds_read_b32 v129, v128
.LBB94_246:
	s_and_saveexec_b64 s[6:7], s[0:1]
	s_cbranch_execz .LBB94_256
; %bb.247:
	v_add_u32_e32 v130, -15, v0
	v_add_u32_e32 v131, -14, v0
	v_cmp_lt_u32_e32 vcc, 6, v130
	v_mov_b32_e32 v130, 14
	s_and_saveexec_b64 s[0:1], vcc
	s_cbranch_execz .LBB94_251
; %bb.248:
	v_and_b32_e32 v130, -8, v131
	v_sub_u32_e32 v132, 0, v130
	s_mov_b64 s[8:9], 21
	s_movk_i32 s12, 0xb8
	s_mov_b64 s[10:11], 0
.LBB94_249:                             ; =>This Inner Loop Header: Depth=1
	s_add_i32 s13, s8, -7
	v_mov_b32_e32 v130, s12
	s_add_i32 s14, s8, -6
	s_set_gpr_idx_on s13, gpr_idx(SRC0)
	v_mov_b32_e32 v141, v34
	s_set_gpr_idx_off
	ds_read2_b64 v[133:136], v130 offset1:1
	s_add_i32 s15, s8, -5
	s_set_gpr_idx_on s14, gpr_idx(SRC0)
	v_mov_b32_e32 v142, v34
	s_set_gpr_idx_off
	s_add_i32 s16, s8, -4
	s_set_gpr_idx_on s15, gpr_idx(SRC0)
	v_mov_b32_e32 v143, v34
	s_set_gpr_idx_off
	s_add_i32 s17, s8, -3
	s_set_gpr_idx_on s16, gpr_idx(SRC0)
	v_mov_b32_e32 v144, v34
	s_set_gpr_idx_off
	s_add_i32 s18, s8, -2
	s_set_gpr_idx_on s17, gpr_idx(SRC0)
	v_mov_b32_e32 v145, v34
	s_set_gpr_idx_off
	ds_read2_b64 v[137:140], v130 offset0:2 offset1:3
	s_add_i32 s19, s8, -1
	s_waitcnt lgkmcnt(1)
	v_fmac_f32_e32 v129, v141, v133
	s_set_gpr_idx_on s18, gpr_idx(SRC0)
	v_mov_b32_e32 v133, v34
	s_set_gpr_idx_off
	v_fmac_f32_e32 v129, v142, v134
	s_set_gpr_idx_on s19, gpr_idx(SRC0)
	v_mov_b32_e32 v134, v34
	s_set_gpr_idx_off
	v_fmac_f32_e32 v129, v143, v135
	s_set_gpr_idx_on s8, gpr_idx(SRC0)
	v_mov_b32_e32 v135, v34
	s_set_gpr_idx_off
	v_fmac_f32_e32 v129, v144, v136
	s_add_u32 s8, s8, 8
	s_waitcnt lgkmcnt(0)
	v_fmac_f32_e32 v129, v145, v137
	v_add_u32_e32 v130, s8, v132
	v_fmac_f32_e32 v129, v133, v138
	s_addc_u32 s9, s9, 0
	s_add_i32 s12, s12, 32
	s_add_i32 s13, s8, -7
	v_cmp_eq_u32_e32 vcc, 21, v130
	v_fmac_f32_e32 v129, v134, v139
	v_mov_b32_e32 v130, s13
	s_or_b64 s[10:11], vcc, s[10:11]
	v_fmac_f32_e32 v129, v135, v140
	s_andn2_b64 exec, exec, s[10:11]
	s_cbranch_execnz .LBB94_249
; %bb.250:
	s_or_b64 exec, exec, s[10:11]
.LBB94_251:
	s_or_b64 exec, exec, s[0:1]
	v_and_b32_e32 v65, 7, v131
	v_cmp_ne_u32_e32 vcc, 0, v65
	s_and_saveexec_b64 s[8:9], vcc
	s_cbranch_execz .LBB94_255
; %bb.252:
	v_mov_b32_e32 v131, 0x80
	v_lshl_add_u32 v131, v130, 2, v131
	v_mov_b32_e32 v132, 0
	s_mov_b64 s[10:11], 0
.LBB94_253:                             ; =>This Inner Loop Header: Depth=1
	v_cmp_eq_u32_e32 vcc, 1, v130
	v_cndmask_b32_e32 v133, v34, v35, vcc
	v_add_u32_e32 v65, -1, v65
	v_cmp_eq_u32_e32 vcc, 2, v130
	v_cndmask_b32_e32 v133, v133, v36, vcc
	v_cmp_eq_u32_e32 vcc, 0, v65
	v_cmp_eq_u32_e64 s[0:1], 3, v130
	v_cndmask_b32_e64 v133, v133, v37, s[0:1]
	s_or_b64 s[10:11], vcc, s[10:11]
	v_cmp_eq_u32_e32 vcc, 4, v130
	v_cndmask_b32_e32 v133, v133, v38, vcc
	v_cmp_eq_u32_e32 vcc, 5, v130
	v_cndmask_b32_e32 v133, v133, v39, vcc
	;; [unrolled: 2-line block ×22, first 2 shown]
	v_cmp_eq_u32_e32 vcc, 26, v130
	ds_read_b32 v134, v131
	v_cndmask_b32_e32 v133, v133, v60, vcc
	v_cmp_eq_u32_e32 vcc, 27, v130
	v_cndmask_b32_e32 v133, v133, v61, vcc
	v_cmp_eq_u32_e32 vcc, 28, v130
	;; [unrolled: 2-line block ×4, first 2 shown]
	v_add_co_u32_e64 v130, s[0:1], 1, v130
	v_cndmask_b32_e32 v133, v133, v64, vcc
	v_add_u32_e32 v131, 4, v131
	v_addc_co_u32_e64 v132, s[0:1], 0, v132, s[0:1]
	s_waitcnt lgkmcnt(0)
	v_fmac_f32_e32 v129, v133, v134
	s_andn2_b64 exec, exec, s[10:11]
	s_cbranch_execnz .LBB94_253
; %bb.254:
	s_or_b64 exec, exec, s[10:11]
.LBB94_255:
	s_or_b64 exec, exec, s[8:9]
.LBB94_256:
	s_or_b64 exec, exec, s[6:7]
	v_mov_b32_e32 v47, 0
	ds_read_b32 v47, v47 offset:52
	s_waitcnt lgkmcnt(0)
	v_mul_f32_e32 v47, v129, v47
.LBB94_257:
	s_or_b64 exec, exec, s[4:5]
	v_cmp_lt_u32_e64 s[0:1], 12, v0
	ds_write_b32 v128, v46
	s_waitcnt lgkmcnt(0)
	; wave barrier
	s_and_saveexec_b64 s[4:5], s[0:1]
	s_cbranch_execz .LBB94_273
; %bb.258:
	s_andn2_b64 vcc, exec, s[66:67]
	s_cbranch_vccnz .LBB94_260
; %bb.259:
	v_cmp_eq_u32_e32 vcc, 1, v0
	v_cndmask_b32_e32 v129, v34, v35, vcc
	v_cmp_eq_u32_e32 vcc, 2, v0
	v_cndmask_b32_e32 v129, v129, v36, vcc
	v_cmp_eq_u32_e32 vcc, 3, v0
	v_cndmask_b32_e32 v129, v129, v37, vcc
	v_cmp_eq_u32_e32 vcc, 4, v0
	v_cndmask_b32_e32 v129, v129, v38, vcc
	v_cmp_eq_u32_e32 vcc, 5, v0
	v_cndmask_b32_e32 v129, v129, v39, vcc
	v_cmp_eq_u32_e32 vcc, 6, v0
	v_cndmask_b32_e32 v129, v129, v40, vcc
	v_cmp_eq_u32_e32 vcc, 7, v0
	v_cndmask_b32_e32 v129, v129, v41, vcc
	v_cmp_eq_u32_e32 vcc, 8, v0
	v_cndmask_b32_e32 v129, v129, v42, vcc
	v_cmp_eq_u32_e32 vcc, 9, v0
	v_cndmask_b32_e32 v129, v129, v43, vcc
	v_cmp_eq_u32_e32 vcc, 10, v0
	v_cndmask_b32_e32 v129, v129, v44, vcc
	v_cmp_eq_u32_e32 vcc, 11, v0
	v_cndmask_b32_e32 v129, v129, v45, vcc
	v_cmp_eq_u32_e32 vcc, 12, v0
	v_cndmask_b32_e32 v129, v129, v46, vcc
	v_cmp_eq_u32_e32 vcc, 13, v0
	v_cndmask_b32_e32 v129, v129, v47, vcc
	v_cmp_eq_u32_e32 vcc, 14, v0
	v_cndmask_b32_e32 v129, v129, v48, vcc
	v_cmp_eq_u32_e32 vcc, 15, v0
	v_cndmask_b32_e32 v129, v129, v49, vcc
	v_cmp_eq_u32_e32 vcc, 16, v0
	v_cndmask_b32_e32 v129, v129, v50, vcc
	v_cmp_eq_u32_e32 vcc, 17, v0
	v_cndmask_b32_e32 v129, v129, v51, vcc
	v_cmp_eq_u32_e32 vcc, 18, v0
	v_cndmask_b32_e32 v129, v129, v52, vcc
	v_cmp_eq_u32_e32 vcc, 19, v0
	v_cndmask_b32_e32 v129, v129, v53, vcc
	v_cmp_eq_u32_e32 vcc, 20, v0
	v_cndmask_b32_e32 v129, v129, v54, vcc
	v_cmp_eq_u32_e32 vcc, 21, v0
	v_cndmask_b32_e32 v129, v129, v55, vcc
	v_cmp_eq_u32_e32 vcc, 22, v0
	v_cndmask_b32_e32 v129, v129, v56, vcc
	v_cmp_eq_u32_e32 vcc, 23, v0
	v_cndmask_b32_e32 v129, v129, v57, vcc
	v_cmp_eq_u32_e32 vcc, 24, v0
	v_cndmask_b32_e32 v129, v129, v58, vcc
	v_cmp_eq_u32_e32 vcc, 25, v0
	v_cndmask_b32_e32 v129, v129, v59, vcc
	v_cmp_eq_u32_e32 vcc, 26, v0
	v_cndmask_b32_e32 v129, v129, v60, vcc
	v_cmp_eq_u32_e32 vcc, 27, v0
	ds_read_b32 v130, v128
	v_cndmask_b32_e32 v129, v129, v61, vcc
	v_cmp_eq_u32_e32 vcc, 28, v0
	v_cndmask_b32_e32 v129, v129, v62, vcc
	v_cmp_eq_u32_e32 vcc, 29, v0
	;; [unrolled: 2-line block ×3, first 2 shown]
	v_cndmask_b32_e32 v129, v129, v64, vcc
	s_waitcnt lgkmcnt(0)
	v_mul_f32_e32 v129, v129, v130
	s_cbranch_execz .LBB94_261
	s_branch .LBB94_262
.LBB94_260:
                                        ; implicit-def: $vgpr129
.LBB94_261:
	ds_read_b32 v129, v128
.LBB94_262:
	s_and_saveexec_b64 s[6:7], s[2:3]
	s_cbranch_execz .LBB94_272
; %bb.263:
	v_add_u32_e32 v130, -14, v0
	v_add_u32_e32 v131, -13, v0
	v_cmp_lt_u32_e32 vcc, 6, v130
	v_mov_b32_e32 v130, 13
	s_and_saveexec_b64 s[2:3], vcc
	s_cbranch_execz .LBB94_267
; %bb.264:
	v_and_b32_e32 v130, -8, v131
	v_sub_u32_e32 v132, 0, v130
	s_mov_b64 s[8:9], 20
	s_movk_i32 s12, 0xb4
	s_mov_b64 s[10:11], 0
.LBB94_265:                             ; =>This Inner Loop Header: Depth=1
	s_add_i32 s13, s8, -7
	v_mov_b32_e32 v130, s12
	s_add_i32 s14, s8, -6
	s_set_gpr_idx_on s13, gpr_idx(SRC0)
	v_mov_b32_e32 v139, v34
	s_set_gpr_idx_off
	ds_read2_b32 v[133:134], v130 offset1:1
	s_add_i32 s15, s8, -5
	s_set_gpr_idx_on s14, gpr_idx(SRC0)
	v_mov_b32_e32 v140, v34
	s_set_gpr_idx_off
	s_add_i32 s16, s8, -4
	s_set_gpr_idx_on s15, gpr_idx(SRC0)
	v_mov_b32_e32 v141, v34
	s_set_gpr_idx_off
	ds_read2_b32 v[135:136], v130 offset0:2 offset1:3
	s_add_i32 s17, s8, -3
	s_set_gpr_idx_on s16, gpr_idx(SRC0)
	v_mov_b32_e32 v142, v34
	s_set_gpr_idx_off
	s_add_i32 s18, s8, -2
	s_set_gpr_idx_on s17, gpr_idx(SRC0)
	v_mov_b32_e32 v143, v34
	s_set_gpr_idx_off
	ds_read2_b32 v[137:138], v130 offset0:4 offset1:5
	s_add_i32 s19, s8, -1
	s_waitcnt lgkmcnt(2)
	v_fmac_f32_e32 v129, v139, v133
	s_set_gpr_idx_on s18, gpr_idx(SRC0)
	v_mov_b32_e32 v139, v34
	s_set_gpr_idx_off
	v_fmac_f32_e32 v129, v140, v134
	s_set_gpr_idx_on s19, gpr_idx(SRC0)
	v_mov_b32_e32 v140, v34
	s_set_gpr_idx_off
	ds_read2_b32 v[133:134], v130 offset0:6 offset1:7
	s_waitcnt lgkmcnt(2)
	v_fmac_f32_e32 v129, v141, v135
	s_set_gpr_idx_on s8, gpr_idx(SRC0)
	v_mov_b32_e32 v135, v34
	s_set_gpr_idx_off
	v_fmac_f32_e32 v129, v142, v136
	s_add_u32 s8, s8, 8
	s_waitcnt lgkmcnt(1)
	v_fmac_f32_e32 v129, v143, v137
	v_add_u32_e32 v130, s8, v132
	v_fmac_f32_e32 v129, v139, v138
	s_addc_u32 s9, s9, 0
	s_add_i32 s12, s12, 32
	s_add_i32 s13, s8, -7
	v_cmp_eq_u32_e32 vcc, 20, v130
	s_waitcnt lgkmcnt(0)
	v_fmac_f32_e32 v129, v140, v133
	v_mov_b32_e32 v130, s13
	s_or_b64 s[10:11], vcc, s[10:11]
	v_fmac_f32_e32 v129, v135, v134
	s_andn2_b64 exec, exec, s[10:11]
	s_cbranch_execnz .LBB94_265
; %bb.266:
	s_or_b64 exec, exec, s[10:11]
.LBB94_267:
	s_or_b64 exec, exec, s[2:3]
	v_and_b32_e32 v65, 7, v131
	v_cmp_ne_u32_e32 vcc, 0, v65
	s_and_saveexec_b64 s[8:9], vcc
	s_cbranch_execz .LBB94_271
; %bb.268:
	v_mov_b32_e32 v131, 0x80
	v_lshl_add_u32 v131, v130, 2, v131
	v_mov_b32_e32 v132, 0
	s_mov_b64 s[10:11], 0
.LBB94_269:                             ; =>This Inner Loop Header: Depth=1
	v_cmp_eq_u32_e32 vcc, 1, v130
	v_cndmask_b32_e32 v133, v34, v35, vcc
	v_add_u32_e32 v65, -1, v65
	v_cmp_eq_u32_e32 vcc, 2, v130
	v_cndmask_b32_e32 v133, v133, v36, vcc
	v_cmp_eq_u32_e32 vcc, 0, v65
	v_cmp_eq_u32_e64 s[2:3], 3, v130
	v_cndmask_b32_e64 v133, v133, v37, s[2:3]
	s_or_b64 s[10:11], vcc, s[10:11]
	v_cmp_eq_u32_e32 vcc, 4, v130
	v_cndmask_b32_e32 v133, v133, v38, vcc
	v_cmp_eq_u32_e32 vcc, 5, v130
	v_cndmask_b32_e32 v133, v133, v39, vcc
	;; [unrolled: 2-line block ×22, first 2 shown]
	v_cmp_eq_u32_e32 vcc, 26, v130
	ds_read_b32 v134, v131
	v_cndmask_b32_e32 v133, v133, v60, vcc
	v_cmp_eq_u32_e32 vcc, 27, v130
	v_cndmask_b32_e32 v133, v133, v61, vcc
	v_cmp_eq_u32_e32 vcc, 28, v130
	;; [unrolled: 2-line block ×4, first 2 shown]
	v_add_co_u32_e64 v130, s[2:3], 1, v130
	v_cndmask_b32_e32 v133, v133, v64, vcc
	v_add_u32_e32 v131, 4, v131
	v_addc_co_u32_e64 v132, s[2:3], 0, v132, s[2:3]
	s_waitcnt lgkmcnt(0)
	v_fmac_f32_e32 v129, v133, v134
	s_andn2_b64 exec, exec, s[10:11]
	s_cbranch_execnz .LBB94_269
; %bb.270:
	s_or_b64 exec, exec, s[10:11]
.LBB94_271:
	s_or_b64 exec, exec, s[8:9]
.LBB94_272:
	s_or_b64 exec, exec, s[6:7]
	v_mov_b32_e32 v46, 0
	ds_read_b32 v46, v46 offset:48
	s_waitcnt lgkmcnt(0)
	v_mul_f32_e32 v46, v129, v46
.LBB94_273:
	s_or_b64 exec, exec, s[4:5]
	v_cmp_lt_u32_e64 s[2:3], 11, v0
	ds_write_b32 v128, v45
	s_waitcnt lgkmcnt(0)
	; wave barrier
	s_and_saveexec_b64 s[4:5], s[2:3]
	s_cbranch_execz .LBB94_289
; %bb.274:
	s_andn2_b64 vcc, exec, s[66:67]
	s_cbranch_vccnz .LBB94_276
; %bb.275:
	v_cmp_eq_u32_e32 vcc, 1, v0
	v_cndmask_b32_e32 v129, v34, v35, vcc
	v_cmp_eq_u32_e32 vcc, 2, v0
	v_cndmask_b32_e32 v129, v129, v36, vcc
	;; [unrolled: 2-line block ×26, first 2 shown]
	v_cmp_eq_u32_e32 vcc, 27, v0
	ds_read_b32 v130, v128
	v_cndmask_b32_e32 v129, v129, v61, vcc
	v_cmp_eq_u32_e32 vcc, 28, v0
	v_cndmask_b32_e32 v129, v129, v62, vcc
	v_cmp_eq_u32_e32 vcc, 29, v0
	v_cndmask_b32_e32 v129, v129, v63, vcc
	v_cmp_eq_u32_e32 vcc, 30, v0
	v_cndmask_b32_e32 v129, v129, v64, vcc
	s_waitcnt lgkmcnt(0)
	v_mul_f32_e32 v129, v129, v130
	s_cbranch_execz .LBB94_277
	s_branch .LBB94_278
.LBB94_276:
                                        ; implicit-def: $vgpr129
.LBB94_277:
	ds_read_b32 v129, v128
.LBB94_278:
	s_and_saveexec_b64 s[6:7], s[0:1]
	s_cbranch_execz .LBB94_288
; %bb.279:
	v_add_u32_e32 v130, -13, v0
	v_add_u32_e32 v131, -12, v0
	v_cmp_lt_u32_e32 vcc, 6, v130
	v_mov_b32_e32 v130, 12
	s_and_saveexec_b64 s[0:1], vcc
	s_cbranch_execz .LBB94_283
; %bb.280:
	v_and_b32_e32 v130, -8, v131
	v_sub_u32_e32 v132, 0, v130
	s_mov_b64 s[8:9], 19
	s_movk_i32 s12, 0xb0
	s_mov_b64 s[10:11], 0
.LBB94_281:                             ; =>This Inner Loop Header: Depth=1
	s_add_i32 s13, s8, -7
	v_mov_b32_e32 v130, s12
	s_add_i32 s14, s8, -6
	s_set_gpr_idx_on s13, gpr_idx(SRC0)
	v_mov_b32_e32 v141, v34
	s_set_gpr_idx_off
	s_add_i32 s15, s8, -5
	ds_read_b128 v[133:136], v130
	ds_read_b128 v[137:140], v130 offset:16
	s_set_gpr_idx_on s14, gpr_idx(SRC0)
	v_mov_b32_e32 v130, v34
	s_set_gpr_idx_off
	s_add_i32 s16, s8, -4
	s_set_gpr_idx_on s15, gpr_idx(SRC0)
	v_mov_b32_e32 v142, v34
	s_set_gpr_idx_off
	s_add_i32 s17, s8, -3
	;; [unrolled: 4-line block ×4, first 2 shown]
	s_waitcnt lgkmcnt(1)
	v_fmac_f32_e32 v129, v141, v133
	s_set_gpr_idx_on s18, gpr_idx(SRC0)
	v_mov_b32_e32 v133, v34
	s_set_gpr_idx_off
	v_fmac_f32_e32 v129, v130, v134
	s_set_gpr_idx_on s19, gpr_idx(SRC0)
	v_mov_b32_e32 v134, v34
	s_set_gpr_idx_off
	;; [unrolled: 4-line block ×3, first 2 shown]
	v_fmac_f32_e32 v129, v143, v136
	s_add_u32 s8, s8, 8
	s_waitcnt lgkmcnt(0)
	v_fmac_f32_e32 v129, v144, v137
	v_add_u32_e32 v130, s8, v132
	v_fmac_f32_e32 v129, v133, v138
	s_addc_u32 s9, s9, 0
	s_add_i32 s12, s12, 32
	s_add_i32 s13, s8, -7
	v_cmp_eq_u32_e32 vcc, 19, v130
	v_fmac_f32_e32 v129, v134, v139
	v_mov_b32_e32 v130, s13
	s_or_b64 s[10:11], vcc, s[10:11]
	v_fmac_f32_e32 v129, v135, v140
	s_andn2_b64 exec, exec, s[10:11]
	s_cbranch_execnz .LBB94_281
; %bb.282:
	s_or_b64 exec, exec, s[10:11]
.LBB94_283:
	s_or_b64 exec, exec, s[0:1]
	v_and_b32_e32 v65, 7, v131
	v_cmp_ne_u32_e32 vcc, 0, v65
	s_and_saveexec_b64 s[8:9], vcc
	s_cbranch_execz .LBB94_287
; %bb.284:
	v_mov_b32_e32 v131, 0x80
	v_lshl_add_u32 v131, v130, 2, v131
	v_mov_b32_e32 v132, 0
	s_mov_b64 s[10:11], 0
.LBB94_285:                             ; =>This Inner Loop Header: Depth=1
	v_cmp_eq_u32_e32 vcc, 1, v130
	v_cndmask_b32_e32 v133, v34, v35, vcc
	v_add_u32_e32 v65, -1, v65
	v_cmp_eq_u32_e32 vcc, 2, v130
	v_cndmask_b32_e32 v133, v133, v36, vcc
	v_cmp_eq_u32_e32 vcc, 0, v65
	v_cmp_eq_u32_e64 s[0:1], 3, v130
	v_cndmask_b32_e64 v133, v133, v37, s[0:1]
	s_or_b64 s[10:11], vcc, s[10:11]
	v_cmp_eq_u32_e32 vcc, 4, v130
	v_cndmask_b32_e32 v133, v133, v38, vcc
	v_cmp_eq_u32_e32 vcc, 5, v130
	v_cndmask_b32_e32 v133, v133, v39, vcc
	;; [unrolled: 2-line block ×22, first 2 shown]
	v_cmp_eq_u32_e32 vcc, 26, v130
	ds_read_b32 v134, v131
	v_cndmask_b32_e32 v133, v133, v60, vcc
	v_cmp_eq_u32_e32 vcc, 27, v130
	v_cndmask_b32_e32 v133, v133, v61, vcc
	v_cmp_eq_u32_e32 vcc, 28, v130
	;; [unrolled: 2-line block ×4, first 2 shown]
	v_add_co_u32_e64 v130, s[0:1], 1, v130
	v_cndmask_b32_e32 v133, v133, v64, vcc
	v_add_u32_e32 v131, 4, v131
	v_addc_co_u32_e64 v132, s[0:1], 0, v132, s[0:1]
	s_waitcnt lgkmcnt(0)
	v_fmac_f32_e32 v129, v133, v134
	s_andn2_b64 exec, exec, s[10:11]
	s_cbranch_execnz .LBB94_285
; %bb.286:
	s_or_b64 exec, exec, s[10:11]
.LBB94_287:
	s_or_b64 exec, exec, s[8:9]
.LBB94_288:
	s_or_b64 exec, exec, s[6:7]
	v_mov_b32_e32 v45, 0
	ds_read_b32 v45, v45 offset:44
	s_waitcnt lgkmcnt(0)
	v_mul_f32_e32 v45, v129, v45
.LBB94_289:
	s_or_b64 exec, exec, s[4:5]
	v_cmp_lt_u32_e64 s[0:1], 10, v0
	ds_write_b32 v128, v44
	s_waitcnt lgkmcnt(0)
	; wave barrier
	s_and_saveexec_b64 s[4:5], s[0:1]
	s_cbranch_execz .LBB94_305
; %bb.290:
	s_andn2_b64 vcc, exec, s[66:67]
	s_cbranch_vccnz .LBB94_292
; %bb.291:
	v_cmp_eq_u32_e32 vcc, 1, v0
	v_cndmask_b32_e32 v129, v34, v35, vcc
	v_cmp_eq_u32_e32 vcc, 2, v0
	v_cndmask_b32_e32 v129, v129, v36, vcc
	;; [unrolled: 2-line block ×26, first 2 shown]
	v_cmp_eq_u32_e32 vcc, 27, v0
	ds_read_b32 v130, v128
	v_cndmask_b32_e32 v129, v129, v61, vcc
	v_cmp_eq_u32_e32 vcc, 28, v0
	v_cndmask_b32_e32 v129, v129, v62, vcc
	v_cmp_eq_u32_e32 vcc, 29, v0
	;; [unrolled: 2-line block ×3, first 2 shown]
	v_cndmask_b32_e32 v129, v129, v64, vcc
	s_waitcnt lgkmcnt(0)
	v_mul_f32_e32 v129, v129, v130
	s_cbranch_execz .LBB94_293
	s_branch .LBB94_294
.LBB94_292:
                                        ; implicit-def: $vgpr129
.LBB94_293:
	ds_read_b32 v129, v128
.LBB94_294:
	s_and_saveexec_b64 s[6:7], s[2:3]
	s_cbranch_execz .LBB94_304
; %bb.295:
	v_add_u32_e32 v130, -12, v0
	v_add_u32_e32 v131, -11, v0
	v_cmp_lt_u32_e32 vcc, 6, v130
	v_mov_b32_e32 v130, 11
	s_and_saveexec_b64 s[2:3], vcc
	s_cbranch_execz .LBB94_299
; %bb.296:
	v_and_b32_e32 v130, -8, v131
	v_sub_u32_e32 v132, 0, v130
	s_mov_b64 s[8:9], 18
	s_movk_i32 s12, 0xac
	s_mov_b64 s[10:11], 0
.LBB94_297:                             ; =>This Inner Loop Header: Depth=1
	s_add_i32 s13, s8, -7
	v_mov_b32_e32 v130, s12
	s_add_i32 s14, s8, -6
	s_set_gpr_idx_on s13, gpr_idx(SRC0)
	v_mov_b32_e32 v139, v34
	s_set_gpr_idx_off
	ds_read2_b32 v[133:134], v130 offset1:1
	s_add_i32 s15, s8, -5
	s_set_gpr_idx_on s14, gpr_idx(SRC0)
	v_mov_b32_e32 v140, v34
	s_set_gpr_idx_off
	s_add_i32 s16, s8, -4
	s_set_gpr_idx_on s15, gpr_idx(SRC0)
	v_mov_b32_e32 v141, v34
	s_set_gpr_idx_off
	ds_read2_b32 v[135:136], v130 offset0:2 offset1:3
	s_add_i32 s17, s8, -3
	s_set_gpr_idx_on s16, gpr_idx(SRC0)
	v_mov_b32_e32 v142, v34
	s_set_gpr_idx_off
	s_add_i32 s18, s8, -2
	s_set_gpr_idx_on s17, gpr_idx(SRC0)
	v_mov_b32_e32 v143, v34
	s_set_gpr_idx_off
	ds_read2_b32 v[137:138], v130 offset0:4 offset1:5
	s_add_i32 s19, s8, -1
	s_waitcnt lgkmcnt(2)
	v_fmac_f32_e32 v129, v139, v133
	s_set_gpr_idx_on s18, gpr_idx(SRC0)
	v_mov_b32_e32 v139, v34
	s_set_gpr_idx_off
	v_fmac_f32_e32 v129, v140, v134
	s_set_gpr_idx_on s19, gpr_idx(SRC0)
	v_mov_b32_e32 v140, v34
	s_set_gpr_idx_off
	ds_read2_b32 v[133:134], v130 offset0:6 offset1:7
	s_waitcnt lgkmcnt(2)
	v_fmac_f32_e32 v129, v141, v135
	s_set_gpr_idx_on s8, gpr_idx(SRC0)
	v_mov_b32_e32 v135, v34
	s_set_gpr_idx_off
	v_fmac_f32_e32 v129, v142, v136
	s_add_u32 s8, s8, 8
	s_waitcnt lgkmcnt(1)
	v_fmac_f32_e32 v129, v143, v137
	v_add_u32_e32 v130, s8, v132
	v_fmac_f32_e32 v129, v139, v138
	s_addc_u32 s9, s9, 0
	s_add_i32 s12, s12, 32
	s_add_i32 s13, s8, -7
	v_cmp_eq_u32_e32 vcc, 18, v130
	s_waitcnt lgkmcnt(0)
	v_fmac_f32_e32 v129, v140, v133
	v_mov_b32_e32 v130, s13
	s_or_b64 s[10:11], vcc, s[10:11]
	v_fmac_f32_e32 v129, v135, v134
	s_andn2_b64 exec, exec, s[10:11]
	s_cbranch_execnz .LBB94_297
; %bb.298:
	s_or_b64 exec, exec, s[10:11]
.LBB94_299:
	s_or_b64 exec, exec, s[2:3]
	v_and_b32_e32 v65, 7, v131
	v_cmp_ne_u32_e32 vcc, 0, v65
	s_and_saveexec_b64 s[8:9], vcc
	s_cbranch_execz .LBB94_303
; %bb.300:
	v_mov_b32_e32 v131, 0x80
	v_lshl_add_u32 v131, v130, 2, v131
	v_mov_b32_e32 v132, 0
	s_mov_b64 s[10:11], 0
.LBB94_301:                             ; =>This Inner Loop Header: Depth=1
	v_cmp_eq_u32_e32 vcc, 1, v130
	v_cndmask_b32_e32 v133, v34, v35, vcc
	v_add_u32_e32 v65, -1, v65
	v_cmp_eq_u32_e32 vcc, 2, v130
	v_cndmask_b32_e32 v133, v133, v36, vcc
	v_cmp_eq_u32_e32 vcc, 0, v65
	v_cmp_eq_u32_e64 s[2:3], 3, v130
	v_cndmask_b32_e64 v133, v133, v37, s[2:3]
	s_or_b64 s[10:11], vcc, s[10:11]
	v_cmp_eq_u32_e32 vcc, 4, v130
	v_cndmask_b32_e32 v133, v133, v38, vcc
	v_cmp_eq_u32_e32 vcc, 5, v130
	v_cndmask_b32_e32 v133, v133, v39, vcc
	;; [unrolled: 2-line block ×22, first 2 shown]
	v_cmp_eq_u32_e32 vcc, 26, v130
	ds_read_b32 v134, v131
	v_cndmask_b32_e32 v133, v133, v60, vcc
	v_cmp_eq_u32_e32 vcc, 27, v130
	v_cndmask_b32_e32 v133, v133, v61, vcc
	v_cmp_eq_u32_e32 vcc, 28, v130
	;; [unrolled: 2-line block ×4, first 2 shown]
	v_add_co_u32_e64 v130, s[2:3], 1, v130
	v_cndmask_b32_e32 v133, v133, v64, vcc
	v_add_u32_e32 v131, 4, v131
	v_addc_co_u32_e64 v132, s[2:3], 0, v132, s[2:3]
	s_waitcnt lgkmcnt(0)
	v_fmac_f32_e32 v129, v133, v134
	s_andn2_b64 exec, exec, s[10:11]
	s_cbranch_execnz .LBB94_301
; %bb.302:
	s_or_b64 exec, exec, s[10:11]
.LBB94_303:
	s_or_b64 exec, exec, s[8:9]
.LBB94_304:
	s_or_b64 exec, exec, s[6:7]
	v_mov_b32_e32 v44, 0
	ds_read_b32 v44, v44 offset:40
	s_waitcnt lgkmcnt(0)
	v_mul_f32_e32 v44, v129, v44
.LBB94_305:
	s_or_b64 exec, exec, s[4:5]
	v_cmp_lt_u32_e64 s[2:3], 9, v0
	ds_write_b32 v128, v43
	s_waitcnt lgkmcnt(0)
	; wave barrier
	s_and_saveexec_b64 s[4:5], s[2:3]
	s_cbranch_execz .LBB94_321
; %bb.306:
	s_andn2_b64 vcc, exec, s[66:67]
	s_cbranch_vccnz .LBB94_308
; %bb.307:
	v_cmp_eq_u32_e32 vcc, 1, v0
	v_cndmask_b32_e32 v129, v34, v35, vcc
	v_cmp_eq_u32_e32 vcc, 2, v0
	v_cndmask_b32_e32 v129, v129, v36, vcc
	;; [unrolled: 2-line block ×26, first 2 shown]
	v_cmp_eq_u32_e32 vcc, 27, v0
	ds_read_b32 v130, v128
	v_cndmask_b32_e32 v129, v129, v61, vcc
	v_cmp_eq_u32_e32 vcc, 28, v0
	v_cndmask_b32_e32 v129, v129, v62, vcc
	v_cmp_eq_u32_e32 vcc, 29, v0
	v_cndmask_b32_e32 v129, v129, v63, vcc
	v_cmp_eq_u32_e32 vcc, 30, v0
	v_cndmask_b32_e32 v129, v129, v64, vcc
	s_waitcnt lgkmcnt(0)
	v_mul_f32_e32 v129, v129, v130
	s_cbranch_execz .LBB94_309
	s_branch .LBB94_310
.LBB94_308:
                                        ; implicit-def: $vgpr129
.LBB94_309:
	ds_read_b32 v129, v128
.LBB94_310:
	s_and_saveexec_b64 s[6:7], s[0:1]
	s_cbranch_execz .LBB94_320
; %bb.311:
	v_add_u32_e32 v130, -11, v0
	v_add_u32_e32 v131, -10, v0
	v_cmp_lt_u32_e32 vcc, 6, v130
	v_mov_b32_e32 v130, 10
	s_and_saveexec_b64 s[0:1], vcc
	s_cbranch_execz .LBB94_315
; %bb.312:
	v_and_b32_e32 v130, -8, v131
	v_sub_u32_e32 v132, 0, v130
	s_mov_b64 s[8:9], 17
	s_movk_i32 s12, 0xa8
	s_mov_b64 s[10:11], 0
.LBB94_313:                             ; =>This Inner Loop Header: Depth=1
	s_add_i32 s13, s8, -7
	v_mov_b32_e32 v130, s12
	s_add_i32 s14, s8, -6
	s_set_gpr_idx_on s13, gpr_idx(SRC0)
	v_mov_b32_e32 v141, v34
	s_set_gpr_idx_off
	ds_read2_b64 v[133:136], v130 offset1:1
	s_add_i32 s15, s8, -5
	s_set_gpr_idx_on s14, gpr_idx(SRC0)
	v_mov_b32_e32 v142, v34
	s_set_gpr_idx_off
	s_add_i32 s16, s8, -4
	s_set_gpr_idx_on s15, gpr_idx(SRC0)
	v_mov_b32_e32 v143, v34
	s_set_gpr_idx_off
	;; [unrolled: 4-line block ×4, first 2 shown]
	ds_read2_b64 v[137:140], v130 offset0:2 offset1:3
	s_add_i32 s19, s8, -1
	s_waitcnt lgkmcnt(1)
	v_fmac_f32_e32 v129, v141, v133
	s_set_gpr_idx_on s18, gpr_idx(SRC0)
	v_mov_b32_e32 v133, v34
	s_set_gpr_idx_off
	v_fmac_f32_e32 v129, v142, v134
	s_set_gpr_idx_on s19, gpr_idx(SRC0)
	v_mov_b32_e32 v134, v34
	s_set_gpr_idx_off
	;; [unrolled: 4-line block ×3, first 2 shown]
	v_fmac_f32_e32 v129, v144, v136
	s_add_u32 s8, s8, 8
	s_waitcnt lgkmcnt(0)
	v_fmac_f32_e32 v129, v145, v137
	v_add_u32_e32 v130, s8, v132
	v_fmac_f32_e32 v129, v133, v138
	s_addc_u32 s9, s9, 0
	s_add_i32 s12, s12, 32
	s_add_i32 s13, s8, -7
	v_cmp_eq_u32_e32 vcc, 17, v130
	v_fmac_f32_e32 v129, v134, v139
	v_mov_b32_e32 v130, s13
	s_or_b64 s[10:11], vcc, s[10:11]
	v_fmac_f32_e32 v129, v135, v140
	s_andn2_b64 exec, exec, s[10:11]
	s_cbranch_execnz .LBB94_313
; %bb.314:
	s_or_b64 exec, exec, s[10:11]
.LBB94_315:
	s_or_b64 exec, exec, s[0:1]
	v_and_b32_e32 v65, 7, v131
	v_cmp_ne_u32_e32 vcc, 0, v65
	s_and_saveexec_b64 s[8:9], vcc
	s_cbranch_execz .LBB94_319
; %bb.316:
	v_mov_b32_e32 v131, 0x80
	v_lshl_add_u32 v131, v130, 2, v131
	v_mov_b32_e32 v132, 0
	s_mov_b64 s[10:11], 0
.LBB94_317:                             ; =>This Inner Loop Header: Depth=1
	v_cmp_eq_u32_e32 vcc, 1, v130
	v_cndmask_b32_e32 v133, v34, v35, vcc
	v_add_u32_e32 v65, -1, v65
	v_cmp_eq_u32_e32 vcc, 2, v130
	v_cndmask_b32_e32 v133, v133, v36, vcc
	v_cmp_eq_u32_e32 vcc, 0, v65
	v_cmp_eq_u32_e64 s[0:1], 3, v130
	v_cndmask_b32_e64 v133, v133, v37, s[0:1]
	s_or_b64 s[10:11], vcc, s[10:11]
	v_cmp_eq_u32_e32 vcc, 4, v130
	v_cndmask_b32_e32 v133, v133, v38, vcc
	v_cmp_eq_u32_e32 vcc, 5, v130
	v_cndmask_b32_e32 v133, v133, v39, vcc
	;; [unrolled: 2-line block ×22, first 2 shown]
	v_cmp_eq_u32_e32 vcc, 26, v130
	ds_read_b32 v134, v131
	v_cndmask_b32_e32 v133, v133, v60, vcc
	v_cmp_eq_u32_e32 vcc, 27, v130
	v_cndmask_b32_e32 v133, v133, v61, vcc
	v_cmp_eq_u32_e32 vcc, 28, v130
	;; [unrolled: 2-line block ×4, first 2 shown]
	v_add_co_u32_e64 v130, s[0:1], 1, v130
	v_cndmask_b32_e32 v133, v133, v64, vcc
	v_add_u32_e32 v131, 4, v131
	v_addc_co_u32_e64 v132, s[0:1], 0, v132, s[0:1]
	s_waitcnt lgkmcnt(0)
	v_fmac_f32_e32 v129, v133, v134
	s_andn2_b64 exec, exec, s[10:11]
	s_cbranch_execnz .LBB94_317
; %bb.318:
	s_or_b64 exec, exec, s[10:11]
.LBB94_319:
	s_or_b64 exec, exec, s[8:9]
.LBB94_320:
	s_or_b64 exec, exec, s[6:7]
	v_mov_b32_e32 v43, 0
	ds_read_b32 v43, v43 offset:36
	s_waitcnt lgkmcnt(0)
	v_mul_f32_e32 v43, v129, v43
.LBB94_321:
	s_or_b64 exec, exec, s[4:5]
	v_cmp_lt_u32_e64 s[0:1], 8, v0
	ds_write_b32 v128, v42
	s_waitcnt lgkmcnt(0)
	; wave barrier
	s_and_saveexec_b64 s[4:5], s[0:1]
	s_cbranch_execz .LBB94_337
; %bb.322:
	s_andn2_b64 vcc, exec, s[66:67]
	s_cbranch_vccnz .LBB94_324
; %bb.323:
	v_cmp_eq_u32_e32 vcc, 1, v0
	v_cndmask_b32_e32 v129, v34, v35, vcc
	v_cmp_eq_u32_e32 vcc, 2, v0
	v_cndmask_b32_e32 v129, v129, v36, vcc
	;; [unrolled: 2-line block ×26, first 2 shown]
	v_cmp_eq_u32_e32 vcc, 27, v0
	ds_read_b32 v130, v128
	v_cndmask_b32_e32 v129, v129, v61, vcc
	v_cmp_eq_u32_e32 vcc, 28, v0
	v_cndmask_b32_e32 v129, v129, v62, vcc
	v_cmp_eq_u32_e32 vcc, 29, v0
	;; [unrolled: 2-line block ×3, first 2 shown]
	v_cndmask_b32_e32 v129, v129, v64, vcc
	s_waitcnt lgkmcnt(0)
	v_mul_f32_e32 v129, v129, v130
	s_cbranch_execz .LBB94_325
	s_branch .LBB94_326
.LBB94_324:
                                        ; implicit-def: $vgpr129
.LBB94_325:
	ds_read_b32 v129, v128
.LBB94_326:
	s_and_saveexec_b64 s[6:7], s[2:3]
	s_cbranch_execz .LBB94_336
; %bb.327:
	v_add_u32_e32 v130, -10, v0
	v_add_u32_e32 v131, -9, v0
	v_cmp_lt_u32_e32 vcc, 6, v130
	v_mov_b32_e32 v130, 9
	s_and_saveexec_b64 s[2:3], vcc
	s_cbranch_execz .LBB94_331
; %bb.328:
	v_and_b32_e32 v130, -8, v131
	v_sub_u32_e32 v132, 0, v130
	s_mov_b64 s[8:9], 16
	s_movk_i32 s12, 0xa4
	s_mov_b64 s[10:11], 0
.LBB94_329:                             ; =>This Inner Loop Header: Depth=1
	s_add_i32 s13, s8, -7
	v_mov_b32_e32 v130, s12
	s_add_i32 s14, s8, -6
	s_set_gpr_idx_on s13, gpr_idx(SRC0)
	v_mov_b32_e32 v139, v34
	s_set_gpr_idx_off
	ds_read2_b32 v[133:134], v130 offset1:1
	s_add_i32 s15, s8, -5
	s_set_gpr_idx_on s14, gpr_idx(SRC0)
	v_mov_b32_e32 v140, v34
	s_set_gpr_idx_off
	s_add_i32 s16, s8, -4
	s_set_gpr_idx_on s15, gpr_idx(SRC0)
	v_mov_b32_e32 v141, v34
	s_set_gpr_idx_off
	ds_read2_b32 v[135:136], v130 offset0:2 offset1:3
	s_add_i32 s17, s8, -3
	s_set_gpr_idx_on s16, gpr_idx(SRC0)
	v_mov_b32_e32 v142, v34
	s_set_gpr_idx_off
	s_add_i32 s18, s8, -2
	s_set_gpr_idx_on s17, gpr_idx(SRC0)
	v_mov_b32_e32 v143, v34
	s_set_gpr_idx_off
	ds_read2_b32 v[137:138], v130 offset0:4 offset1:5
	s_add_i32 s19, s8, -1
	s_waitcnt lgkmcnt(2)
	v_fmac_f32_e32 v129, v139, v133
	s_set_gpr_idx_on s18, gpr_idx(SRC0)
	v_mov_b32_e32 v139, v34
	s_set_gpr_idx_off
	v_fmac_f32_e32 v129, v140, v134
	s_set_gpr_idx_on s19, gpr_idx(SRC0)
	v_mov_b32_e32 v140, v34
	s_set_gpr_idx_off
	ds_read2_b32 v[133:134], v130 offset0:6 offset1:7
	s_waitcnt lgkmcnt(2)
	v_fmac_f32_e32 v129, v141, v135
	s_set_gpr_idx_on s8, gpr_idx(SRC0)
	v_mov_b32_e32 v135, v34
	s_set_gpr_idx_off
	v_fmac_f32_e32 v129, v142, v136
	s_add_u32 s8, s8, 8
	s_waitcnt lgkmcnt(1)
	v_fmac_f32_e32 v129, v143, v137
	v_add_u32_e32 v130, s8, v132
	v_fmac_f32_e32 v129, v139, v138
	s_addc_u32 s9, s9, 0
	s_add_i32 s12, s12, 32
	s_add_i32 s13, s8, -7
	v_cmp_eq_u32_e32 vcc, 16, v130
	s_waitcnt lgkmcnt(0)
	v_fmac_f32_e32 v129, v140, v133
	v_mov_b32_e32 v130, s13
	s_or_b64 s[10:11], vcc, s[10:11]
	v_fmac_f32_e32 v129, v135, v134
	s_andn2_b64 exec, exec, s[10:11]
	s_cbranch_execnz .LBB94_329
; %bb.330:
	s_or_b64 exec, exec, s[10:11]
.LBB94_331:
	s_or_b64 exec, exec, s[2:3]
	v_and_b32_e32 v65, 7, v131
	v_cmp_ne_u32_e32 vcc, 0, v65
	s_and_saveexec_b64 s[8:9], vcc
	s_cbranch_execz .LBB94_335
; %bb.332:
	v_mov_b32_e32 v131, 0x80
	v_lshl_add_u32 v131, v130, 2, v131
	v_mov_b32_e32 v132, 0
	s_mov_b64 s[10:11], 0
.LBB94_333:                             ; =>This Inner Loop Header: Depth=1
	v_cmp_eq_u32_e32 vcc, 1, v130
	v_cndmask_b32_e32 v133, v34, v35, vcc
	v_add_u32_e32 v65, -1, v65
	v_cmp_eq_u32_e32 vcc, 2, v130
	v_cndmask_b32_e32 v133, v133, v36, vcc
	v_cmp_eq_u32_e32 vcc, 0, v65
	v_cmp_eq_u32_e64 s[2:3], 3, v130
	v_cndmask_b32_e64 v133, v133, v37, s[2:3]
	s_or_b64 s[10:11], vcc, s[10:11]
	v_cmp_eq_u32_e32 vcc, 4, v130
	v_cndmask_b32_e32 v133, v133, v38, vcc
	v_cmp_eq_u32_e32 vcc, 5, v130
	v_cndmask_b32_e32 v133, v133, v39, vcc
	v_cmp_eq_u32_e32 vcc, 6, v130
	v_cndmask_b32_e32 v133, v133, v40, vcc
	v_cmp_eq_u32_e32 vcc, 7, v130
	v_cndmask_b32_e32 v133, v133, v41, vcc
	v_cmp_eq_u32_e32 vcc, 8, v130
	v_cndmask_b32_e32 v133, v133, v42, vcc
	v_cmp_eq_u32_e32 vcc, 9, v130
	v_cndmask_b32_e32 v133, v133, v43, vcc
	v_cmp_eq_u32_e32 vcc, 10, v130
	v_cndmask_b32_e32 v133, v133, v44, vcc
	v_cmp_eq_u32_e32 vcc, 11, v130
	v_cndmask_b32_e32 v133, v133, v45, vcc
	v_cmp_eq_u32_e32 vcc, 12, v130
	v_cndmask_b32_e32 v133, v133, v46, vcc
	v_cmp_eq_u32_e32 vcc, 13, v130
	v_cndmask_b32_e32 v133, v133, v47, vcc
	v_cmp_eq_u32_e32 vcc, 14, v130
	v_cndmask_b32_e32 v133, v133, v48, vcc
	v_cmp_eq_u32_e32 vcc, 15, v130
	v_cndmask_b32_e32 v133, v133, v49, vcc
	v_cmp_eq_u32_e32 vcc, 16, v130
	v_cndmask_b32_e32 v133, v133, v50, vcc
	v_cmp_eq_u32_e32 vcc, 17, v130
	v_cndmask_b32_e32 v133, v133, v51, vcc
	v_cmp_eq_u32_e32 vcc, 18, v130
	v_cndmask_b32_e32 v133, v133, v52, vcc
	v_cmp_eq_u32_e32 vcc, 19, v130
	v_cndmask_b32_e32 v133, v133, v53, vcc
	v_cmp_eq_u32_e32 vcc, 20, v130
	v_cndmask_b32_e32 v133, v133, v54, vcc
	v_cmp_eq_u32_e32 vcc, 21, v130
	v_cndmask_b32_e32 v133, v133, v55, vcc
	v_cmp_eq_u32_e32 vcc, 22, v130
	v_cndmask_b32_e32 v133, v133, v56, vcc
	v_cmp_eq_u32_e32 vcc, 23, v130
	v_cndmask_b32_e32 v133, v133, v57, vcc
	v_cmp_eq_u32_e32 vcc, 24, v130
	v_cndmask_b32_e32 v133, v133, v58, vcc
	v_cmp_eq_u32_e32 vcc, 25, v130
	v_cndmask_b32_e32 v133, v133, v59, vcc
	v_cmp_eq_u32_e32 vcc, 26, v130
	ds_read_b32 v134, v131
	v_cndmask_b32_e32 v133, v133, v60, vcc
	v_cmp_eq_u32_e32 vcc, 27, v130
	v_cndmask_b32_e32 v133, v133, v61, vcc
	v_cmp_eq_u32_e32 vcc, 28, v130
	;; [unrolled: 2-line block ×4, first 2 shown]
	v_add_co_u32_e64 v130, s[2:3], 1, v130
	v_cndmask_b32_e32 v133, v133, v64, vcc
	v_add_u32_e32 v131, 4, v131
	v_addc_co_u32_e64 v132, s[2:3], 0, v132, s[2:3]
	s_waitcnt lgkmcnt(0)
	v_fmac_f32_e32 v129, v133, v134
	s_andn2_b64 exec, exec, s[10:11]
	s_cbranch_execnz .LBB94_333
; %bb.334:
	s_or_b64 exec, exec, s[10:11]
.LBB94_335:
	s_or_b64 exec, exec, s[8:9]
.LBB94_336:
	s_or_b64 exec, exec, s[6:7]
	v_mov_b32_e32 v42, 0
	ds_read_b32 v42, v42 offset:32
	s_waitcnt lgkmcnt(0)
	v_mul_f32_e32 v42, v129, v42
.LBB94_337:
	s_or_b64 exec, exec, s[4:5]
	v_cmp_lt_u32_e64 s[2:3], 7, v0
	ds_write_b32 v128, v41
	s_waitcnt lgkmcnt(0)
	; wave barrier
	s_and_saveexec_b64 s[4:5], s[2:3]
	s_cbranch_execz .LBB94_353
; %bb.338:
	s_andn2_b64 vcc, exec, s[66:67]
	s_cbranch_vccnz .LBB94_340
; %bb.339:
	v_cmp_eq_u32_e32 vcc, 1, v0
	v_cndmask_b32_e32 v129, v34, v35, vcc
	v_cmp_eq_u32_e32 vcc, 2, v0
	v_cndmask_b32_e32 v129, v129, v36, vcc
	;; [unrolled: 2-line block ×26, first 2 shown]
	v_cmp_eq_u32_e32 vcc, 27, v0
	ds_read_b32 v130, v128
	v_cndmask_b32_e32 v129, v129, v61, vcc
	v_cmp_eq_u32_e32 vcc, 28, v0
	v_cndmask_b32_e32 v129, v129, v62, vcc
	v_cmp_eq_u32_e32 vcc, 29, v0
	;; [unrolled: 2-line block ×3, first 2 shown]
	v_cndmask_b32_e32 v129, v129, v64, vcc
	s_waitcnt lgkmcnt(0)
	v_mul_f32_e32 v129, v129, v130
	s_cbranch_execz .LBB94_341
	s_branch .LBB94_342
.LBB94_340:
                                        ; implicit-def: $vgpr129
.LBB94_341:
	ds_read_b32 v129, v128
.LBB94_342:
	s_and_saveexec_b64 s[6:7], s[0:1]
	s_cbranch_execz .LBB94_352
; %bb.343:
	v_add_u32_e32 v130, -9, v0
	v_cmp_lt_u32_e32 vcc, 6, v130
	v_mov_b32_e32 v130, 8
	s_and_saveexec_b64 s[0:1], vcc
	s_cbranch_execz .LBB94_347
; %bb.344:
	v_and_b32_e32 v130, 24, v0
	v_sub_u32_e32 v131, 0, v130
	s_mov_b64 s[8:9], 15
	s_movk_i32 s12, 0xa0
	s_mov_b64 s[10:11], 0
.LBB94_345:                             ; =>This Inner Loop Header: Depth=1
	s_add_i32 s13, s8, -7
	v_mov_b32_e32 v130, s12
	s_add_i32 s14, s8, -6
	s_set_gpr_idx_on s13, gpr_idx(SRC0)
	v_mov_b32_e32 v140, v34
	s_set_gpr_idx_off
	s_add_i32 s15, s8, -5
	ds_read_b128 v[132:135], v130
	ds_read_b128 v[136:139], v130 offset:16
	s_set_gpr_idx_on s14, gpr_idx(SRC0)
	v_mov_b32_e32 v130, v34
	s_set_gpr_idx_off
	s_add_i32 s16, s8, -4
	s_set_gpr_idx_on s15, gpr_idx(SRC0)
	v_mov_b32_e32 v141, v34
	s_set_gpr_idx_off
	s_add_i32 s17, s8, -3
	;; [unrolled: 4-line block ×4, first 2 shown]
	s_waitcnt lgkmcnt(1)
	v_fmac_f32_e32 v129, v140, v132
	s_set_gpr_idx_on s18, gpr_idx(SRC0)
	v_mov_b32_e32 v132, v34
	s_set_gpr_idx_off
	v_fmac_f32_e32 v129, v130, v133
	s_set_gpr_idx_on s19, gpr_idx(SRC0)
	v_mov_b32_e32 v133, v34
	s_set_gpr_idx_off
	v_fmac_f32_e32 v129, v141, v134
	s_set_gpr_idx_on s8, gpr_idx(SRC0)
	v_mov_b32_e32 v134, v34
	s_set_gpr_idx_off
	v_fmac_f32_e32 v129, v142, v135
	s_add_u32 s8, s8, 8
	s_waitcnt lgkmcnt(0)
	v_fmac_f32_e32 v129, v143, v136
	v_add_u32_e32 v130, s8, v131
	v_fmac_f32_e32 v129, v132, v137
	s_addc_u32 s9, s9, 0
	s_add_i32 s12, s12, 32
	s_add_i32 s13, s8, -7
	v_cmp_eq_u32_e32 vcc, 7, v130
	v_fmac_f32_e32 v129, v133, v138
	v_mov_b32_e32 v130, s13
	s_or_b64 s[10:11], vcc, s[10:11]
	v_fmac_f32_e32 v129, v134, v139
	s_andn2_b64 exec, exec, s[10:11]
	s_cbranch_execnz .LBB94_345
; %bb.346:
	s_or_b64 exec, exec, s[10:11]
.LBB94_347:
	s_or_b64 exec, exec, s[0:1]
	v_and_b32_e32 v65, 7, v0
	v_cmp_ne_u32_e32 vcc, 0, v65
	s_and_saveexec_b64 s[8:9], vcc
	s_cbranch_execz .LBB94_351
; %bb.348:
	v_mov_b32_e32 v131, 0x80
	v_lshl_add_u32 v131, v130, 2, v131
	v_mov_b32_e32 v132, 0
	s_mov_b64 s[10:11], 0
.LBB94_349:                             ; =>This Inner Loop Header: Depth=1
	v_cmp_eq_u32_e32 vcc, 1, v130
	v_cndmask_b32_e32 v133, v34, v35, vcc
	v_add_u32_e32 v65, -1, v65
	v_cmp_eq_u32_e32 vcc, 2, v130
	v_cndmask_b32_e32 v133, v133, v36, vcc
	v_cmp_eq_u32_e32 vcc, 0, v65
	v_cmp_eq_u32_e64 s[0:1], 3, v130
	v_cndmask_b32_e64 v133, v133, v37, s[0:1]
	s_or_b64 s[10:11], vcc, s[10:11]
	v_cmp_eq_u32_e32 vcc, 4, v130
	v_cndmask_b32_e32 v133, v133, v38, vcc
	v_cmp_eq_u32_e32 vcc, 5, v130
	v_cndmask_b32_e32 v133, v133, v39, vcc
	;; [unrolled: 2-line block ×22, first 2 shown]
	v_cmp_eq_u32_e32 vcc, 26, v130
	ds_read_b32 v134, v131
	v_cndmask_b32_e32 v133, v133, v60, vcc
	v_cmp_eq_u32_e32 vcc, 27, v130
	v_cndmask_b32_e32 v133, v133, v61, vcc
	v_cmp_eq_u32_e32 vcc, 28, v130
	;; [unrolled: 2-line block ×4, first 2 shown]
	v_add_co_u32_e64 v130, s[0:1], 1, v130
	v_cndmask_b32_e32 v133, v133, v64, vcc
	v_add_u32_e32 v131, 4, v131
	v_addc_co_u32_e64 v132, s[0:1], 0, v132, s[0:1]
	s_waitcnt lgkmcnt(0)
	v_fmac_f32_e32 v129, v133, v134
	s_andn2_b64 exec, exec, s[10:11]
	s_cbranch_execnz .LBB94_349
; %bb.350:
	s_or_b64 exec, exec, s[10:11]
.LBB94_351:
	s_or_b64 exec, exec, s[8:9]
.LBB94_352:
	s_or_b64 exec, exec, s[6:7]
	v_mov_b32_e32 v41, 0
	ds_read_b32 v41, v41 offset:28
	s_waitcnt lgkmcnt(0)
	v_mul_f32_e32 v41, v129, v41
.LBB94_353:
	s_or_b64 exec, exec, s[4:5]
	v_cmp_lt_u32_e64 s[0:1], 6, v0
	ds_write_b32 v128, v40
	s_waitcnt lgkmcnt(0)
	; wave barrier
	s_and_saveexec_b64 s[4:5], s[0:1]
	s_cbranch_execz .LBB94_369
; %bb.354:
	s_andn2_b64 vcc, exec, s[66:67]
	s_cbranch_vccnz .LBB94_356
; %bb.355:
	v_cmp_eq_u32_e32 vcc, 1, v0
	v_cndmask_b32_e32 v129, v34, v35, vcc
	v_cmp_eq_u32_e32 vcc, 2, v0
	v_cndmask_b32_e32 v129, v129, v36, vcc
	;; [unrolled: 2-line block ×26, first 2 shown]
	v_cmp_eq_u32_e32 vcc, 27, v0
	ds_read_b32 v130, v128
	v_cndmask_b32_e32 v129, v129, v61, vcc
	v_cmp_eq_u32_e32 vcc, 28, v0
	v_cndmask_b32_e32 v129, v129, v62, vcc
	v_cmp_eq_u32_e32 vcc, 29, v0
	;; [unrolled: 2-line block ×3, first 2 shown]
	v_cndmask_b32_e32 v129, v129, v64, vcc
	s_waitcnt lgkmcnt(0)
	v_mul_f32_e32 v129, v129, v130
	s_cbranch_execz .LBB94_357
	s_branch .LBB94_358
.LBB94_356:
                                        ; implicit-def: $vgpr129
.LBB94_357:
	ds_read_b32 v129, v128
.LBB94_358:
	s_and_saveexec_b64 s[6:7], s[2:3]
	s_cbranch_execz .LBB94_368
; %bb.359:
	v_add_u32_e32 v130, -8, v0
	v_add_u32_e32 v131, -7, v0
	v_cmp_lt_u32_e32 vcc, 6, v130
	v_mov_b32_e32 v130, 7
	s_and_saveexec_b64 s[2:3], vcc
	s_cbranch_execz .LBB94_363
; %bb.360:
	v_and_b32_e32 v130, -8, v131
	v_sub_u32_e32 v132, 0, v130
	s_mov_b64 s[8:9], 14
	s_movk_i32 s12, 0x9c
	s_mov_b64 s[10:11], 0
.LBB94_361:                             ; =>This Inner Loop Header: Depth=1
	s_add_i32 s13, s8, -7
	v_mov_b32_e32 v130, s12
	s_add_i32 s14, s8, -6
	s_set_gpr_idx_on s13, gpr_idx(SRC0)
	v_mov_b32_e32 v139, v34
	s_set_gpr_idx_off
	ds_read2_b32 v[133:134], v130 offset1:1
	s_add_i32 s15, s8, -5
	s_set_gpr_idx_on s14, gpr_idx(SRC0)
	v_mov_b32_e32 v140, v34
	s_set_gpr_idx_off
	s_add_i32 s16, s8, -4
	s_set_gpr_idx_on s15, gpr_idx(SRC0)
	v_mov_b32_e32 v141, v34
	s_set_gpr_idx_off
	ds_read2_b32 v[135:136], v130 offset0:2 offset1:3
	s_add_i32 s17, s8, -3
	s_set_gpr_idx_on s16, gpr_idx(SRC0)
	v_mov_b32_e32 v142, v34
	s_set_gpr_idx_off
	s_add_i32 s18, s8, -2
	s_set_gpr_idx_on s17, gpr_idx(SRC0)
	v_mov_b32_e32 v143, v34
	s_set_gpr_idx_off
	ds_read2_b32 v[137:138], v130 offset0:4 offset1:5
	s_add_i32 s19, s8, -1
	s_waitcnt lgkmcnt(2)
	v_fmac_f32_e32 v129, v139, v133
	s_set_gpr_idx_on s18, gpr_idx(SRC0)
	v_mov_b32_e32 v139, v34
	s_set_gpr_idx_off
	v_fmac_f32_e32 v129, v140, v134
	s_set_gpr_idx_on s19, gpr_idx(SRC0)
	v_mov_b32_e32 v140, v34
	s_set_gpr_idx_off
	ds_read2_b32 v[133:134], v130 offset0:6 offset1:7
	s_waitcnt lgkmcnt(2)
	v_fmac_f32_e32 v129, v141, v135
	s_set_gpr_idx_on s8, gpr_idx(SRC0)
	v_mov_b32_e32 v135, v34
	s_set_gpr_idx_off
	v_fmac_f32_e32 v129, v142, v136
	s_add_u32 s8, s8, 8
	s_waitcnt lgkmcnt(1)
	v_fmac_f32_e32 v129, v143, v137
	v_add_u32_e32 v130, s8, v132
	v_fmac_f32_e32 v129, v139, v138
	s_addc_u32 s9, s9, 0
	s_add_i32 s12, s12, 32
	s_add_i32 s13, s8, -7
	v_cmp_eq_u32_e32 vcc, 14, v130
	s_waitcnt lgkmcnt(0)
	v_fmac_f32_e32 v129, v140, v133
	v_mov_b32_e32 v130, s13
	s_or_b64 s[10:11], vcc, s[10:11]
	v_fmac_f32_e32 v129, v135, v134
	s_andn2_b64 exec, exec, s[10:11]
	s_cbranch_execnz .LBB94_361
; %bb.362:
	s_or_b64 exec, exec, s[10:11]
.LBB94_363:
	s_or_b64 exec, exec, s[2:3]
	v_and_b32_e32 v65, 7, v131
	v_cmp_ne_u32_e32 vcc, 0, v65
	s_and_saveexec_b64 s[8:9], vcc
	s_cbranch_execz .LBB94_367
; %bb.364:
	v_mov_b32_e32 v131, 0x80
	v_lshl_add_u32 v131, v130, 2, v131
	v_mov_b32_e32 v132, 0
	s_mov_b64 s[10:11], 0
.LBB94_365:                             ; =>This Inner Loop Header: Depth=1
	v_cmp_eq_u32_e32 vcc, 1, v130
	v_cndmask_b32_e32 v133, v34, v35, vcc
	v_add_u32_e32 v65, -1, v65
	v_cmp_eq_u32_e32 vcc, 2, v130
	v_cndmask_b32_e32 v133, v133, v36, vcc
	v_cmp_eq_u32_e32 vcc, 0, v65
	v_cmp_eq_u32_e64 s[2:3], 3, v130
	v_cndmask_b32_e64 v133, v133, v37, s[2:3]
	s_or_b64 s[10:11], vcc, s[10:11]
	v_cmp_eq_u32_e32 vcc, 4, v130
	v_cndmask_b32_e32 v133, v133, v38, vcc
	v_cmp_eq_u32_e32 vcc, 5, v130
	v_cndmask_b32_e32 v133, v133, v39, vcc
	;; [unrolled: 2-line block ×22, first 2 shown]
	v_cmp_eq_u32_e32 vcc, 26, v130
	ds_read_b32 v134, v131
	v_cndmask_b32_e32 v133, v133, v60, vcc
	v_cmp_eq_u32_e32 vcc, 27, v130
	v_cndmask_b32_e32 v133, v133, v61, vcc
	v_cmp_eq_u32_e32 vcc, 28, v130
	;; [unrolled: 2-line block ×4, first 2 shown]
	v_add_co_u32_e64 v130, s[2:3], 1, v130
	v_cndmask_b32_e32 v133, v133, v64, vcc
	v_add_u32_e32 v131, 4, v131
	v_addc_co_u32_e64 v132, s[2:3], 0, v132, s[2:3]
	s_waitcnt lgkmcnt(0)
	v_fmac_f32_e32 v129, v133, v134
	s_andn2_b64 exec, exec, s[10:11]
	s_cbranch_execnz .LBB94_365
; %bb.366:
	s_or_b64 exec, exec, s[10:11]
.LBB94_367:
	s_or_b64 exec, exec, s[8:9]
.LBB94_368:
	s_or_b64 exec, exec, s[6:7]
	v_mov_b32_e32 v40, 0
	ds_read_b32 v40, v40 offset:24
	s_waitcnt lgkmcnt(0)
	v_mul_f32_e32 v40, v129, v40
.LBB94_369:
	s_or_b64 exec, exec, s[4:5]
	v_cmp_lt_u32_e64 s[2:3], 5, v0
	ds_write_b32 v128, v39
	s_waitcnt lgkmcnt(0)
	; wave barrier
	s_and_saveexec_b64 s[4:5], s[2:3]
	s_cbranch_execz .LBB94_385
; %bb.370:
	s_andn2_b64 vcc, exec, s[66:67]
	s_cbranch_vccnz .LBB94_372
; %bb.371:
	v_cmp_eq_u32_e32 vcc, 1, v0
	v_cndmask_b32_e32 v129, v34, v35, vcc
	v_cmp_eq_u32_e32 vcc, 2, v0
	v_cndmask_b32_e32 v129, v129, v36, vcc
	;; [unrolled: 2-line block ×26, first 2 shown]
	v_cmp_eq_u32_e32 vcc, 27, v0
	ds_read_b32 v130, v128
	v_cndmask_b32_e32 v129, v129, v61, vcc
	v_cmp_eq_u32_e32 vcc, 28, v0
	v_cndmask_b32_e32 v129, v129, v62, vcc
	v_cmp_eq_u32_e32 vcc, 29, v0
	;; [unrolled: 2-line block ×3, first 2 shown]
	v_cndmask_b32_e32 v129, v129, v64, vcc
	s_waitcnt lgkmcnt(0)
	v_mul_f32_e32 v129, v129, v130
	s_cbranch_execz .LBB94_373
	s_branch .LBB94_374
.LBB94_372:
                                        ; implicit-def: $vgpr129
.LBB94_373:
	ds_read_b32 v129, v128
.LBB94_374:
	s_and_saveexec_b64 s[6:7], s[0:1]
	s_cbranch_execz .LBB94_384
; %bb.375:
	v_add_u32_e32 v132, -7, v0
	v_add_u32_e32 v131, -6, v0
	v_mov_b32_e32 v130, 6
	v_cmp_lt_u32_e32 vcc, 6, v132
	s_and_saveexec_b64 s[0:1], vcc
	s_cbranch_execz .LBB94_379
; %bb.376:
	v_and_b32_e32 v130, -8, v131
	v_sub_u32_e32 v132, 0, v130
	s_mov_b64 s[8:9], 13
	s_movk_i32 s12, 0x98
	s_mov_b64 s[10:11], 0
.LBB94_377:                             ; =>This Inner Loop Header: Depth=1
	s_add_i32 s13, s8, -7
	v_mov_b32_e32 v130, s12
	s_add_i32 s14, s8, -6
	s_set_gpr_idx_on s13, gpr_idx(SRC0)
	v_mov_b32_e32 v141, v34
	s_set_gpr_idx_off
	ds_read2_b64 v[133:136], v130 offset1:1
	s_add_i32 s15, s8, -5
	s_set_gpr_idx_on s14, gpr_idx(SRC0)
	v_mov_b32_e32 v142, v34
	s_set_gpr_idx_off
	s_add_i32 s16, s8, -4
	s_set_gpr_idx_on s15, gpr_idx(SRC0)
	v_mov_b32_e32 v143, v34
	s_set_gpr_idx_off
	;; [unrolled: 4-line block ×4, first 2 shown]
	ds_read2_b64 v[137:140], v130 offset0:2 offset1:3
	s_add_i32 s19, s8, -1
	s_waitcnt lgkmcnt(1)
	v_fmac_f32_e32 v129, v141, v133
	s_set_gpr_idx_on s18, gpr_idx(SRC0)
	v_mov_b32_e32 v133, v34
	s_set_gpr_idx_off
	v_fmac_f32_e32 v129, v142, v134
	s_set_gpr_idx_on s19, gpr_idx(SRC0)
	v_mov_b32_e32 v134, v34
	s_set_gpr_idx_off
	;; [unrolled: 4-line block ×3, first 2 shown]
	v_fmac_f32_e32 v129, v144, v136
	s_add_u32 s8, s8, 8
	s_waitcnt lgkmcnt(0)
	v_fmac_f32_e32 v129, v145, v137
	v_add_u32_e32 v130, s8, v132
	v_fmac_f32_e32 v129, v133, v138
	s_addc_u32 s9, s9, 0
	s_add_i32 s12, s12, 32
	s_add_i32 s13, s8, -7
	v_cmp_eq_u32_e32 vcc, 13, v130
	v_fmac_f32_e32 v129, v134, v139
	v_mov_b32_e32 v130, s13
	s_or_b64 s[10:11], vcc, s[10:11]
	v_fmac_f32_e32 v129, v135, v140
	s_andn2_b64 exec, exec, s[10:11]
	s_cbranch_execnz .LBB94_377
; %bb.378:
	s_or_b64 exec, exec, s[10:11]
.LBB94_379:
	s_or_b64 exec, exec, s[0:1]
	v_and_b32_e32 v65, 7, v131
	v_cmp_ne_u32_e32 vcc, 0, v65
	s_and_saveexec_b64 s[8:9], vcc
	s_cbranch_execz .LBB94_383
; %bb.380:
	v_mov_b32_e32 v131, 0x80
	v_lshl_add_u32 v131, v130, 2, v131
	v_mov_b32_e32 v132, 0
	s_mov_b64 s[10:11], 0
.LBB94_381:                             ; =>This Inner Loop Header: Depth=1
	v_cmp_eq_u32_e32 vcc, 1, v130
	v_cndmask_b32_e32 v133, v34, v35, vcc
	v_add_u32_e32 v65, -1, v65
	v_cmp_eq_u32_e32 vcc, 2, v130
	v_cndmask_b32_e32 v133, v133, v36, vcc
	v_cmp_eq_u32_e32 vcc, 0, v65
	v_cmp_eq_u32_e64 s[0:1], 3, v130
	v_cndmask_b32_e64 v133, v133, v37, s[0:1]
	s_or_b64 s[10:11], vcc, s[10:11]
	v_cmp_eq_u32_e32 vcc, 4, v130
	v_cndmask_b32_e32 v133, v133, v38, vcc
	v_cmp_eq_u32_e32 vcc, 5, v130
	v_cndmask_b32_e32 v133, v133, v39, vcc
	;; [unrolled: 2-line block ×22, first 2 shown]
	v_cmp_eq_u32_e32 vcc, 26, v130
	ds_read_b32 v134, v131
	v_cndmask_b32_e32 v133, v133, v60, vcc
	v_cmp_eq_u32_e32 vcc, 27, v130
	v_cndmask_b32_e32 v133, v133, v61, vcc
	v_cmp_eq_u32_e32 vcc, 28, v130
	;; [unrolled: 2-line block ×4, first 2 shown]
	v_add_co_u32_e64 v130, s[0:1], 1, v130
	v_cndmask_b32_e32 v133, v133, v64, vcc
	v_add_u32_e32 v131, 4, v131
	v_addc_co_u32_e64 v132, s[0:1], 0, v132, s[0:1]
	s_waitcnt lgkmcnt(0)
	v_fmac_f32_e32 v129, v133, v134
	s_andn2_b64 exec, exec, s[10:11]
	s_cbranch_execnz .LBB94_381
; %bb.382:
	s_or_b64 exec, exec, s[10:11]
.LBB94_383:
	s_or_b64 exec, exec, s[8:9]
.LBB94_384:
	s_or_b64 exec, exec, s[6:7]
	v_mov_b32_e32 v39, 0
	ds_read_b32 v39, v39 offset:20
	s_waitcnt lgkmcnt(0)
	v_mul_f32_e32 v39, v129, v39
.LBB94_385:
	s_or_b64 exec, exec, s[4:5]
	v_cmp_lt_u32_e64 s[0:1], 4, v0
	ds_write_b32 v128, v38
	s_waitcnt lgkmcnt(0)
	; wave barrier
	s_and_saveexec_b64 s[4:5], s[0:1]
	s_cbranch_execz .LBB94_401
; %bb.386:
	s_andn2_b64 vcc, exec, s[66:67]
	s_cbranch_vccnz .LBB94_388
; %bb.387:
	v_cmp_eq_u32_e32 vcc, 1, v0
	v_cndmask_b32_e32 v129, v34, v35, vcc
	v_cmp_eq_u32_e32 vcc, 2, v0
	v_cndmask_b32_e32 v129, v129, v36, vcc
	;; [unrolled: 2-line block ×26, first 2 shown]
	v_cmp_eq_u32_e32 vcc, 27, v0
	ds_read_b32 v130, v128
	v_cndmask_b32_e32 v129, v129, v61, vcc
	v_cmp_eq_u32_e32 vcc, 28, v0
	v_cndmask_b32_e32 v129, v129, v62, vcc
	v_cmp_eq_u32_e32 vcc, 29, v0
	;; [unrolled: 2-line block ×3, first 2 shown]
	v_cndmask_b32_e32 v129, v129, v64, vcc
	s_waitcnt lgkmcnt(0)
	v_mul_f32_e32 v129, v129, v130
	s_cbranch_execz .LBB94_389
	s_branch .LBB94_390
.LBB94_388:
                                        ; implicit-def: $vgpr129
.LBB94_389:
	ds_read_b32 v129, v128
.LBB94_390:
	s_and_saveexec_b64 s[6:7], s[2:3]
	s_cbranch_execz .LBB94_400
; %bb.391:
	v_add_u32_e32 v130, -6, v0
	v_add_u32_e32 v131, -5, v0
	v_cmp_lt_u32_e32 vcc, 6, v130
	v_mov_b32_e32 v130, 5
	s_and_saveexec_b64 s[2:3], vcc
	s_cbranch_execz .LBB94_395
; %bb.392:
	v_and_b32_e32 v130, -8, v131
	v_sub_u32_e32 v132, 0, v130
	s_mov_b64 s[8:9], 12
	s_movk_i32 s12, 0x94
	s_mov_b64 s[10:11], 0
.LBB94_393:                             ; =>This Inner Loop Header: Depth=1
	s_add_i32 s13, s8, -7
	v_mov_b32_e32 v130, s12
	s_add_i32 s14, s8, -6
	s_set_gpr_idx_on s13, gpr_idx(SRC0)
	v_mov_b32_e32 v139, v34
	s_set_gpr_idx_off
	ds_read2_b32 v[133:134], v130 offset1:1
	s_add_i32 s15, s8, -5
	s_set_gpr_idx_on s14, gpr_idx(SRC0)
	v_mov_b32_e32 v140, v34
	s_set_gpr_idx_off
	s_add_i32 s16, s8, -4
	s_set_gpr_idx_on s15, gpr_idx(SRC0)
	v_mov_b32_e32 v141, v34
	s_set_gpr_idx_off
	ds_read2_b32 v[135:136], v130 offset0:2 offset1:3
	s_add_i32 s17, s8, -3
	s_set_gpr_idx_on s16, gpr_idx(SRC0)
	v_mov_b32_e32 v142, v34
	s_set_gpr_idx_off
	s_add_i32 s18, s8, -2
	s_set_gpr_idx_on s17, gpr_idx(SRC0)
	v_mov_b32_e32 v143, v34
	s_set_gpr_idx_off
	ds_read2_b32 v[137:138], v130 offset0:4 offset1:5
	s_add_i32 s19, s8, -1
	s_waitcnt lgkmcnt(2)
	v_fmac_f32_e32 v129, v139, v133
	s_set_gpr_idx_on s18, gpr_idx(SRC0)
	v_mov_b32_e32 v139, v34
	s_set_gpr_idx_off
	v_fmac_f32_e32 v129, v140, v134
	s_set_gpr_idx_on s19, gpr_idx(SRC0)
	v_mov_b32_e32 v140, v34
	s_set_gpr_idx_off
	ds_read2_b32 v[133:134], v130 offset0:6 offset1:7
	s_waitcnt lgkmcnt(2)
	v_fmac_f32_e32 v129, v141, v135
	s_set_gpr_idx_on s8, gpr_idx(SRC0)
	v_mov_b32_e32 v135, v34
	s_set_gpr_idx_off
	v_fmac_f32_e32 v129, v142, v136
	s_add_u32 s8, s8, 8
	s_waitcnt lgkmcnt(1)
	v_fmac_f32_e32 v129, v143, v137
	v_add_u32_e32 v130, s8, v132
	v_fmac_f32_e32 v129, v139, v138
	s_addc_u32 s9, s9, 0
	s_add_i32 s12, s12, 32
	s_add_i32 s13, s8, -7
	v_cmp_eq_u32_e32 vcc, 12, v130
	s_waitcnt lgkmcnt(0)
	v_fmac_f32_e32 v129, v140, v133
	v_mov_b32_e32 v130, s13
	s_or_b64 s[10:11], vcc, s[10:11]
	v_fmac_f32_e32 v129, v135, v134
	s_andn2_b64 exec, exec, s[10:11]
	s_cbranch_execnz .LBB94_393
; %bb.394:
	s_or_b64 exec, exec, s[10:11]
.LBB94_395:
	s_or_b64 exec, exec, s[2:3]
	v_and_b32_e32 v65, 7, v131
	v_cmp_ne_u32_e32 vcc, 0, v65
	s_and_saveexec_b64 s[8:9], vcc
	s_cbranch_execz .LBB94_399
; %bb.396:
	v_mov_b32_e32 v131, 0x80
	v_lshl_add_u32 v131, v130, 2, v131
	v_mov_b32_e32 v132, 0
	s_mov_b64 s[10:11], 0
.LBB94_397:                             ; =>This Inner Loop Header: Depth=1
	v_cmp_eq_u32_e32 vcc, 1, v130
	v_cndmask_b32_e32 v133, v34, v35, vcc
	v_add_u32_e32 v65, -1, v65
	v_cmp_eq_u32_e32 vcc, 2, v130
	v_cndmask_b32_e32 v133, v133, v36, vcc
	v_cmp_eq_u32_e32 vcc, 0, v65
	v_cmp_eq_u32_e64 s[2:3], 3, v130
	v_cndmask_b32_e64 v133, v133, v37, s[2:3]
	s_or_b64 s[10:11], vcc, s[10:11]
	v_cmp_eq_u32_e32 vcc, 4, v130
	v_cndmask_b32_e32 v133, v133, v38, vcc
	v_cmp_eq_u32_e32 vcc, 5, v130
	v_cndmask_b32_e32 v133, v133, v39, vcc
	;; [unrolled: 2-line block ×22, first 2 shown]
	v_cmp_eq_u32_e32 vcc, 26, v130
	ds_read_b32 v134, v131
	v_cndmask_b32_e32 v133, v133, v60, vcc
	v_cmp_eq_u32_e32 vcc, 27, v130
	v_cndmask_b32_e32 v133, v133, v61, vcc
	v_cmp_eq_u32_e32 vcc, 28, v130
	;; [unrolled: 2-line block ×4, first 2 shown]
	v_add_co_u32_e64 v130, s[2:3], 1, v130
	v_cndmask_b32_e32 v133, v133, v64, vcc
	v_add_u32_e32 v131, 4, v131
	v_addc_co_u32_e64 v132, s[2:3], 0, v132, s[2:3]
	s_waitcnt lgkmcnt(0)
	v_fmac_f32_e32 v129, v133, v134
	s_andn2_b64 exec, exec, s[10:11]
	s_cbranch_execnz .LBB94_397
; %bb.398:
	s_or_b64 exec, exec, s[10:11]
.LBB94_399:
	s_or_b64 exec, exec, s[8:9]
.LBB94_400:
	s_or_b64 exec, exec, s[6:7]
	v_mov_b32_e32 v38, 0
	ds_read_b32 v38, v38 offset:16
	s_waitcnt lgkmcnt(0)
	v_mul_f32_e32 v38, v129, v38
.LBB94_401:
	s_or_b64 exec, exec, s[4:5]
	v_cmp_lt_u32_e64 s[2:3], 3, v0
	ds_write_b32 v128, v37
	s_waitcnt lgkmcnt(0)
	; wave barrier
	s_and_saveexec_b64 s[4:5], s[2:3]
	s_cbranch_execz .LBB94_417
; %bb.402:
	s_andn2_b64 vcc, exec, s[66:67]
	s_cbranch_vccnz .LBB94_404
; %bb.403:
	v_cmp_eq_u32_e32 vcc, 1, v0
	v_cndmask_b32_e32 v129, v34, v35, vcc
	v_cmp_eq_u32_e32 vcc, 2, v0
	v_cndmask_b32_e32 v129, v129, v36, vcc
	;; [unrolled: 2-line block ×26, first 2 shown]
	v_cmp_eq_u32_e32 vcc, 27, v0
	ds_read_b32 v130, v128
	v_cndmask_b32_e32 v129, v129, v61, vcc
	v_cmp_eq_u32_e32 vcc, 28, v0
	v_cndmask_b32_e32 v129, v129, v62, vcc
	v_cmp_eq_u32_e32 vcc, 29, v0
	;; [unrolled: 2-line block ×3, first 2 shown]
	v_cndmask_b32_e32 v129, v129, v64, vcc
	s_waitcnt lgkmcnt(0)
	v_mul_f32_e32 v129, v129, v130
	s_cbranch_execz .LBB94_405
	s_branch .LBB94_406
.LBB94_404:
                                        ; implicit-def: $vgpr129
.LBB94_405:
	ds_read_b32 v129, v128
.LBB94_406:
	s_and_saveexec_b64 s[6:7], s[0:1]
	s_cbranch_execz .LBB94_416
; %bb.407:
	v_add_u32_e32 v130, -5, v0
	v_add_u32_e32 v131, -4, v0
	v_cmp_lt_u32_e32 vcc, 6, v130
	v_mov_b32_e32 v130, 4
	s_and_saveexec_b64 s[0:1], vcc
	s_cbranch_execz .LBB94_411
; %bb.408:
	v_and_b32_e32 v130, -8, v131
	v_sub_u32_e32 v132, 0, v130
	s_mov_b64 s[8:9], 5
	s_movk_i32 s12, 0x90
	s_mov_b64 s[10:11], 0
.LBB94_409:                             ; =>This Inner Loop Header: Depth=1
	s_add_i32 s13, s8, -1
	v_mov_b32_e32 v130, s12
	s_set_gpr_idx_on s13, gpr_idx(SRC0)
	v_mov_b32_e32 v141, v34
	s_set_gpr_idx_off
	s_add_i32 s14, s8, 1
	ds_read_b128 v[133:136], v130
	ds_read_b128 v[137:140], v130 offset:16
	s_set_gpr_idx_on s8, gpr_idx(SRC0)
	v_mov_b32_e32 v142, v34
	s_set_gpr_idx_off
	s_add_i32 s15, s8, 2
	s_set_gpr_idx_on s14, gpr_idx(SRC0)
	v_mov_b32_e32 v143, v34
	s_set_gpr_idx_off
	s_add_i32 s16, s8, 3
	;; [unrolled: 4-line block ×4, first 2 shown]
	s_waitcnt lgkmcnt(1)
	v_fmac_f32_e32 v129, v141, v133
	s_set_gpr_idx_on s17, gpr_idx(SRC0)
	v_mov_b32_e32 v133, v34
	s_set_gpr_idx_off
	s_add_i32 s19, s8, 6
	v_fmac_f32_e32 v129, v142, v134
	s_set_gpr_idx_on s18, gpr_idx(SRC0)
	v_mov_b32_e32 v134, v34
	s_set_gpr_idx_off
	v_fmac_f32_e32 v129, v143, v135
	s_set_gpr_idx_on s19, gpr_idx(SRC0)
	v_mov_b32_e32 v135, v34
	s_set_gpr_idx_off
	v_fmac_f32_e32 v129, v144, v136
	s_add_u32 s8, s8, 8
	s_waitcnt lgkmcnt(0)
	v_fmac_f32_e32 v129, v145, v137
	v_add_u32_e32 v130, s8, v132
	v_fmac_f32_e32 v129, v133, v138
	s_addc_u32 s9, s9, 0
	s_add_i32 s12, s12, 32
	s_add_i32 s13, s8, -1
	v_cmp_eq_u32_e32 vcc, 5, v130
	v_fmac_f32_e32 v129, v134, v139
	v_mov_b32_e32 v130, s13
	s_or_b64 s[10:11], vcc, s[10:11]
	v_fmac_f32_e32 v129, v135, v140
	s_andn2_b64 exec, exec, s[10:11]
	s_cbranch_execnz .LBB94_409
; %bb.410:
	s_or_b64 exec, exec, s[10:11]
.LBB94_411:
	s_or_b64 exec, exec, s[0:1]
	v_and_b32_e32 v65, 7, v131
	v_cmp_ne_u32_e32 vcc, 0, v65
	s_and_saveexec_b64 s[8:9], vcc
	s_cbranch_execz .LBB94_415
; %bb.412:
	v_mov_b32_e32 v131, 0x80
	v_lshl_add_u32 v131, v130, 2, v131
	v_mov_b32_e32 v132, 0
	s_mov_b64 s[10:11], 0
.LBB94_413:                             ; =>This Inner Loop Header: Depth=1
	v_cmp_eq_u32_e32 vcc, 1, v130
	v_cndmask_b32_e32 v133, v34, v35, vcc
	v_add_u32_e32 v65, -1, v65
	v_cmp_eq_u32_e32 vcc, 2, v130
	v_cndmask_b32_e32 v133, v133, v36, vcc
	v_cmp_eq_u32_e32 vcc, 0, v65
	v_cmp_eq_u32_e64 s[0:1], 3, v130
	v_cndmask_b32_e64 v133, v133, v37, s[0:1]
	s_or_b64 s[10:11], vcc, s[10:11]
	v_cmp_eq_u32_e32 vcc, 4, v130
	v_cndmask_b32_e32 v133, v133, v38, vcc
	v_cmp_eq_u32_e32 vcc, 5, v130
	v_cndmask_b32_e32 v133, v133, v39, vcc
	;; [unrolled: 2-line block ×22, first 2 shown]
	v_cmp_eq_u32_e32 vcc, 26, v130
	ds_read_b32 v134, v131
	v_cndmask_b32_e32 v133, v133, v60, vcc
	v_cmp_eq_u32_e32 vcc, 27, v130
	v_cndmask_b32_e32 v133, v133, v61, vcc
	v_cmp_eq_u32_e32 vcc, 28, v130
	;; [unrolled: 2-line block ×4, first 2 shown]
	v_add_co_u32_e64 v130, s[0:1], 1, v130
	v_cndmask_b32_e32 v133, v133, v64, vcc
	v_add_u32_e32 v131, 4, v131
	v_addc_co_u32_e64 v132, s[0:1], 0, v132, s[0:1]
	s_waitcnt lgkmcnt(0)
	v_fmac_f32_e32 v129, v133, v134
	s_andn2_b64 exec, exec, s[10:11]
	s_cbranch_execnz .LBB94_413
; %bb.414:
	s_or_b64 exec, exec, s[10:11]
.LBB94_415:
	s_or_b64 exec, exec, s[8:9]
.LBB94_416:
	s_or_b64 exec, exec, s[6:7]
	v_mov_b32_e32 v37, 0
	ds_read_b32 v37, v37 offset:12
	s_waitcnt lgkmcnt(0)
	v_mul_f32_e32 v37, v129, v37
.LBB94_417:
	s_or_b64 exec, exec, s[4:5]
	v_cmp_lt_u32_e64 s[0:1], 2, v0
	ds_write_b32 v128, v36
	s_waitcnt lgkmcnt(0)
	; wave barrier
	s_and_saveexec_b64 s[4:5], s[0:1]
	s_cbranch_execz .LBB94_433
; %bb.418:
	s_andn2_b64 vcc, exec, s[66:67]
	s_cbranch_vccnz .LBB94_420
; %bb.419:
	v_cmp_eq_u32_e32 vcc, 1, v0
	v_cndmask_b32_e32 v129, v34, v35, vcc
	v_cmp_eq_u32_e32 vcc, 2, v0
	v_cndmask_b32_e32 v129, v129, v36, vcc
	;; [unrolled: 2-line block ×26, first 2 shown]
	v_cmp_eq_u32_e32 vcc, 27, v0
	ds_read_b32 v130, v128
	v_cndmask_b32_e32 v129, v129, v61, vcc
	v_cmp_eq_u32_e32 vcc, 28, v0
	v_cndmask_b32_e32 v129, v129, v62, vcc
	v_cmp_eq_u32_e32 vcc, 29, v0
	;; [unrolled: 2-line block ×3, first 2 shown]
	v_cndmask_b32_e32 v129, v129, v64, vcc
	s_waitcnt lgkmcnt(0)
	v_mul_f32_e32 v129, v129, v130
	s_cbranch_execz .LBB94_421
	s_branch .LBB94_422
.LBB94_420:
                                        ; implicit-def: $vgpr129
.LBB94_421:
	ds_read_b32 v129, v128
.LBB94_422:
	s_and_saveexec_b64 s[6:7], s[2:3]
	s_cbranch_execz .LBB94_432
; %bb.423:
	v_add_u32_e32 v130, -4, v0
	v_add_u32_e32 v131, -3, v0
	v_cmp_lt_u32_e32 vcc, 6, v130
	v_mov_b32_e32 v130, 3
	s_and_saveexec_b64 s[2:3], vcc
	s_cbranch_execz .LBB94_427
; %bb.424:
	v_and_b32_e32 v130, -8, v131
	v_sub_u32_e32 v132, 0, v130
	s_mov_b64 s[8:9], 10
	s_movk_i32 s12, 0x8c
	s_mov_b64 s[10:11], 0
.LBB94_425:                             ; =>This Inner Loop Header: Depth=1
	s_add_i32 s13, s8, -7
	v_mov_b32_e32 v130, s12
	s_add_i32 s14, s8, -6
	s_set_gpr_idx_on s13, gpr_idx(SRC0)
	v_mov_b32_e32 v139, v34
	s_set_gpr_idx_off
	ds_read2_b32 v[133:134], v130 offset1:1
	s_add_i32 s15, s8, -5
	s_set_gpr_idx_on s14, gpr_idx(SRC0)
	v_mov_b32_e32 v140, v34
	s_set_gpr_idx_off
	s_add_i32 s16, s8, -4
	s_set_gpr_idx_on s15, gpr_idx(SRC0)
	v_mov_b32_e32 v141, v34
	s_set_gpr_idx_off
	ds_read2_b32 v[135:136], v130 offset0:2 offset1:3
	s_add_i32 s17, s8, -3
	s_set_gpr_idx_on s16, gpr_idx(SRC0)
	v_mov_b32_e32 v142, v34
	s_set_gpr_idx_off
	s_add_i32 s18, s8, -2
	s_set_gpr_idx_on s17, gpr_idx(SRC0)
	v_mov_b32_e32 v143, v34
	s_set_gpr_idx_off
	ds_read2_b32 v[137:138], v130 offset0:4 offset1:5
	s_add_i32 s19, s8, -1
	s_waitcnt lgkmcnt(2)
	v_fmac_f32_e32 v129, v139, v133
	s_set_gpr_idx_on s18, gpr_idx(SRC0)
	v_mov_b32_e32 v139, v34
	s_set_gpr_idx_off
	v_fmac_f32_e32 v129, v140, v134
	s_set_gpr_idx_on s19, gpr_idx(SRC0)
	v_mov_b32_e32 v140, v34
	s_set_gpr_idx_off
	ds_read2_b32 v[133:134], v130 offset0:6 offset1:7
	s_waitcnt lgkmcnt(2)
	v_fmac_f32_e32 v129, v141, v135
	s_set_gpr_idx_on s8, gpr_idx(SRC0)
	v_mov_b32_e32 v135, v34
	s_set_gpr_idx_off
	v_fmac_f32_e32 v129, v142, v136
	s_add_u32 s8, s8, 8
	s_waitcnt lgkmcnt(1)
	v_fmac_f32_e32 v129, v143, v137
	v_add_u32_e32 v130, s8, v132
	v_fmac_f32_e32 v129, v139, v138
	s_addc_u32 s9, s9, 0
	s_add_i32 s12, s12, 32
	s_add_i32 s13, s8, -7
	v_cmp_eq_u32_e32 vcc, 10, v130
	s_waitcnt lgkmcnt(0)
	v_fmac_f32_e32 v129, v140, v133
	v_mov_b32_e32 v130, s13
	s_or_b64 s[10:11], vcc, s[10:11]
	v_fmac_f32_e32 v129, v135, v134
	s_andn2_b64 exec, exec, s[10:11]
	s_cbranch_execnz .LBB94_425
; %bb.426:
	s_or_b64 exec, exec, s[10:11]
.LBB94_427:
	s_or_b64 exec, exec, s[2:3]
	v_and_b32_e32 v65, 7, v131
	v_cmp_ne_u32_e32 vcc, 0, v65
	s_and_saveexec_b64 s[8:9], vcc
	s_cbranch_execz .LBB94_431
; %bb.428:
	v_mov_b32_e32 v131, 0x80
	v_lshl_add_u32 v131, v130, 2, v131
	v_mov_b32_e32 v132, 0
	s_mov_b64 s[10:11], 0
.LBB94_429:                             ; =>This Inner Loop Header: Depth=1
	v_cmp_eq_u32_e32 vcc, 1, v130
	v_cndmask_b32_e32 v133, v34, v35, vcc
	v_add_u32_e32 v65, -1, v65
	v_cmp_eq_u32_e32 vcc, 2, v130
	v_cndmask_b32_e32 v133, v133, v36, vcc
	v_cmp_eq_u32_e32 vcc, 0, v65
	v_cmp_eq_u32_e64 s[2:3], 3, v130
	v_cndmask_b32_e64 v133, v133, v37, s[2:3]
	s_or_b64 s[10:11], vcc, s[10:11]
	v_cmp_eq_u32_e32 vcc, 4, v130
	v_cndmask_b32_e32 v133, v133, v38, vcc
	v_cmp_eq_u32_e32 vcc, 5, v130
	v_cndmask_b32_e32 v133, v133, v39, vcc
	;; [unrolled: 2-line block ×22, first 2 shown]
	v_cmp_eq_u32_e32 vcc, 26, v130
	ds_read_b32 v134, v131
	v_cndmask_b32_e32 v133, v133, v60, vcc
	v_cmp_eq_u32_e32 vcc, 27, v130
	v_cndmask_b32_e32 v133, v133, v61, vcc
	v_cmp_eq_u32_e32 vcc, 28, v130
	;; [unrolled: 2-line block ×4, first 2 shown]
	v_add_co_u32_e64 v130, s[2:3], 1, v130
	v_cndmask_b32_e32 v133, v133, v64, vcc
	v_add_u32_e32 v131, 4, v131
	v_addc_co_u32_e64 v132, s[2:3], 0, v132, s[2:3]
	s_waitcnt lgkmcnt(0)
	v_fmac_f32_e32 v129, v133, v134
	s_andn2_b64 exec, exec, s[10:11]
	s_cbranch_execnz .LBB94_429
; %bb.430:
	s_or_b64 exec, exec, s[10:11]
.LBB94_431:
	s_or_b64 exec, exec, s[8:9]
.LBB94_432:
	s_or_b64 exec, exec, s[6:7]
	v_mov_b32_e32 v36, 0
	ds_read_b32 v36, v36 offset:8
	s_waitcnt lgkmcnt(0)
	v_mul_f32_e32 v36, v129, v36
.LBB94_433:
	s_or_b64 exec, exec, s[4:5]
	v_cmp_lt_u32_e64 s[2:3], 1, v0
	ds_write_b32 v128, v35
	s_waitcnt lgkmcnt(0)
	; wave barrier
	s_and_saveexec_b64 s[4:5], s[2:3]
	s_cbranch_execz .LBB94_449
; %bb.434:
	s_andn2_b64 vcc, exec, s[66:67]
	s_cbranch_vccnz .LBB94_436
; %bb.435:
	v_cmp_eq_u32_e32 vcc, 1, v0
	v_cndmask_b32_e32 v129, v34, v35, vcc
	v_cmp_eq_u32_e32 vcc, 2, v0
	v_cndmask_b32_e32 v129, v129, v36, vcc
	v_cmp_eq_u32_e32 vcc, 3, v0
	v_cndmask_b32_e32 v129, v129, v37, vcc
	v_cmp_eq_u32_e32 vcc, 4, v0
	v_cndmask_b32_e32 v129, v129, v38, vcc
	v_cmp_eq_u32_e32 vcc, 5, v0
	v_cndmask_b32_e32 v129, v129, v39, vcc
	v_cmp_eq_u32_e32 vcc, 6, v0
	v_cndmask_b32_e32 v129, v129, v40, vcc
	v_cmp_eq_u32_e32 vcc, 7, v0
	v_cndmask_b32_e32 v129, v129, v41, vcc
	v_cmp_eq_u32_e32 vcc, 8, v0
	v_cndmask_b32_e32 v129, v129, v42, vcc
	v_cmp_eq_u32_e32 vcc, 9, v0
	v_cndmask_b32_e32 v129, v129, v43, vcc
	v_cmp_eq_u32_e32 vcc, 10, v0
	v_cndmask_b32_e32 v129, v129, v44, vcc
	v_cmp_eq_u32_e32 vcc, 11, v0
	v_cndmask_b32_e32 v129, v129, v45, vcc
	v_cmp_eq_u32_e32 vcc, 12, v0
	v_cndmask_b32_e32 v129, v129, v46, vcc
	v_cmp_eq_u32_e32 vcc, 13, v0
	v_cndmask_b32_e32 v129, v129, v47, vcc
	v_cmp_eq_u32_e32 vcc, 14, v0
	v_cndmask_b32_e32 v129, v129, v48, vcc
	v_cmp_eq_u32_e32 vcc, 15, v0
	v_cndmask_b32_e32 v129, v129, v49, vcc
	v_cmp_eq_u32_e32 vcc, 16, v0
	v_cndmask_b32_e32 v129, v129, v50, vcc
	v_cmp_eq_u32_e32 vcc, 17, v0
	v_cndmask_b32_e32 v129, v129, v51, vcc
	v_cmp_eq_u32_e32 vcc, 18, v0
	v_cndmask_b32_e32 v129, v129, v52, vcc
	v_cmp_eq_u32_e32 vcc, 19, v0
	v_cndmask_b32_e32 v129, v129, v53, vcc
	v_cmp_eq_u32_e32 vcc, 20, v0
	v_cndmask_b32_e32 v129, v129, v54, vcc
	v_cmp_eq_u32_e32 vcc, 21, v0
	v_cndmask_b32_e32 v129, v129, v55, vcc
	v_cmp_eq_u32_e32 vcc, 22, v0
	v_cndmask_b32_e32 v129, v129, v56, vcc
	v_cmp_eq_u32_e32 vcc, 23, v0
	v_cndmask_b32_e32 v129, v129, v57, vcc
	v_cmp_eq_u32_e32 vcc, 24, v0
	v_cndmask_b32_e32 v129, v129, v58, vcc
	v_cmp_eq_u32_e32 vcc, 25, v0
	v_cndmask_b32_e32 v129, v129, v59, vcc
	v_cmp_eq_u32_e32 vcc, 26, v0
	v_cndmask_b32_e32 v129, v129, v60, vcc
	v_cmp_eq_u32_e32 vcc, 27, v0
	ds_read_b32 v130, v128
	v_cndmask_b32_e32 v129, v129, v61, vcc
	v_cmp_eq_u32_e32 vcc, 28, v0
	v_cndmask_b32_e32 v129, v129, v62, vcc
	v_cmp_eq_u32_e32 vcc, 29, v0
	;; [unrolled: 2-line block ×3, first 2 shown]
	v_cndmask_b32_e32 v129, v129, v64, vcc
	s_waitcnt lgkmcnt(0)
	v_mul_f32_e32 v129, v129, v130
	s_cbranch_execz .LBB94_437
	s_branch .LBB94_438
.LBB94_436:
                                        ; implicit-def: $vgpr129
.LBB94_437:
	ds_read_b32 v129, v128
.LBB94_438:
	s_and_saveexec_b64 s[6:7], s[0:1]
	s_cbranch_execz .LBB94_448
; %bb.439:
	v_add_u32_e32 v130, -3, v0
	v_add_u32_e32 v131, -2, v0
	v_cmp_lt_u32_e32 vcc, 6, v130
	v_mov_b32_e32 v130, 2
	s_and_saveexec_b64 s[0:1], vcc
	s_cbranch_execz .LBB94_443
; %bb.440:
	v_and_b32_e32 v130, -8, v131
	v_sub_u32_e32 v132, 0, v130
	s_mov_b64 s[8:9], 9
	s_movk_i32 s12, 0x88
	s_mov_b64 s[10:11], 0
.LBB94_441:                             ; =>This Inner Loop Header: Depth=1
	s_add_i32 s13, s8, -7
	v_mov_b32_e32 v130, s12
	s_add_i32 s14, s8, -6
	s_set_gpr_idx_on s13, gpr_idx(SRC0)
	v_mov_b32_e32 v141, v34
	s_set_gpr_idx_off
	ds_read2_b64 v[133:136], v130 offset1:1
	s_add_i32 s15, s8, -5
	s_set_gpr_idx_on s14, gpr_idx(SRC0)
	v_mov_b32_e32 v142, v34
	s_set_gpr_idx_off
	s_add_i32 s16, s8, -4
	s_set_gpr_idx_on s15, gpr_idx(SRC0)
	v_mov_b32_e32 v143, v34
	s_set_gpr_idx_off
	;; [unrolled: 4-line block ×4, first 2 shown]
	ds_read2_b64 v[137:140], v130 offset0:2 offset1:3
	s_add_i32 s19, s8, -1
	s_waitcnt lgkmcnt(1)
	v_fmac_f32_e32 v129, v141, v133
	s_set_gpr_idx_on s18, gpr_idx(SRC0)
	v_mov_b32_e32 v133, v34
	s_set_gpr_idx_off
	v_fmac_f32_e32 v129, v142, v134
	s_set_gpr_idx_on s19, gpr_idx(SRC0)
	v_mov_b32_e32 v134, v34
	s_set_gpr_idx_off
	;; [unrolled: 4-line block ×3, first 2 shown]
	v_fmac_f32_e32 v129, v144, v136
	s_add_u32 s8, s8, 8
	s_waitcnt lgkmcnt(0)
	v_fmac_f32_e32 v129, v145, v137
	v_add_u32_e32 v130, s8, v132
	v_fmac_f32_e32 v129, v133, v138
	s_addc_u32 s9, s9, 0
	s_add_i32 s12, s12, 32
	s_add_i32 s13, s8, -7
	v_cmp_eq_u32_e32 vcc, 9, v130
	v_fmac_f32_e32 v129, v134, v139
	v_mov_b32_e32 v130, s13
	s_or_b64 s[10:11], vcc, s[10:11]
	v_fmac_f32_e32 v129, v135, v140
	s_andn2_b64 exec, exec, s[10:11]
	s_cbranch_execnz .LBB94_441
; %bb.442:
	s_or_b64 exec, exec, s[10:11]
.LBB94_443:
	s_or_b64 exec, exec, s[0:1]
	v_and_b32_e32 v65, 7, v131
	v_cmp_ne_u32_e32 vcc, 0, v65
	s_and_saveexec_b64 s[8:9], vcc
	s_cbranch_execz .LBB94_447
; %bb.444:
	v_mov_b32_e32 v131, 0x80
	v_lshl_add_u32 v131, v130, 2, v131
	v_mov_b32_e32 v132, 0
	s_mov_b64 s[10:11], 0
.LBB94_445:                             ; =>This Inner Loop Header: Depth=1
	v_cmp_eq_u32_e32 vcc, 1, v130
	v_cndmask_b32_e32 v133, v34, v35, vcc
	v_add_u32_e32 v65, -1, v65
	v_cmp_eq_u32_e32 vcc, 2, v130
	v_cndmask_b32_e32 v133, v133, v36, vcc
	v_cmp_eq_u32_e32 vcc, 0, v65
	v_cmp_eq_u32_e64 s[0:1], 3, v130
	v_cndmask_b32_e64 v133, v133, v37, s[0:1]
	s_or_b64 s[10:11], vcc, s[10:11]
	v_cmp_eq_u32_e32 vcc, 4, v130
	v_cndmask_b32_e32 v133, v133, v38, vcc
	v_cmp_eq_u32_e32 vcc, 5, v130
	v_cndmask_b32_e32 v133, v133, v39, vcc
	;; [unrolled: 2-line block ×22, first 2 shown]
	v_cmp_eq_u32_e32 vcc, 26, v130
	ds_read_b32 v134, v131
	v_cndmask_b32_e32 v133, v133, v60, vcc
	v_cmp_eq_u32_e32 vcc, 27, v130
	v_cndmask_b32_e32 v133, v133, v61, vcc
	v_cmp_eq_u32_e32 vcc, 28, v130
	;; [unrolled: 2-line block ×4, first 2 shown]
	v_add_co_u32_e64 v130, s[0:1], 1, v130
	v_cndmask_b32_e32 v133, v133, v64, vcc
	v_add_u32_e32 v131, 4, v131
	v_addc_co_u32_e64 v132, s[0:1], 0, v132, s[0:1]
	s_waitcnt lgkmcnt(0)
	v_fmac_f32_e32 v129, v133, v134
	s_andn2_b64 exec, exec, s[10:11]
	s_cbranch_execnz .LBB94_445
; %bb.446:
	s_or_b64 exec, exec, s[10:11]
.LBB94_447:
	s_or_b64 exec, exec, s[8:9]
.LBB94_448:
	s_or_b64 exec, exec, s[6:7]
	v_mov_b32_e32 v35, 0
	ds_read_b32 v35, v35 offset:4
	s_waitcnt lgkmcnt(0)
	v_mul_f32_e32 v35, v129, v35
.LBB94_449:
	s_or_b64 exec, exec, s[4:5]
	v_cmp_ne_u32_e32 vcc, 0, v0
	ds_write_b32 v128, v34
	s_waitcnt lgkmcnt(0)
	; wave barrier
	s_and_saveexec_b64 s[4:5], vcc
	s_cbranch_execz .LBB94_465
; %bb.450:
	s_andn2_b64 vcc, exec, s[66:67]
	s_cbranch_vccnz .LBB94_452
; %bb.451:
	v_cmp_eq_u32_e32 vcc, 1, v0
	v_cndmask_b32_e32 v129, v34, v35, vcc
	v_cmp_eq_u32_e32 vcc, 2, v0
	v_cndmask_b32_e32 v129, v129, v36, vcc
	v_cmp_eq_u32_e32 vcc, 3, v0
	v_cndmask_b32_e32 v129, v129, v37, vcc
	v_cmp_eq_u32_e32 vcc, 4, v0
	v_cndmask_b32_e32 v129, v129, v38, vcc
	v_cmp_eq_u32_e32 vcc, 5, v0
	v_cndmask_b32_e32 v129, v129, v39, vcc
	v_cmp_eq_u32_e32 vcc, 6, v0
	v_cndmask_b32_e32 v129, v129, v40, vcc
	v_cmp_eq_u32_e32 vcc, 7, v0
	v_cndmask_b32_e32 v129, v129, v41, vcc
	v_cmp_eq_u32_e32 vcc, 8, v0
	v_cndmask_b32_e32 v129, v129, v42, vcc
	v_cmp_eq_u32_e32 vcc, 9, v0
	v_cndmask_b32_e32 v129, v129, v43, vcc
	v_cmp_eq_u32_e32 vcc, 10, v0
	v_cndmask_b32_e32 v129, v129, v44, vcc
	v_cmp_eq_u32_e32 vcc, 11, v0
	v_cndmask_b32_e32 v129, v129, v45, vcc
	v_cmp_eq_u32_e32 vcc, 12, v0
	v_cndmask_b32_e32 v129, v129, v46, vcc
	v_cmp_eq_u32_e32 vcc, 13, v0
	v_cndmask_b32_e32 v129, v129, v47, vcc
	v_cmp_eq_u32_e32 vcc, 14, v0
	v_cndmask_b32_e32 v129, v129, v48, vcc
	v_cmp_eq_u32_e32 vcc, 15, v0
	v_cndmask_b32_e32 v129, v129, v49, vcc
	v_cmp_eq_u32_e32 vcc, 16, v0
	v_cndmask_b32_e32 v129, v129, v50, vcc
	v_cmp_eq_u32_e32 vcc, 17, v0
	v_cndmask_b32_e32 v129, v129, v51, vcc
	v_cmp_eq_u32_e32 vcc, 18, v0
	v_cndmask_b32_e32 v129, v129, v52, vcc
	v_cmp_eq_u32_e32 vcc, 19, v0
	v_cndmask_b32_e32 v129, v129, v53, vcc
	v_cmp_eq_u32_e32 vcc, 20, v0
	v_cndmask_b32_e32 v129, v129, v54, vcc
	v_cmp_eq_u32_e32 vcc, 21, v0
	v_cndmask_b32_e32 v129, v129, v55, vcc
	v_cmp_eq_u32_e32 vcc, 22, v0
	v_cndmask_b32_e32 v129, v129, v56, vcc
	v_cmp_eq_u32_e32 vcc, 23, v0
	v_cndmask_b32_e32 v129, v129, v57, vcc
	v_cmp_eq_u32_e32 vcc, 24, v0
	v_cndmask_b32_e32 v129, v129, v58, vcc
	v_cmp_eq_u32_e32 vcc, 25, v0
	v_cndmask_b32_e32 v129, v129, v59, vcc
	v_cmp_eq_u32_e32 vcc, 26, v0
	v_cndmask_b32_e32 v129, v129, v60, vcc
	v_cmp_eq_u32_e32 vcc, 27, v0
	ds_read_b32 v130, v128
	v_cndmask_b32_e32 v129, v129, v61, vcc
	v_cmp_eq_u32_e32 vcc, 28, v0
	v_cndmask_b32_e32 v129, v129, v62, vcc
	v_cmp_eq_u32_e32 vcc, 29, v0
	;; [unrolled: 2-line block ×3, first 2 shown]
	v_cndmask_b32_e32 v129, v129, v64, vcc
	s_waitcnt lgkmcnt(0)
	v_mul_f32_e32 v129, v129, v130
	s_cbranch_execz .LBB94_453
	s_branch .LBB94_454
.LBB94_452:
                                        ; implicit-def: $vgpr129
.LBB94_453:
	ds_read_b32 v129, v128
.LBB94_454:
	s_and_saveexec_b64 s[6:7], s[2:3]
	s_cbranch_execz .LBB94_464
; %bb.455:
	v_add_u32_e32 v130, -2, v0
	v_add_u32_e32 v131, -1, v0
	v_cmp_lt_u32_e32 vcc, 6, v130
	v_mov_b32_e32 v130, 1
	s_and_saveexec_b64 s[0:1], vcc
	s_cbranch_execz .LBB94_459
; %bb.456:
	v_and_b32_e32 v130, -8, v131
	v_sub_u32_e32 v132, 0, v130
	s_mov_b64 s[2:3], 8
	s_movk_i32 s10, 0x84
	s_mov_b64 s[8:9], 0
.LBB94_457:                             ; =>This Inner Loop Header: Depth=1
	s_add_i32 s11, s2, -7
	v_mov_b32_e32 v130, s10
	s_add_i32 s12, s2, -6
	s_set_gpr_idx_on s11, gpr_idx(SRC0)
	v_mov_b32_e32 v139, v34
	s_set_gpr_idx_off
	ds_read2_b32 v[133:134], v130 offset1:1
	s_add_i32 s13, s2, -5
	s_set_gpr_idx_on s12, gpr_idx(SRC0)
	v_mov_b32_e32 v140, v34
	s_set_gpr_idx_off
	s_add_i32 s14, s2, -4
	s_set_gpr_idx_on s13, gpr_idx(SRC0)
	v_mov_b32_e32 v141, v34
	s_set_gpr_idx_off
	ds_read2_b32 v[135:136], v130 offset0:2 offset1:3
	s_add_i32 s15, s2, -3
	s_set_gpr_idx_on s14, gpr_idx(SRC0)
	v_mov_b32_e32 v142, v34
	s_set_gpr_idx_off
	s_add_i32 s16, s2, -2
	s_set_gpr_idx_on s15, gpr_idx(SRC0)
	v_mov_b32_e32 v143, v34
	s_set_gpr_idx_off
	ds_read2_b32 v[137:138], v130 offset0:4 offset1:5
	s_add_i32 s17, s2, -1
	s_waitcnt lgkmcnt(2)
	v_fmac_f32_e32 v129, v139, v133
	s_set_gpr_idx_on s16, gpr_idx(SRC0)
	v_mov_b32_e32 v139, v34
	s_set_gpr_idx_off
	v_fmac_f32_e32 v129, v140, v134
	s_set_gpr_idx_on s17, gpr_idx(SRC0)
	v_mov_b32_e32 v140, v34
	s_set_gpr_idx_off
	ds_read2_b32 v[133:134], v130 offset0:6 offset1:7
	s_waitcnt lgkmcnt(2)
	v_fmac_f32_e32 v129, v141, v135
	s_set_gpr_idx_on s2, gpr_idx(SRC0)
	v_mov_b32_e32 v135, v34
	s_set_gpr_idx_off
	v_fmac_f32_e32 v129, v142, v136
	s_add_u32 s2, s2, 8
	s_waitcnt lgkmcnt(1)
	v_fmac_f32_e32 v129, v143, v137
	v_add_u32_e32 v130, s2, v132
	v_fmac_f32_e32 v129, v139, v138
	s_addc_u32 s3, s3, 0
	s_add_i32 s10, s10, 32
	s_add_i32 s11, s2, -7
	v_cmp_eq_u32_e32 vcc, 8, v130
	s_waitcnt lgkmcnt(0)
	v_fmac_f32_e32 v129, v140, v133
	v_mov_b32_e32 v130, s11
	s_or_b64 s[8:9], vcc, s[8:9]
	v_fmac_f32_e32 v129, v135, v134
	s_andn2_b64 exec, exec, s[8:9]
	s_cbranch_execnz .LBB94_457
; %bb.458:
	s_or_b64 exec, exec, s[8:9]
.LBB94_459:
	s_or_b64 exec, exec, s[0:1]
	v_and_b32_e32 v65, 7, v131
	v_cmp_ne_u32_e32 vcc, 0, v65
	s_and_saveexec_b64 s[2:3], vcc
	s_cbranch_execz .LBB94_463
; %bb.460:
	v_mov_b32_e32 v131, 0x80
	v_lshl_add_u32 v131, v130, 2, v131
	v_mov_b32_e32 v132, 0
	s_mov_b64 s[8:9], 0
.LBB94_461:                             ; =>This Inner Loop Header: Depth=1
	v_cmp_eq_u32_e32 vcc, 1, v130
	v_cndmask_b32_e32 v133, v34, v35, vcc
	v_add_u32_e32 v65, -1, v65
	v_cmp_eq_u32_e32 vcc, 2, v130
	v_cndmask_b32_e32 v133, v133, v36, vcc
	v_cmp_eq_u32_e32 vcc, 0, v65
	v_cmp_eq_u32_e64 s[0:1], 3, v130
	v_cndmask_b32_e64 v133, v133, v37, s[0:1]
	s_or_b64 s[8:9], vcc, s[8:9]
	v_cmp_eq_u32_e32 vcc, 4, v130
	v_cndmask_b32_e32 v133, v133, v38, vcc
	v_cmp_eq_u32_e32 vcc, 5, v130
	v_cndmask_b32_e32 v133, v133, v39, vcc
	;; [unrolled: 2-line block ×22, first 2 shown]
	v_cmp_eq_u32_e32 vcc, 26, v130
	ds_read_b32 v134, v131
	v_cndmask_b32_e32 v133, v133, v60, vcc
	v_cmp_eq_u32_e32 vcc, 27, v130
	v_cndmask_b32_e32 v133, v133, v61, vcc
	v_cmp_eq_u32_e32 vcc, 28, v130
	;; [unrolled: 2-line block ×4, first 2 shown]
	v_add_co_u32_e64 v130, s[0:1], 1, v130
	v_cndmask_b32_e32 v133, v133, v64, vcc
	v_add_u32_e32 v131, 4, v131
	v_addc_co_u32_e64 v132, s[0:1], 0, v132, s[0:1]
	s_waitcnt lgkmcnt(0)
	v_fmac_f32_e32 v129, v133, v134
	s_andn2_b64 exec, exec, s[8:9]
	s_cbranch_execnz .LBB94_461
; %bb.462:
	s_or_b64 exec, exec, s[8:9]
.LBB94_463:
	s_or_b64 exec, exec, s[2:3]
.LBB94_464:
	s_or_b64 exec, exec, s[6:7]
	v_mov_b32_e32 v34, 0
	ds_read_b32 v34, v34
	s_waitcnt lgkmcnt(0)
	v_mul_f32_e32 v34, v129, v34
.LBB94_465:
	s_or_b64 exec, exec, s[4:5]
	s_branch .LBB94_769
.LBB94_466:
	v_cmp_eq_u32_e64 s[2:3], 0, v0
	s_waitcnt vmcnt(0) lgkmcnt(0)
	ds_write_b32 v128, v3
	s_waitcnt lgkmcnt(0)
	; wave barrier
	s_and_saveexec_b64 s[0:1], s[2:3]
	s_cbranch_execz .LBB94_472
; %bb.467:
	s_and_b64 vcc, exec, s[66:67]
	s_cbranch_vccz .LBB94_469
; %bb.468:
	v_cmp_eq_u32_e32 vcc, 1, v0
	v_cndmask_b32_e32 v3, v2, v3, vcc
	v_cmp_eq_u32_e32 vcc, 2, v0
	v_cndmask_b32_e32 v3, v3, v4, vcc
	;; [unrolled: 2-line block ×26, first 2 shown]
	v_cmp_eq_u32_e32 vcc, 27, v0
	ds_read_b32 v33, v128
	v_cndmask_b32_e32 v3, v3, v29, vcc
	v_cmp_eq_u32_e32 vcc, 28, v0
	v_cndmask_b32_e32 v3, v3, v30, vcc
	v_cmp_eq_u32_e32 vcc, 29, v0
	;; [unrolled: 2-line block ×3, first 2 shown]
	v_cndmask_b32_e32 v3, v3, v32, vcc
	s_waitcnt lgkmcnt(0)
	v_mul_f32_e32 v3, v3, v33
	s_cbranch_execz .LBB94_470
	s_branch .LBB94_471
.LBB94_469:
                                        ; implicit-def: $vgpr3
.LBB94_470:
	ds_read_b32 v3, v128
.LBB94_471:
	v_mov_b32_e32 v33, 0
	ds_read_b32 v33, v33 offset:4
	s_waitcnt lgkmcnt(0)
	v_mul_f32_e32 v3, v3, v33
.LBB94_472:
	s_or_b64 exec, exec, s[0:1]
	v_cndmask_b32_e64 v34, 0, 1, s[66:67]
	v_cmp_gt_u32_e32 vcc, 2, v0
	v_cmp_ne_u32_e64 s[0:1], 1, v34
	ds_write_b32 v128, v4
	s_waitcnt lgkmcnt(0)
	; wave barrier
	s_and_saveexec_b64 s[4:5], vcc
	s_cbranch_execz .LBB94_478
; %bb.473:
	s_and_b64 vcc, exec, s[0:1]
	s_cbranch_vccnz .LBB94_475
; %bb.474:
	v_cmp_eq_u32_e32 vcc, 1, v0
	v_cndmask_b32_e32 v33, v2, v3, vcc
	v_cmp_eq_u32_e32 vcc, 2, v0
	v_cndmask_b32_e32 v4, v33, v4, vcc
	;; [unrolled: 2-line block ×26, first 2 shown]
	v_cmp_eq_u32_e32 vcc, 27, v0
	ds_read_b32 v33, v128
	v_cndmask_b32_e32 v4, v4, v29, vcc
	v_cmp_eq_u32_e32 vcc, 28, v0
	v_cndmask_b32_e32 v4, v4, v30, vcc
	v_cmp_eq_u32_e32 vcc, 29, v0
	;; [unrolled: 2-line block ×3, first 2 shown]
	v_cndmask_b32_e32 v4, v4, v32, vcc
	s_waitcnt lgkmcnt(0)
	v_mul_f32_e32 v4, v4, v33
	s_cbranch_execz .LBB94_476
	s_branch .LBB94_477
.LBB94_475:
                                        ; implicit-def: $vgpr4
.LBB94_476:
	ds_read_b32 v4, v128
.LBB94_477:
	v_mov_b32_e32 v33, 0
	ds_read2_b32 v[33:34], v33 offset0:2 offset1:33
	s_waitcnt lgkmcnt(0)
	v_fma_f32 v34, v3, v34, v4
	v_cndmask_b32_e64 v4, v4, v34, s[2:3]
	v_mul_f32_e32 v4, v4, v33
.LBB94_478:
	s_or_b64 exec, exec, s[4:5]
	v_add_u32_e32 v35, 1, v0
	v_cmp_gt_u32_e64 s[4:5], 3, v0
	ds_write_b32 v128, v5
	s_waitcnt lgkmcnt(0)
	; wave barrier
	s_and_saveexec_b64 s[6:7], s[4:5]
	s_cbranch_execz .LBB94_486
; %bb.479:
	s_and_b64 vcc, exec, s[0:1]
	s_cbranch_vccnz .LBB94_481
; %bb.480:
	v_cmp_eq_u32_e32 vcc, 1, v0
	v_cndmask_b32_e32 v33, v2, v3, vcc
	v_cmp_eq_u32_e32 vcc, 2, v0
	v_cndmask_b32_e32 v33, v33, v4, vcc
	;; [unrolled: 2-line block ×26, first 2 shown]
	v_cmp_eq_u32_e32 vcc, 27, v0
	ds_read_b32 v34, v128
	v_cndmask_b32_e32 v33, v33, v29, vcc
	v_cmp_eq_u32_e32 vcc, 28, v0
	v_cndmask_b32_e32 v33, v33, v30, vcc
	v_cmp_eq_u32_e32 vcc, 29, v0
	;; [unrolled: 2-line block ×3, first 2 shown]
	v_cndmask_b32_e32 v33, v33, v32, vcc
	s_waitcnt lgkmcnt(0)
	v_mul_f32_e32 v33, v33, v34
	s_cbranch_execz .LBB94_482
	s_branch .LBB94_483
.LBB94_481:
                                        ; implicit-def: $vgpr33
.LBB94_482:
	ds_read_b32 v33, v128
.LBB94_483:
	v_cmp_ne_u32_e32 vcc, 2, v0
	s_and_saveexec_b64 s[8:9], vcc
	s_cbranch_execz .LBB94_485
; %bb.484:
	v_cmp_eq_u32_e32 vcc, 1, v35
	v_cndmask_b32_e32 v34, v2, v3, vcc
	v_cmp_eq_u32_e32 vcc, 2, v35
	v_cndmask_b32_e32 v34, v34, v4, vcc
	;; [unrolled: 2-line block ×26, first 2 shown]
	v_cmp_eq_u32_e32 vcc, 27, v35
	v_mov_b32_e32 v34, 0
	v_cndmask_b32_e32 v5, v5, v29, vcc
	v_cmp_eq_u32_e32 vcc, 28, v35
	ds_read_b32 v36, v128 offset:4
	ds_read_b32 v34, v34 offset:136
	v_cndmask_b32_e32 v5, v5, v30, vcc
	v_cmp_eq_u32_e32 vcc, 29, v35
	v_cndmask_b32_e32 v5, v5, v31, vcc
	v_cmp_eq_u32_e32 vcc, 30, v35
	v_cndmask_b32_e32 v5, v5, v32, vcc
	s_waitcnt lgkmcnt(1)
	v_fmac_f32_e32 v33, v5, v36
	s_waitcnt lgkmcnt(0)
	v_fma_f32 v5, v4, v34, v33
	v_cndmask_b32_e64 v33, v33, v5, s[2:3]
.LBB94_485:
	s_or_b64 exec, exec, s[8:9]
	v_mov_b32_e32 v5, 0
	ds_read_b32 v5, v5 offset:12
	s_waitcnt lgkmcnt(0)
	v_mul_f32_e32 v5, v33, v5
.LBB94_486:
	s_or_b64 exec, exec, s[6:7]
	v_cmp_gt_u32_e32 vcc, 4, v0
	ds_write_b32 v128, v6
	s_waitcnt lgkmcnt(0)
	; wave barrier
	s_and_saveexec_b64 s[8:9], vcc
	s_cbranch_execz .LBB94_496
; %bb.487:
	s_and_b64 vcc, exec, s[0:1]
	s_cbranch_vccnz .LBB94_489
; %bb.488:
	v_cmp_eq_u32_e32 vcc, 1, v0
	v_cndmask_b32_e32 v33, v2, v3, vcc
	v_cmp_eq_u32_e32 vcc, 2, v0
	v_cndmask_b32_e32 v33, v33, v4, vcc
	;; [unrolled: 2-line block ×26, first 2 shown]
	v_cmp_eq_u32_e32 vcc, 27, v0
	ds_read_b32 v34, v128
	v_cndmask_b32_e32 v33, v33, v29, vcc
	v_cmp_eq_u32_e32 vcc, 28, v0
	v_cndmask_b32_e32 v33, v33, v30, vcc
	v_cmp_eq_u32_e32 vcc, 29, v0
	;; [unrolled: 2-line block ×3, first 2 shown]
	v_cndmask_b32_e32 v33, v33, v32, vcc
	s_waitcnt lgkmcnt(0)
	v_mul_f32_e32 v36, v33, v34
	s_cbranch_execz .LBB94_490
	s_branch .LBB94_491
.LBB94_489:
                                        ; implicit-def: $vgpr36
.LBB94_490:
	ds_read_b32 v36, v128
.LBB94_491:
	v_cmp_ne_u32_e32 vcc, 3, v0
	s_and_saveexec_b64 s[10:11], vcc
	s_cbranch_execz .LBB94_495
; %bb.492:
	v_mov_b32_e32 v33, 0x84
	v_lshl_add_u32 v37, v0, 2, v33
	v_mov_b32_e32 v34, v1
	s_mov_b64 s[12:13], 0
	v_mov_b32_e32 v33, v0
.LBB94_493:                             ; =>This Inner Loop Header: Depth=1
	v_add_co_u32_e32 v33, vcc, 1, v33
	v_addc_co_u32_e32 v34, vcc, 0, v34, vcc
	v_cmp_eq_u32_e32 vcc, 1, v33
	v_cndmask_b32_e32 v39, v2, v3, vcc
	v_cmp_lt_u32_e32 vcc, 2, v33
	v_cmp_eq_u32_e64 s[6:7], 2, v33
	v_cndmask_b32_e64 v39, v39, v4, s[6:7]
	s_or_b64 s[12:13], vcc, s[12:13]
	v_cmp_eq_u32_e32 vcc, 3, v33
	v_cndmask_b32_e32 v39, v39, v5, vcc
	v_cmp_eq_u32_e32 vcc, 4, v33
	v_cndmask_b32_e32 v39, v39, v6, vcc
	;; [unrolled: 2-line block ×23, first 2 shown]
	v_cmp_eq_u32_e32 vcc, 26, v33
	ds_read_b32 v38, v37
	v_cndmask_b32_e32 v39, v39, v28, vcc
	v_cmp_eq_u32_e32 vcc, 27, v33
	v_cndmask_b32_e32 v39, v39, v29, vcc
	v_cmp_eq_u32_e32 vcc, 28, v33
	;; [unrolled: 2-line block ×4, first 2 shown]
	v_cndmask_b32_e32 v39, v39, v32, vcc
	v_add_u32_e32 v37, 4, v37
	s_waitcnt lgkmcnt(0)
	v_fmac_f32_e32 v36, v39, v38
	s_andn2_b64 exec, exec, s[12:13]
	s_cbranch_execnz .LBB94_493
; %bb.494:
	s_or_b64 exec, exec, s[12:13]
.LBB94_495:
	s_or_b64 exec, exec, s[10:11]
	v_mov_b32_e32 v6, 0
	ds_read_b32 v6, v6 offset:16
	s_waitcnt lgkmcnt(0)
	v_mul_f32_e32 v6, v36, v6
.LBB94_496:
	s_or_b64 exec, exec, s[8:9]
	v_cmp_gt_u32_e64 s[6:7], 5, v0
	ds_write_b32 v128, v7
	s_waitcnt lgkmcnt(0)
	; wave barrier
	s_and_saveexec_b64 s[10:11], s[6:7]
	s_cbranch_execz .LBB94_506
; %bb.497:
	s_and_b64 vcc, exec, s[0:1]
	s_cbranch_vccnz .LBB94_499
; %bb.498:
	v_cmp_eq_u32_e32 vcc, 1, v0
	v_cndmask_b32_e32 v33, v2, v3, vcc
	v_cmp_eq_u32_e32 vcc, 2, v0
	v_cndmask_b32_e32 v33, v33, v4, vcc
	;; [unrolled: 2-line block ×26, first 2 shown]
	v_cmp_eq_u32_e32 vcc, 27, v0
	ds_read_b32 v34, v128
	v_cndmask_b32_e32 v33, v33, v29, vcc
	v_cmp_eq_u32_e32 vcc, 28, v0
	v_cndmask_b32_e32 v33, v33, v30, vcc
	v_cmp_eq_u32_e32 vcc, 29, v0
	;; [unrolled: 2-line block ×3, first 2 shown]
	v_cndmask_b32_e32 v33, v33, v32, vcc
	s_waitcnt lgkmcnt(0)
	v_mul_f32_e32 v36, v33, v34
	s_cbranch_execz .LBB94_500
	s_branch .LBB94_501
.LBB94_499:
                                        ; implicit-def: $vgpr36
.LBB94_500:
	ds_read_b32 v36, v128
.LBB94_501:
	v_cmp_ne_u32_e32 vcc, 4, v0
	s_and_saveexec_b64 s[12:13], vcc
	s_cbranch_execz .LBB94_505
; %bb.502:
	v_mov_b32_e32 v33, 0x84
	v_lshl_add_u32 v37, v0, 2, v33
	v_mov_b32_e32 v34, v1
	s_mov_b64 s[14:15], 0
	v_mov_b32_e32 v33, v0
.LBB94_503:                             ; =>This Inner Loop Header: Depth=1
	v_add_co_u32_e32 v33, vcc, 1, v33
	v_addc_co_u32_e32 v34, vcc, 0, v34, vcc
	v_cmp_eq_u32_e32 vcc, 1, v33
	v_cndmask_b32_e32 v39, v2, v3, vcc
	v_cmp_lt_u32_e32 vcc, 3, v33
	v_cmp_eq_u32_e64 s[8:9], 2, v33
	v_cndmask_b32_e64 v39, v39, v4, s[8:9]
	s_or_b64 s[14:15], vcc, s[14:15]
	v_cmp_eq_u32_e32 vcc, 3, v33
	v_cndmask_b32_e32 v39, v39, v5, vcc
	v_cmp_eq_u32_e32 vcc, 4, v33
	v_cndmask_b32_e32 v39, v39, v6, vcc
	;; [unrolled: 2-line block ×23, first 2 shown]
	v_cmp_eq_u32_e32 vcc, 26, v33
	ds_read_b32 v38, v37
	v_cndmask_b32_e32 v39, v39, v28, vcc
	v_cmp_eq_u32_e32 vcc, 27, v33
	v_cndmask_b32_e32 v39, v39, v29, vcc
	v_cmp_eq_u32_e32 vcc, 28, v33
	v_cndmask_b32_e32 v39, v39, v30, vcc
	v_cmp_eq_u32_e32 vcc, 29, v33
	v_cndmask_b32_e32 v39, v39, v31, vcc
	v_cmp_eq_u32_e32 vcc, 30, v33
	v_cndmask_b32_e32 v39, v39, v32, vcc
	v_add_u32_e32 v37, 4, v37
	s_waitcnt lgkmcnt(0)
	v_fmac_f32_e32 v36, v39, v38
	s_andn2_b64 exec, exec, s[14:15]
	s_cbranch_execnz .LBB94_503
; %bb.504:
	s_or_b64 exec, exec, s[14:15]
.LBB94_505:
	s_or_b64 exec, exec, s[12:13]
	v_mov_b32_e32 v7, 0
	ds_read_b32 v7, v7 offset:20
	s_waitcnt lgkmcnt(0)
	v_mul_f32_e32 v7, v36, v7
.LBB94_506:
	s_or_b64 exec, exec, s[10:11]
	v_cmp_gt_u32_e32 vcc, 6, v0
	ds_write_b32 v128, v8
	s_waitcnt lgkmcnt(0)
	; wave barrier
	s_and_saveexec_b64 s[10:11], vcc
	s_cbranch_execz .LBB94_516
; %bb.507:
	s_and_b64 vcc, exec, s[0:1]
	s_cbranch_vccnz .LBB94_509
; %bb.508:
	v_cmp_eq_u32_e32 vcc, 1, v0
	v_cndmask_b32_e32 v33, v2, v3, vcc
	v_cmp_eq_u32_e32 vcc, 2, v0
	v_cndmask_b32_e32 v33, v33, v4, vcc
	;; [unrolled: 2-line block ×26, first 2 shown]
	v_cmp_eq_u32_e32 vcc, 27, v0
	ds_read_b32 v34, v128
	v_cndmask_b32_e32 v33, v33, v29, vcc
	v_cmp_eq_u32_e32 vcc, 28, v0
	v_cndmask_b32_e32 v33, v33, v30, vcc
	v_cmp_eq_u32_e32 vcc, 29, v0
	;; [unrolled: 2-line block ×3, first 2 shown]
	v_cndmask_b32_e32 v33, v33, v32, vcc
	s_waitcnt lgkmcnt(0)
	v_mul_f32_e32 v36, v33, v34
	s_cbranch_execz .LBB94_510
	s_branch .LBB94_511
.LBB94_509:
                                        ; implicit-def: $vgpr36
.LBB94_510:
	ds_read_b32 v36, v128
.LBB94_511:
	v_cmp_ne_u32_e32 vcc, 5, v0
	s_and_saveexec_b64 s[12:13], vcc
	s_cbranch_execz .LBB94_515
; %bb.512:
	v_mov_b32_e32 v33, 0x84
	v_lshl_add_u32 v37, v0, 2, v33
	v_mov_b32_e32 v34, v1
	s_mov_b64 s[14:15], 0
	v_mov_b32_e32 v33, v0
.LBB94_513:                             ; =>This Inner Loop Header: Depth=1
	v_add_co_u32_e32 v33, vcc, 1, v33
	v_addc_co_u32_e32 v34, vcc, 0, v34, vcc
	v_cmp_eq_u32_e32 vcc, 1, v33
	v_cndmask_b32_e32 v39, v2, v3, vcc
	v_cmp_lt_u32_e32 vcc, 4, v33
	v_cmp_eq_u32_e64 s[8:9], 2, v33
	v_cndmask_b32_e64 v39, v39, v4, s[8:9]
	s_or_b64 s[14:15], vcc, s[14:15]
	v_cmp_eq_u32_e32 vcc, 3, v33
	v_cndmask_b32_e32 v39, v39, v5, vcc
	v_cmp_eq_u32_e32 vcc, 4, v33
	v_cndmask_b32_e32 v39, v39, v6, vcc
	;; [unrolled: 2-line block ×23, first 2 shown]
	v_cmp_eq_u32_e32 vcc, 26, v33
	ds_read_b32 v38, v37
	v_cndmask_b32_e32 v39, v39, v28, vcc
	v_cmp_eq_u32_e32 vcc, 27, v33
	v_cndmask_b32_e32 v39, v39, v29, vcc
	v_cmp_eq_u32_e32 vcc, 28, v33
	;; [unrolled: 2-line block ×4, first 2 shown]
	v_cndmask_b32_e32 v39, v39, v32, vcc
	v_add_u32_e32 v37, 4, v37
	s_waitcnt lgkmcnt(0)
	v_fmac_f32_e32 v36, v39, v38
	s_andn2_b64 exec, exec, s[14:15]
	s_cbranch_execnz .LBB94_513
; %bb.514:
	s_or_b64 exec, exec, s[14:15]
.LBB94_515:
	s_or_b64 exec, exec, s[12:13]
	v_mov_b32_e32 v8, 0
	ds_read_b32 v8, v8 offset:24
	s_waitcnt lgkmcnt(0)
	v_mul_f32_e32 v8, v36, v8
.LBB94_516:
	s_or_b64 exec, exec, s[10:11]
	v_cmp_gt_u32_e64 s[8:9], 7, v0
	ds_write_b32 v128, v9
	s_waitcnt lgkmcnt(0)
	; wave barrier
	s_and_saveexec_b64 s[12:13], s[8:9]
	s_cbranch_execz .LBB94_526
; %bb.517:
	s_and_b64 vcc, exec, s[0:1]
	s_cbranch_vccnz .LBB94_519
; %bb.518:
	v_cmp_eq_u32_e32 vcc, 1, v0
	v_cndmask_b32_e32 v33, v2, v3, vcc
	v_cmp_eq_u32_e32 vcc, 2, v0
	v_cndmask_b32_e32 v33, v33, v4, vcc
	;; [unrolled: 2-line block ×26, first 2 shown]
	v_cmp_eq_u32_e32 vcc, 27, v0
	ds_read_b32 v34, v128
	v_cndmask_b32_e32 v33, v33, v29, vcc
	v_cmp_eq_u32_e32 vcc, 28, v0
	v_cndmask_b32_e32 v33, v33, v30, vcc
	v_cmp_eq_u32_e32 vcc, 29, v0
	;; [unrolled: 2-line block ×3, first 2 shown]
	v_cndmask_b32_e32 v33, v33, v32, vcc
	s_waitcnt lgkmcnt(0)
	v_mul_f32_e32 v36, v33, v34
	s_cbranch_execz .LBB94_520
	s_branch .LBB94_521
.LBB94_519:
                                        ; implicit-def: $vgpr36
.LBB94_520:
	ds_read_b32 v36, v128
.LBB94_521:
	v_cmp_ne_u32_e32 vcc, 6, v0
	s_and_saveexec_b64 s[14:15], vcc
	s_cbranch_execz .LBB94_525
; %bb.522:
	v_mov_b32_e32 v33, 0x84
	v_lshl_add_u32 v37, v0, 2, v33
	v_mov_b32_e32 v34, v1
	s_mov_b64 s[16:17], 0
	v_mov_b32_e32 v33, v0
.LBB94_523:                             ; =>This Inner Loop Header: Depth=1
	v_add_co_u32_e32 v33, vcc, 1, v33
	v_addc_co_u32_e32 v34, vcc, 0, v34, vcc
	v_cmp_eq_u32_e32 vcc, 1, v33
	v_cndmask_b32_e32 v39, v2, v3, vcc
	v_cmp_lt_u32_e32 vcc, 5, v33
	v_cmp_eq_u32_e64 s[10:11], 2, v33
	v_cndmask_b32_e64 v39, v39, v4, s[10:11]
	s_or_b64 s[16:17], vcc, s[16:17]
	v_cmp_eq_u32_e32 vcc, 3, v33
	v_cndmask_b32_e32 v39, v39, v5, vcc
	v_cmp_eq_u32_e32 vcc, 4, v33
	v_cndmask_b32_e32 v39, v39, v6, vcc
	;; [unrolled: 2-line block ×23, first 2 shown]
	v_cmp_eq_u32_e32 vcc, 26, v33
	ds_read_b32 v38, v37
	v_cndmask_b32_e32 v39, v39, v28, vcc
	v_cmp_eq_u32_e32 vcc, 27, v33
	v_cndmask_b32_e32 v39, v39, v29, vcc
	v_cmp_eq_u32_e32 vcc, 28, v33
	;; [unrolled: 2-line block ×4, first 2 shown]
	v_cndmask_b32_e32 v39, v39, v32, vcc
	v_add_u32_e32 v37, 4, v37
	s_waitcnt lgkmcnt(0)
	v_fmac_f32_e32 v36, v39, v38
	s_andn2_b64 exec, exec, s[16:17]
	s_cbranch_execnz .LBB94_523
; %bb.524:
	s_or_b64 exec, exec, s[16:17]
.LBB94_525:
	s_or_b64 exec, exec, s[14:15]
	v_mov_b32_e32 v9, 0
	ds_read_b32 v9, v9 offset:28
	s_waitcnt lgkmcnt(0)
	v_mul_f32_e32 v9, v36, v9
.LBB94_526:
	s_or_b64 exec, exec, s[12:13]
	v_cmp_gt_u32_e32 vcc, 8, v0
	ds_write_b32 v128, v10
	s_waitcnt lgkmcnt(0)
	; wave barrier
	s_and_saveexec_b64 s[12:13], vcc
	s_cbranch_execz .LBB94_536
; %bb.527:
	s_and_b64 vcc, exec, s[0:1]
	s_cbranch_vccnz .LBB94_529
; %bb.528:
	v_cmp_eq_u32_e32 vcc, 1, v0
	v_cndmask_b32_e32 v33, v2, v3, vcc
	v_cmp_eq_u32_e32 vcc, 2, v0
	v_cndmask_b32_e32 v33, v33, v4, vcc
	;; [unrolled: 2-line block ×26, first 2 shown]
	v_cmp_eq_u32_e32 vcc, 27, v0
	ds_read_b32 v34, v128
	v_cndmask_b32_e32 v33, v33, v29, vcc
	v_cmp_eq_u32_e32 vcc, 28, v0
	v_cndmask_b32_e32 v33, v33, v30, vcc
	v_cmp_eq_u32_e32 vcc, 29, v0
	;; [unrolled: 2-line block ×3, first 2 shown]
	v_cndmask_b32_e32 v33, v33, v32, vcc
	s_waitcnt lgkmcnt(0)
	v_mul_f32_e32 v36, v33, v34
	s_cbranch_execz .LBB94_530
	s_branch .LBB94_531
.LBB94_529:
                                        ; implicit-def: $vgpr36
.LBB94_530:
	ds_read_b32 v36, v128
.LBB94_531:
	v_cmp_ne_u32_e32 vcc, 7, v0
	s_and_saveexec_b64 s[14:15], vcc
	s_cbranch_execz .LBB94_535
; %bb.532:
	v_mov_b32_e32 v33, 0x84
	v_lshl_add_u32 v37, v0, 2, v33
	v_mov_b32_e32 v34, v1
	s_mov_b64 s[16:17], 0
	v_mov_b32_e32 v33, v0
.LBB94_533:                             ; =>This Inner Loop Header: Depth=1
	v_add_co_u32_e32 v33, vcc, 1, v33
	v_addc_co_u32_e32 v34, vcc, 0, v34, vcc
	v_cmp_eq_u32_e32 vcc, 1, v33
	v_cndmask_b32_e32 v39, v2, v3, vcc
	v_cmp_lt_u32_e32 vcc, 6, v33
	v_cmp_eq_u32_e64 s[10:11], 2, v33
	v_cndmask_b32_e64 v39, v39, v4, s[10:11]
	s_or_b64 s[16:17], vcc, s[16:17]
	v_cmp_eq_u32_e32 vcc, 3, v33
	v_cndmask_b32_e32 v39, v39, v5, vcc
	v_cmp_eq_u32_e32 vcc, 4, v33
	v_cndmask_b32_e32 v39, v39, v6, vcc
	;; [unrolled: 2-line block ×23, first 2 shown]
	v_cmp_eq_u32_e32 vcc, 26, v33
	ds_read_b32 v38, v37
	v_cndmask_b32_e32 v39, v39, v28, vcc
	v_cmp_eq_u32_e32 vcc, 27, v33
	v_cndmask_b32_e32 v39, v39, v29, vcc
	v_cmp_eq_u32_e32 vcc, 28, v33
	;; [unrolled: 2-line block ×4, first 2 shown]
	v_cndmask_b32_e32 v39, v39, v32, vcc
	v_add_u32_e32 v37, 4, v37
	s_waitcnt lgkmcnt(0)
	v_fmac_f32_e32 v36, v39, v38
	s_andn2_b64 exec, exec, s[16:17]
	s_cbranch_execnz .LBB94_533
; %bb.534:
	s_or_b64 exec, exec, s[16:17]
.LBB94_535:
	s_or_b64 exec, exec, s[14:15]
	v_mov_b32_e32 v10, 0
	ds_read_b32 v10, v10 offset:32
	s_waitcnt lgkmcnt(0)
	v_mul_f32_e32 v10, v36, v10
.LBB94_536:
	s_or_b64 exec, exec, s[12:13]
	v_cmp_gt_u32_e32 vcc, 9, v0
	ds_write_b32 v128, v11
	s_waitcnt lgkmcnt(0)
	; wave barrier
	s_and_saveexec_b64 s[10:11], vcc
	s_cbranch_execz .LBB94_558
; %bb.537:
	s_and_b64 vcc, exec, s[0:1]
	s_cbranch_vccnz .LBB94_539
; %bb.538:
	v_cmp_eq_u32_e32 vcc, 1, v0
	v_cndmask_b32_e32 v33, v2, v3, vcc
	v_cmp_eq_u32_e32 vcc, 2, v0
	v_cndmask_b32_e32 v33, v33, v4, vcc
	;; [unrolled: 2-line block ×26, first 2 shown]
	v_cmp_eq_u32_e32 vcc, 27, v0
	ds_read_b32 v34, v128
	v_cndmask_b32_e32 v33, v33, v29, vcc
	v_cmp_eq_u32_e32 vcc, 28, v0
	v_cndmask_b32_e32 v33, v33, v30, vcc
	v_cmp_eq_u32_e32 vcc, 29, v0
	;; [unrolled: 2-line block ×3, first 2 shown]
	v_cndmask_b32_e32 v33, v33, v32, vcc
	s_waitcnt lgkmcnt(0)
	v_mul_f32_e32 v33, v33, v34
	s_cbranch_execz .LBB94_540
	s_branch .LBB94_541
.LBB94_539:
                                        ; implicit-def: $vgpr33
.LBB94_540:
	ds_read_b32 v33, v128
.LBB94_541:
	v_cmp_ne_u32_e32 vcc, 8, v0
	s_and_saveexec_b64 s[12:13], vcc
	s_cbranch_execz .LBB94_557
; %bb.542:
	v_cmp_eq_u32_e32 vcc, 1, v35
	v_cndmask_b32_e32 v34, v2, v3, vcc
	v_cmp_eq_u32_e32 vcc, 2, v35
	v_cndmask_b32_e32 v34, v34, v4, vcc
	;; [unrolled: 2-line block ×26, first 2 shown]
	v_cmp_eq_u32_e32 vcc, 27, v35
	ds_read_b32 v36, v128 offset:4
	v_cndmask_b32_e32 v34, v34, v29, vcc
	v_cmp_eq_u32_e32 vcc, 28, v35
	v_cndmask_b32_e32 v34, v34, v30, vcc
	v_cmp_eq_u32_e32 vcc, 29, v35
	v_cndmask_b32_e32 v34, v34, v31, vcc
	v_cmp_eq_u32_e32 vcc, 30, v35
	v_cndmask_b32_e32 v34, v34, v32, vcc
	s_waitcnt lgkmcnt(0)
	v_fmac_f32_e32 v33, v34, v36
	s_and_saveexec_b64 s[14:15], s[8:9]
	s_cbranch_execz .LBB94_556
; %bb.543:
	v_add_u32_e32 v34, 2, v0
	v_cmp_eq_u32_e32 vcc, 1, v34
	v_cndmask_b32_e32 v35, v2, v3, vcc
	v_cmp_eq_u32_e32 vcc, 2, v34
	v_cndmask_b32_e32 v35, v35, v4, vcc
	v_cmp_eq_u32_e32 vcc, 3, v34
	v_cndmask_b32_e32 v35, v35, v5, vcc
	v_cmp_eq_u32_e32 vcc, 4, v34
	v_cndmask_b32_e32 v35, v35, v6, vcc
	v_cmp_eq_u32_e32 vcc, 5, v34
	v_cndmask_b32_e32 v35, v35, v7, vcc
	v_cmp_eq_u32_e32 vcc, 6, v34
	v_cndmask_b32_e32 v35, v35, v8, vcc
	v_cmp_eq_u32_e32 vcc, 7, v34
	v_cndmask_b32_e32 v35, v35, v9, vcc
	v_cmp_eq_u32_e32 vcc, 8, v34
	v_cndmask_b32_e32 v35, v35, v10, vcc
	v_cmp_eq_u32_e32 vcc, 9, v34
	v_cndmask_b32_e32 v35, v35, v11, vcc
	v_cmp_eq_u32_e32 vcc, 10, v34
	v_cndmask_b32_e32 v35, v35, v12, vcc
	v_cmp_eq_u32_e32 vcc, 11, v34
	v_cndmask_b32_e32 v35, v35, v13, vcc
	v_cmp_eq_u32_e32 vcc, 12, v34
	v_cndmask_b32_e32 v35, v35, v14, vcc
	v_cmp_eq_u32_e32 vcc, 13, v34
	v_cndmask_b32_e32 v35, v35, v15, vcc
	v_cmp_eq_u32_e32 vcc, 14, v34
	v_cndmask_b32_e32 v35, v35, v16, vcc
	v_cmp_eq_u32_e32 vcc, 15, v34
	v_cndmask_b32_e32 v35, v35, v17, vcc
	v_cmp_eq_u32_e32 vcc, 16, v34
	v_cndmask_b32_e32 v35, v35, v18, vcc
	v_cmp_eq_u32_e32 vcc, 17, v34
	v_cndmask_b32_e32 v35, v35, v19, vcc
	v_cmp_eq_u32_e32 vcc, 18, v34
	v_cndmask_b32_e32 v35, v35, v20, vcc
	v_cmp_eq_u32_e32 vcc, 19, v34
	v_cndmask_b32_e32 v35, v35, v21, vcc
	v_cmp_eq_u32_e32 vcc, 20, v34
	v_cndmask_b32_e32 v35, v35, v22, vcc
	v_cmp_eq_u32_e32 vcc, 21, v34
	v_cndmask_b32_e32 v35, v35, v23, vcc
	v_cmp_eq_u32_e32 vcc, 22, v34
	v_cndmask_b32_e32 v35, v35, v24, vcc
	v_cmp_eq_u32_e32 vcc, 23, v34
	v_cndmask_b32_e32 v35, v35, v25, vcc
	v_cmp_eq_u32_e32 vcc, 24, v34
	v_cndmask_b32_e32 v35, v35, v26, vcc
	v_cmp_eq_u32_e32 vcc, 25, v34
	v_cndmask_b32_e32 v35, v35, v27, vcc
	v_cmp_eq_u32_e32 vcc, 26, v34
	v_cndmask_b32_e32 v35, v35, v28, vcc
	v_cmp_eq_u32_e32 vcc, 27, v34
	ds_read_b32 v36, v128 offset:8
	v_cndmask_b32_e32 v35, v35, v29, vcc
	v_cmp_eq_u32_e32 vcc, 28, v34
	v_cndmask_b32_e32 v35, v35, v30, vcc
	v_cmp_eq_u32_e32 vcc, 29, v34
	;; [unrolled: 2-line block ×3, first 2 shown]
	v_cndmask_b32_e32 v34, v35, v32, vcc
	s_waitcnt lgkmcnt(0)
	v_fmac_f32_e32 v33, v34, v36
	v_cmp_ne_u32_e32 vcc, 6, v0
	s_and_saveexec_b64 s[8:9], vcc
	s_cbranch_execz .LBB94_555
; %bb.544:
	v_add_u32_e32 v34, 3, v0
	v_cmp_eq_u32_e32 vcc, 1, v34
	v_cndmask_b32_e32 v35, v2, v3, vcc
	v_cmp_eq_u32_e32 vcc, 2, v34
	v_cndmask_b32_e32 v35, v35, v4, vcc
	v_cmp_eq_u32_e32 vcc, 3, v34
	v_cndmask_b32_e32 v35, v35, v5, vcc
	v_cmp_eq_u32_e32 vcc, 4, v34
	v_cndmask_b32_e32 v35, v35, v6, vcc
	v_cmp_eq_u32_e32 vcc, 5, v34
	v_cndmask_b32_e32 v35, v35, v7, vcc
	v_cmp_eq_u32_e32 vcc, 6, v34
	v_cndmask_b32_e32 v35, v35, v8, vcc
	v_cmp_eq_u32_e32 vcc, 7, v34
	v_cndmask_b32_e32 v35, v35, v9, vcc
	v_cmp_eq_u32_e32 vcc, 8, v34
	v_cndmask_b32_e32 v35, v35, v10, vcc
	v_cmp_eq_u32_e32 vcc, 9, v34
	v_cndmask_b32_e32 v35, v35, v11, vcc
	v_cmp_eq_u32_e32 vcc, 10, v34
	v_cndmask_b32_e32 v35, v35, v12, vcc
	v_cmp_eq_u32_e32 vcc, 11, v34
	v_cndmask_b32_e32 v35, v35, v13, vcc
	v_cmp_eq_u32_e32 vcc, 12, v34
	v_cndmask_b32_e32 v35, v35, v14, vcc
	v_cmp_eq_u32_e32 vcc, 13, v34
	v_cndmask_b32_e32 v35, v35, v15, vcc
	v_cmp_eq_u32_e32 vcc, 14, v34
	v_cndmask_b32_e32 v35, v35, v16, vcc
	v_cmp_eq_u32_e32 vcc, 15, v34
	v_cndmask_b32_e32 v35, v35, v17, vcc
	v_cmp_eq_u32_e32 vcc, 16, v34
	v_cndmask_b32_e32 v35, v35, v18, vcc
	v_cmp_eq_u32_e32 vcc, 17, v34
	v_cndmask_b32_e32 v35, v35, v19, vcc
	v_cmp_eq_u32_e32 vcc, 18, v34
	v_cndmask_b32_e32 v35, v35, v20, vcc
	v_cmp_eq_u32_e32 vcc, 19, v34
	v_cndmask_b32_e32 v35, v35, v21, vcc
	v_cmp_eq_u32_e32 vcc, 20, v34
	v_cndmask_b32_e32 v35, v35, v22, vcc
	v_cmp_eq_u32_e32 vcc, 21, v34
	v_cndmask_b32_e32 v35, v35, v23, vcc
	v_cmp_eq_u32_e32 vcc, 22, v34
	v_cndmask_b32_e32 v35, v35, v24, vcc
	v_cmp_eq_u32_e32 vcc, 23, v34
	v_cndmask_b32_e32 v35, v35, v25, vcc
	v_cmp_eq_u32_e32 vcc, 24, v34
	v_cndmask_b32_e32 v35, v35, v26, vcc
	v_cmp_eq_u32_e32 vcc, 25, v34
	v_cndmask_b32_e32 v35, v35, v27, vcc
	v_cmp_eq_u32_e32 vcc, 26, v34
	v_cndmask_b32_e32 v35, v35, v28, vcc
	v_cmp_eq_u32_e32 vcc, 27, v34
	ds_read_b32 v36, v128 offset:12
	v_cndmask_b32_e32 v35, v35, v29, vcc
	v_cmp_eq_u32_e32 vcc, 28, v34
	v_cndmask_b32_e32 v35, v35, v30, vcc
	v_cmp_eq_u32_e32 vcc, 29, v34
	v_cndmask_b32_e32 v35, v35, v31, vcc
	v_cmp_eq_u32_e32 vcc, 30, v34
	v_cndmask_b32_e32 v34, v35, v32, vcc
	s_waitcnt lgkmcnt(0)
	v_fmac_f32_e32 v33, v34, v36
	s_and_saveexec_b64 s[16:17], s[6:7]
	s_cbranch_execz .LBB94_554
; %bb.545:
	v_add_u32_e32 v34, 4, v0
	v_cmp_eq_u32_e32 vcc, 1, v34
	v_cndmask_b32_e32 v35, v2, v3, vcc
	v_cmp_eq_u32_e32 vcc, 2, v34
	v_cndmask_b32_e32 v35, v35, v4, vcc
	;; [unrolled: 2-line block ×26, first 2 shown]
	v_cmp_eq_u32_e32 vcc, 27, v34
	ds_read_b32 v36, v128 offset:16
	v_cndmask_b32_e32 v35, v35, v29, vcc
	v_cmp_eq_u32_e32 vcc, 28, v34
	v_cndmask_b32_e32 v35, v35, v30, vcc
	v_cmp_eq_u32_e32 vcc, 29, v34
	;; [unrolled: 2-line block ×3, first 2 shown]
	v_cndmask_b32_e32 v34, v35, v32, vcc
	s_waitcnt lgkmcnt(0)
	v_fmac_f32_e32 v33, v34, v36
	v_cmp_ne_u32_e32 vcc, 4, v0
	s_and_saveexec_b64 s[6:7], vcc
	s_cbranch_execz .LBB94_553
; %bb.546:
	v_add_u32_e32 v34, 5, v0
	v_cmp_eq_u32_e32 vcc, 1, v34
	v_cndmask_b32_e32 v35, v2, v3, vcc
	v_cmp_eq_u32_e32 vcc, 2, v34
	v_cndmask_b32_e32 v35, v35, v4, vcc
	;; [unrolled: 2-line block ×26, first 2 shown]
	v_cmp_eq_u32_e32 vcc, 27, v34
	ds_read_b32 v36, v128 offset:20
	v_cndmask_b32_e32 v35, v35, v29, vcc
	v_cmp_eq_u32_e32 vcc, 28, v34
	v_cndmask_b32_e32 v35, v35, v30, vcc
	v_cmp_eq_u32_e32 vcc, 29, v34
	;; [unrolled: 2-line block ×3, first 2 shown]
	v_cndmask_b32_e32 v34, v35, v32, vcc
	s_waitcnt lgkmcnt(0)
	v_fmac_f32_e32 v33, v34, v36
	s_and_saveexec_b64 s[18:19], s[4:5]
	s_cbranch_execz .LBB94_552
; %bb.547:
	v_add_u32_e32 v34, 6, v0
	v_cmp_eq_u32_e32 vcc, 1, v34
	v_cndmask_b32_e32 v35, v2, v3, vcc
	v_cmp_eq_u32_e32 vcc, 2, v34
	v_cndmask_b32_e32 v35, v35, v4, vcc
	;; [unrolled: 2-line block ×26, first 2 shown]
	v_cmp_eq_u32_e32 vcc, 27, v34
	ds_read_b32 v36, v128 offset:24
	v_cndmask_b32_e32 v35, v35, v29, vcc
	v_cmp_eq_u32_e32 vcc, 28, v34
	v_cndmask_b32_e32 v35, v35, v30, vcc
	v_cmp_eq_u32_e32 vcc, 29, v34
	;; [unrolled: 2-line block ×3, first 2 shown]
	v_cndmask_b32_e32 v34, v35, v32, vcc
	s_waitcnt lgkmcnt(0)
	v_fmac_f32_e32 v33, v34, v36
	v_cmp_ne_u32_e32 vcc, 2, v0
	s_and_saveexec_b64 s[4:5], vcc
	s_cbranch_execz .LBB94_551
; %bb.548:
	v_add_u32_e32 v34, 7, v0
	v_cmp_eq_u32_e32 vcc, 1, v34
	v_cndmask_b32_e32 v35, v2, v3, vcc
	v_cmp_eq_u32_e32 vcc, 2, v34
	v_cndmask_b32_e32 v35, v35, v4, vcc
	;; [unrolled: 2-line block ×26, first 2 shown]
	v_cmp_eq_u32_e32 vcc, 27, v34
	ds_read_b32 v35, v128 offset:28
	v_cndmask_b32_e32 v11, v11, v29, vcc
	v_cmp_eq_u32_e32 vcc, 28, v34
	v_cndmask_b32_e32 v11, v11, v30, vcc
	v_cmp_eq_u32_e32 vcc, 29, v34
	;; [unrolled: 2-line block ×3, first 2 shown]
	v_cndmask_b32_e32 v11, v11, v32, vcc
	s_waitcnt lgkmcnt(0)
	v_fmac_f32_e32 v33, v11, v35
	s_and_saveexec_b64 s[20:21], s[2:3]
	s_cbranch_execz .LBB94_550
; %bb.549:
	ds_read_b32 v11, v128 offset:32
	s_waitcnt lgkmcnt(0)
	v_fmac_f32_e32 v33, v10, v11
.LBB94_550:
	s_or_b64 exec, exec, s[20:21]
.LBB94_551:
	s_or_b64 exec, exec, s[4:5]
.LBB94_552:
	s_or_b64 exec, exec, s[18:19]
.LBB94_553:
	s_or_b64 exec, exec, s[6:7]
.LBB94_554:
	s_or_b64 exec, exec, s[16:17]
.LBB94_555:
	s_or_b64 exec, exec, s[8:9]
.LBB94_556:
	s_or_b64 exec, exec, s[14:15]
.LBB94_557:
	s_or_b64 exec, exec, s[12:13]
	v_mov_b32_e32 v11, 0
	ds_read_b32 v11, v11 offset:36
	s_waitcnt lgkmcnt(0)
	v_mul_f32_e32 v11, v33, v11
.LBB94_558:
	s_or_b64 exec, exec, s[10:11]
	v_cmp_gt_u32_e32 vcc, 10, v0
	ds_write_b32 v128, v12
	s_waitcnt lgkmcnt(0)
	; wave barrier
	s_and_saveexec_b64 s[4:5], vcc
	s_cbranch_execz .LBB94_568
; %bb.559:
	s_and_b64 vcc, exec, s[0:1]
	s_cbranch_vccnz .LBB94_561
; %bb.560:
	v_cmp_eq_u32_e32 vcc, 1, v0
	v_cndmask_b32_e32 v33, v2, v3, vcc
	v_cmp_eq_u32_e32 vcc, 2, v0
	v_cndmask_b32_e32 v33, v33, v4, vcc
	;; [unrolled: 2-line block ×26, first 2 shown]
	v_cmp_eq_u32_e32 vcc, 27, v0
	ds_read_b32 v34, v128
	v_cndmask_b32_e32 v33, v33, v29, vcc
	v_cmp_eq_u32_e32 vcc, 28, v0
	v_cndmask_b32_e32 v33, v33, v30, vcc
	v_cmp_eq_u32_e32 vcc, 29, v0
	;; [unrolled: 2-line block ×3, first 2 shown]
	v_cndmask_b32_e32 v33, v33, v32, vcc
	s_waitcnt lgkmcnt(0)
	v_mul_f32_e32 v35, v33, v34
	s_cbranch_execz .LBB94_562
	s_branch .LBB94_563
.LBB94_561:
                                        ; implicit-def: $vgpr35
.LBB94_562:
	ds_read_b32 v35, v128
.LBB94_563:
	v_cmp_ne_u32_e32 vcc, 9, v0
	s_and_saveexec_b64 s[6:7], vcc
	s_cbranch_execz .LBB94_567
; %bb.564:
	v_mov_b32_e32 v33, 0x84
	v_lshl_add_u32 v36, v0, 2, v33
	v_mov_b32_e32 v34, v1
	s_mov_b64 s[8:9], 0
	v_mov_b32_e32 v33, v0
.LBB94_565:                             ; =>This Inner Loop Header: Depth=1
	v_add_co_u32_e32 v33, vcc, 1, v33
	v_addc_co_u32_e32 v34, vcc, 0, v34, vcc
	v_cmp_eq_u32_e32 vcc, 1, v33
	v_cndmask_b32_e32 v38, v2, v3, vcc
	v_cmp_lt_u32_e32 vcc, 8, v33
	v_cmp_eq_u32_e64 s[2:3], 2, v33
	v_cndmask_b32_e64 v38, v38, v4, s[2:3]
	s_or_b64 s[8:9], vcc, s[8:9]
	v_cmp_eq_u32_e32 vcc, 3, v33
	v_cndmask_b32_e32 v38, v38, v5, vcc
	v_cmp_eq_u32_e32 vcc, 4, v33
	v_cndmask_b32_e32 v38, v38, v6, vcc
	v_cmp_eq_u32_e32 vcc, 5, v33
	v_cndmask_b32_e32 v38, v38, v7, vcc
	v_cmp_eq_u32_e32 vcc, 6, v33
	v_cndmask_b32_e32 v38, v38, v8, vcc
	v_cmp_eq_u32_e32 vcc, 7, v33
	v_cndmask_b32_e32 v38, v38, v9, vcc
	v_cmp_eq_u32_e32 vcc, 8, v33
	v_cndmask_b32_e32 v38, v38, v10, vcc
	v_cmp_eq_u32_e32 vcc, 9, v33
	v_cndmask_b32_e32 v38, v38, v11, vcc
	v_cmp_eq_u32_e32 vcc, 10, v33
	v_cndmask_b32_e32 v38, v38, v12, vcc
	v_cmp_eq_u32_e32 vcc, 11, v33
	v_cndmask_b32_e32 v38, v38, v13, vcc
	v_cmp_eq_u32_e32 vcc, 12, v33
	v_cndmask_b32_e32 v38, v38, v14, vcc
	v_cmp_eq_u32_e32 vcc, 13, v33
	v_cndmask_b32_e32 v38, v38, v15, vcc
	v_cmp_eq_u32_e32 vcc, 14, v33
	v_cndmask_b32_e32 v38, v38, v16, vcc
	v_cmp_eq_u32_e32 vcc, 15, v33
	v_cndmask_b32_e32 v38, v38, v17, vcc
	v_cmp_eq_u32_e32 vcc, 16, v33
	v_cndmask_b32_e32 v38, v38, v18, vcc
	v_cmp_eq_u32_e32 vcc, 17, v33
	v_cndmask_b32_e32 v38, v38, v19, vcc
	v_cmp_eq_u32_e32 vcc, 18, v33
	v_cndmask_b32_e32 v38, v38, v20, vcc
	v_cmp_eq_u32_e32 vcc, 19, v33
	v_cndmask_b32_e32 v38, v38, v21, vcc
	v_cmp_eq_u32_e32 vcc, 20, v33
	v_cndmask_b32_e32 v38, v38, v22, vcc
	v_cmp_eq_u32_e32 vcc, 21, v33
	v_cndmask_b32_e32 v38, v38, v23, vcc
	v_cmp_eq_u32_e32 vcc, 22, v33
	v_cndmask_b32_e32 v38, v38, v24, vcc
	v_cmp_eq_u32_e32 vcc, 23, v33
	v_cndmask_b32_e32 v38, v38, v25, vcc
	v_cmp_eq_u32_e32 vcc, 24, v33
	v_cndmask_b32_e32 v38, v38, v26, vcc
	v_cmp_eq_u32_e32 vcc, 25, v33
	v_cndmask_b32_e32 v38, v38, v27, vcc
	v_cmp_eq_u32_e32 vcc, 26, v33
	ds_read_b32 v37, v36
	v_cndmask_b32_e32 v38, v38, v28, vcc
	v_cmp_eq_u32_e32 vcc, 27, v33
	v_cndmask_b32_e32 v38, v38, v29, vcc
	v_cmp_eq_u32_e32 vcc, 28, v33
	;; [unrolled: 2-line block ×4, first 2 shown]
	v_cndmask_b32_e32 v38, v38, v32, vcc
	v_add_u32_e32 v36, 4, v36
	s_waitcnt lgkmcnt(0)
	v_fmac_f32_e32 v35, v38, v37
	s_andn2_b64 exec, exec, s[8:9]
	s_cbranch_execnz .LBB94_565
; %bb.566:
	s_or_b64 exec, exec, s[8:9]
.LBB94_567:
	s_or_b64 exec, exec, s[6:7]
	v_mov_b32_e32 v12, 0
	ds_read_b32 v12, v12 offset:40
	s_waitcnt lgkmcnt(0)
	v_mul_f32_e32 v12, v35, v12
.LBB94_568:
	s_or_b64 exec, exec, s[4:5]
	v_cmp_gt_u32_e32 vcc, 11, v0
	ds_write_b32 v128, v13
	s_waitcnt lgkmcnt(0)
	; wave barrier
	s_and_saveexec_b64 s[4:5], vcc
	s_cbranch_execz .LBB94_578
; %bb.569:
	s_and_b64 vcc, exec, s[0:1]
	s_cbranch_vccnz .LBB94_571
; %bb.570:
	v_cmp_eq_u32_e32 vcc, 1, v0
	v_cndmask_b32_e32 v33, v2, v3, vcc
	v_cmp_eq_u32_e32 vcc, 2, v0
	v_cndmask_b32_e32 v33, v33, v4, vcc
	;; [unrolled: 2-line block ×26, first 2 shown]
	v_cmp_eq_u32_e32 vcc, 27, v0
	ds_read_b32 v34, v128
	v_cndmask_b32_e32 v33, v33, v29, vcc
	v_cmp_eq_u32_e32 vcc, 28, v0
	v_cndmask_b32_e32 v33, v33, v30, vcc
	v_cmp_eq_u32_e32 vcc, 29, v0
	;; [unrolled: 2-line block ×3, first 2 shown]
	v_cndmask_b32_e32 v33, v33, v32, vcc
	s_waitcnt lgkmcnt(0)
	v_mul_f32_e32 v35, v33, v34
	s_cbranch_execz .LBB94_572
	s_branch .LBB94_573
.LBB94_571:
                                        ; implicit-def: $vgpr35
.LBB94_572:
	ds_read_b32 v35, v128
.LBB94_573:
	v_cmp_ne_u32_e32 vcc, 10, v0
	s_and_saveexec_b64 s[6:7], vcc
	s_cbranch_execz .LBB94_577
; %bb.574:
	v_mov_b32_e32 v33, 0x84
	v_lshl_add_u32 v36, v0, 2, v33
	v_mov_b32_e32 v34, v1
	s_mov_b64 s[8:9], 0
	v_mov_b32_e32 v33, v0
.LBB94_575:                             ; =>This Inner Loop Header: Depth=1
	v_add_co_u32_e32 v33, vcc, 1, v33
	v_addc_co_u32_e32 v34, vcc, 0, v34, vcc
	v_cmp_eq_u32_e32 vcc, 1, v33
	v_cndmask_b32_e32 v38, v2, v3, vcc
	v_cmp_lt_u32_e32 vcc, 9, v33
	v_cmp_eq_u32_e64 s[2:3], 2, v33
	v_cndmask_b32_e64 v38, v38, v4, s[2:3]
	s_or_b64 s[8:9], vcc, s[8:9]
	v_cmp_eq_u32_e32 vcc, 3, v33
	v_cndmask_b32_e32 v38, v38, v5, vcc
	v_cmp_eq_u32_e32 vcc, 4, v33
	v_cndmask_b32_e32 v38, v38, v6, vcc
	;; [unrolled: 2-line block ×23, first 2 shown]
	v_cmp_eq_u32_e32 vcc, 26, v33
	ds_read_b32 v37, v36
	v_cndmask_b32_e32 v38, v38, v28, vcc
	v_cmp_eq_u32_e32 vcc, 27, v33
	v_cndmask_b32_e32 v38, v38, v29, vcc
	v_cmp_eq_u32_e32 vcc, 28, v33
	;; [unrolled: 2-line block ×4, first 2 shown]
	v_cndmask_b32_e32 v38, v38, v32, vcc
	v_add_u32_e32 v36, 4, v36
	s_waitcnt lgkmcnt(0)
	v_fmac_f32_e32 v35, v38, v37
	s_andn2_b64 exec, exec, s[8:9]
	s_cbranch_execnz .LBB94_575
; %bb.576:
	s_or_b64 exec, exec, s[8:9]
.LBB94_577:
	s_or_b64 exec, exec, s[6:7]
	v_mov_b32_e32 v13, 0
	ds_read_b32 v13, v13 offset:44
	s_waitcnt lgkmcnt(0)
	v_mul_f32_e32 v13, v35, v13
.LBB94_578:
	s_or_b64 exec, exec, s[4:5]
	v_cmp_gt_u32_e32 vcc, 12, v0
	ds_write_b32 v128, v14
	s_waitcnt lgkmcnt(0)
	; wave barrier
	s_and_saveexec_b64 s[4:5], vcc
	s_cbranch_execz .LBB94_588
; %bb.579:
	s_and_b64 vcc, exec, s[0:1]
	s_cbranch_vccnz .LBB94_581
; %bb.580:
	v_cmp_eq_u32_e32 vcc, 1, v0
	v_cndmask_b32_e32 v33, v2, v3, vcc
	v_cmp_eq_u32_e32 vcc, 2, v0
	v_cndmask_b32_e32 v33, v33, v4, vcc
	;; [unrolled: 2-line block ×26, first 2 shown]
	v_cmp_eq_u32_e32 vcc, 27, v0
	ds_read_b32 v34, v128
	v_cndmask_b32_e32 v33, v33, v29, vcc
	v_cmp_eq_u32_e32 vcc, 28, v0
	v_cndmask_b32_e32 v33, v33, v30, vcc
	v_cmp_eq_u32_e32 vcc, 29, v0
	;; [unrolled: 2-line block ×3, first 2 shown]
	v_cndmask_b32_e32 v33, v33, v32, vcc
	s_waitcnt lgkmcnt(0)
	v_mul_f32_e32 v35, v33, v34
	s_cbranch_execz .LBB94_582
	s_branch .LBB94_583
.LBB94_581:
                                        ; implicit-def: $vgpr35
.LBB94_582:
	ds_read_b32 v35, v128
.LBB94_583:
	v_cmp_ne_u32_e32 vcc, 11, v0
	s_and_saveexec_b64 s[6:7], vcc
	s_cbranch_execz .LBB94_587
; %bb.584:
	v_mov_b32_e32 v33, 0x84
	v_lshl_add_u32 v36, v0, 2, v33
	v_mov_b32_e32 v34, v1
	s_mov_b64 s[8:9], 0
	v_mov_b32_e32 v33, v0
.LBB94_585:                             ; =>This Inner Loop Header: Depth=1
	v_add_co_u32_e32 v33, vcc, 1, v33
	v_addc_co_u32_e32 v34, vcc, 0, v34, vcc
	v_cmp_eq_u32_e32 vcc, 1, v33
	v_cndmask_b32_e32 v38, v2, v3, vcc
	v_cmp_lt_u32_e32 vcc, 10, v33
	v_cmp_eq_u32_e64 s[2:3], 2, v33
	v_cndmask_b32_e64 v38, v38, v4, s[2:3]
	s_or_b64 s[8:9], vcc, s[8:9]
	v_cmp_eq_u32_e32 vcc, 3, v33
	v_cndmask_b32_e32 v38, v38, v5, vcc
	v_cmp_eq_u32_e32 vcc, 4, v33
	v_cndmask_b32_e32 v38, v38, v6, vcc
	v_cmp_eq_u32_e32 vcc, 5, v33
	v_cndmask_b32_e32 v38, v38, v7, vcc
	v_cmp_eq_u32_e32 vcc, 6, v33
	v_cndmask_b32_e32 v38, v38, v8, vcc
	v_cmp_eq_u32_e32 vcc, 7, v33
	v_cndmask_b32_e32 v38, v38, v9, vcc
	v_cmp_eq_u32_e32 vcc, 8, v33
	v_cndmask_b32_e32 v38, v38, v10, vcc
	v_cmp_eq_u32_e32 vcc, 9, v33
	v_cndmask_b32_e32 v38, v38, v11, vcc
	v_cmp_eq_u32_e32 vcc, 10, v33
	v_cndmask_b32_e32 v38, v38, v12, vcc
	v_cmp_eq_u32_e32 vcc, 11, v33
	v_cndmask_b32_e32 v38, v38, v13, vcc
	v_cmp_eq_u32_e32 vcc, 12, v33
	v_cndmask_b32_e32 v38, v38, v14, vcc
	v_cmp_eq_u32_e32 vcc, 13, v33
	v_cndmask_b32_e32 v38, v38, v15, vcc
	v_cmp_eq_u32_e32 vcc, 14, v33
	v_cndmask_b32_e32 v38, v38, v16, vcc
	v_cmp_eq_u32_e32 vcc, 15, v33
	v_cndmask_b32_e32 v38, v38, v17, vcc
	v_cmp_eq_u32_e32 vcc, 16, v33
	v_cndmask_b32_e32 v38, v38, v18, vcc
	v_cmp_eq_u32_e32 vcc, 17, v33
	v_cndmask_b32_e32 v38, v38, v19, vcc
	v_cmp_eq_u32_e32 vcc, 18, v33
	v_cndmask_b32_e32 v38, v38, v20, vcc
	v_cmp_eq_u32_e32 vcc, 19, v33
	v_cndmask_b32_e32 v38, v38, v21, vcc
	v_cmp_eq_u32_e32 vcc, 20, v33
	v_cndmask_b32_e32 v38, v38, v22, vcc
	v_cmp_eq_u32_e32 vcc, 21, v33
	v_cndmask_b32_e32 v38, v38, v23, vcc
	v_cmp_eq_u32_e32 vcc, 22, v33
	v_cndmask_b32_e32 v38, v38, v24, vcc
	v_cmp_eq_u32_e32 vcc, 23, v33
	v_cndmask_b32_e32 v38, v38, v25, vcc
	v_cmp_eq_u32_e32 vcc, 24, v33
	v_cndmask_b32_e32 v38, v38, v26, vcc
	v_cmp_eq_u32_e32 vcc, 25, v33
	v_cndmask_b32_e32 v38, v38, v27, vcc
	v_cmp_eq_u32_e32 vcc, 26, v33
	ds_read_b32 v37, v36
	v_cndmask_b32_e32 v38, v38, v28, vcc
	v_cmp_eq_u32_e32 vcc, 27, v33
	v_cndmask_b32_e32 v38, v38, v29, vcc
	v_cmp_eq_u32_e32 vcc, 28, v33
	;; [unrolled: 2-line block ×4, first 2 shown]
	v_cndmask_b32_e32 v38, v38, v32, vcc
	v_add_u32_e32 v36, 4, v36
	s_waitcnt lgkmcnt(0)
	v_fmac_f32_e32 v35, v38, v37
	s_andn2_b64 exec, exec, s[8:9]
	s_cbranch_execnz .LBB94_585
; %bb.586:
	s_or_b64 exec, exec, s[8:9]
.LBB94_587:
	s_or_b64 exec, exec, s[6:7]
	v_mov_b32_e32 v14, 0
	ds_read_b32 v14, v14 offset:48
	s_waitcnt lgkmcnt(0)
	v_mul_f32_e32 v14, v35, v14
.LBB94_588:
	s_or_b64 exec, exec, s[4:5]
	v_cmp_gt_u32_e32 vcc, 13, v0
	ds_write_b32 v128, v15
	s_waitcnt lgkmcnt(0)
	; wave barrier
	s_and_saveexec_b64 s[4:5], vcc
	s_cbranch_execz .LBB94_598
; %bb.589:
	s_and_b64 vcc, exec, s[0:1]
	s_cbranch_vccnz .LBB94_591
; %bb.590:
	v_cmp_eq_u32_e32 vcc, 1, v0
	v_cndmask_b32_e32 v33, v2, v3, vcc
	v_cmp_eq_u32_e32 vcc, 2, v0
	v_cndmask_b32_e32 v33, v33, v4, vcc
	;; [unrolled: 2-line block ×26, first 2 shown]
	v_cmp_eq_u32_e32 vcc, 27, v0
	ds_read_b32 v34, v128
	v_cndmask_b32_e32 v33, v33, v29, vcc
	v_cmp_eq_u32_e32 vcc, 28, v0
	v_cndmask_b32_e32 v33, v33, v30, vcc
	v_cmp_eq_u32_e32 vcc, 29, v0
	;; [unrolled: 2-line block ×3, first 2 shown]
	v_cndmask_b32_e32 v33, v33, v32, vcc
	s_waitcnt lgkmcnt(0)
	v_mul_f32_e32 v35, v33, v34
	s_cbranch_execz .LBB94_592
	s_branch .LBB94_593
.LBB94_591:
                                        ; implicit-def: $vgpr35
.LBB94_592:
	ds_read_b32 v35, v128
.LBB94_593:
	v_cmp_ne_u32_e32 vcc, 12, v0
	s_and_saveexec_b64 s[6:7], vcc
	s_cbranch_execz .LBB94_597
; %bb.594:
	v_mov_b32_e32 v33, 0x84
	v_lshl_add_u32 v36, v0, 2, v33
	v_mov_b32_e32 v34, v1
	s_mov_b64 s[8:9], 0
	v_mov_b32_e32 v33, v0
.LBB94_595:                             ; =>This Inner Loop Header: Depth=1
	v_add_co_u32_e32 v33, vcc, 1, v33
	v_addc_co_u32_e32 v34, vcc, 0, v34, vcc
	v_cmp_eq_u32_e32 vcc, 1, v33
	v_cndmask_b32_e32 v38, v2, v3, vcc
	v_cmp_lt_u32_e32 vcc, 11, v33
	v_cmp_eq_u32_e64 s[2:3], 2, v33
	v_cndmask_b32_e64 v38, v38, v4, s[2:3]
	s_or_b64 s[8:9], vcc, s[8:9]
	v_cmp_eq_u32_e32 vcc, 3, v33
	v_cndmask_b32_e32 v38, v38, v5, vcc
	v_cmp_eq_u32_e32 vcc, 4, v33
	v_cndmask_b32_e32 v38, v38, v6, vcc
	v_cmp_eq_u32_e32 vcc, 5, v33
	v_cndmask_b32_e32 v38, v38, v7, vcc
	v_cmp_eq_u32_e32 vcc, 6, v33
	v_cndmask_b32_e32 v38, v38, v8, vcc
	v_cmp_eq_u32_e32 vcc, 7, v33
	v_cndmask_b32_e32 v38, v38, v9, vcc
	v_cmp_eq_u32_e32 vcc, 8, v33
	v_cndmask_b32_e32 v38, v38, v10, vcc
	v_cmp_eq_u32_e32 vcc, 9, v33
	v_cndmask_b32_e32 v38, v38, v11, vcc
	v_cmp_eq_u32_e32 vcc, 10, v33
	v_cndmask_b32_e32 v38, v38, v12, vcc
	v_cmp_eq_u32_e32 vcc, 11, v33
	v_cndmask_b32_e32 v38, v38, v13, vcc
	v_cmp_eq_u32_e32 vcc, 12, v33
	v_cndmask_b32_e32 v38, v38, v14, vcc
	v_cmp_eq_u32_e32 vcc, 13, v33
	v_cndmask_b32_e32 v38, v38, v15, vcc
	v_cmp_eq_u32_e32 vcc, 14, v33
	v_cndmask_b32_e32 v38, v38, v16, vcc
	v_cmp_eq_u32_e32 vcc, 15, v33
	v_cndmask_b32_e32 v38, v38, v17, vcc
	v_cmp_eq_u32_e32 vcc, 16, v33
	v_cndmask_b32_e32 v38, v38, v18, vcc
	v_cmp_eq_u32_e32 vcc, 17, v33
	v_cndmask_b32_e32 v38, v38, v19, vcc
	v_cmp_eq_u32_e32 vcc, 18, v33
	v_cndmask_b32_e32 v38, v38, v20, vcc
	v_cmp_eq_u32_e32 vcc, 19, v33
	v_cndmask_b32_e32 v38, v38, v21, vcc
	v_cmp_eq_u32_e32 vcc, 20, v33
	v_cndmask_b32_e32 v38, v38, v22, vcc
	v_cmp_eq_u32_e32 vcc, 21, v33
	v_cndmask_b32_e32 v38, v38, v23, vcc
	v_cmp_eq_u32_e32 vcc, 22, v33
	v_cndmask_b32_e32 v38, v38, v24, vcc
	v_cmp_eq_u32_e32 vcc, 23, v33
	v_cndmask_b32_e32 v38, v38, v25, vcc
	v_cmp_eq_u32_e32 vcc, 24, v33
	v_cndmask_b32_e32 v38, v38, v26, vcc
	v_cmp_eq_u32_e32 vcc, 25, v33
	v_cndmask_b32_e32 v38, v38, v27, vcc
	v_cmp_eq_u32_e32 vcc, 26, v33
	ds_read_b32 v37, v36
	v_cndmask_b32_e32 v38, v38, v28, vcc
	v_cmp_eq_u32_e32 vcc, 27, v33
	v_cndmask_b32_e32 v38, v38, v29, vcc
	v_cmp_eq_u32_e32 vcc, 28, v33
	;; [unrolled: 2-line block ×4, first 2 shown]
	v_cndmask_b32_e32 v38, v38, v32, vcc
	v_add_u32_e32 v36, 4, v36
	s_waitcnt lgkmcnt(0)
	v_fmac_f32_e32 v35, v38, v37
	s_andn2_b64 exec, exec, s[8:9]
	s_cbranch_execnz .LBB94_595
; %bb.596:
	s_or_b64 exec, exec, s[8:9]
.LBB94_597:
	s_or_b64 exec, exec, s[6:7]
	v_mov_b32_e32 v15, 0
	ds_read_b32 v15, v15 offset:52
	s_waitcnt lgkmcnt(0)
	v_mul_f32_e32 v15, v35, v15
.LBB94_598:
	s_or_b64 exec, exec, s[4:5]
	v_cmp_gt_u32_e32 vcc, 14, v0
	ds_write_b32 v128, v16
	s_waitcnt lgkmcnt(0)
	; wave barrier
	s_and_saveexec_b64 s[4:5], vcc
	s_cbranch_execz .LBB94_608
; %bb.599:
	s_and_b64 vcc, exec, s[0:1]
	s_cbranch_vccnz .LBB94_601
; %bb.600:
	v_cmp_eq_u32_e32 vcc, 1, v0
	v_cndmask_b32_e32 v33, v2, v3, vcc
	v_cmp_eq_u32_e32 vcc, 2, v0
	v_cndmask_b32_e32 v33, v33, v4, vcc
	;; [unrolled: 2-line block ×26, first 2 shown]
	v_cmp_eq_u32_e32 vcc, 27, v0
	ds_read_b32 v34, v128
	v_cndmask_b32_e32 v33, v33, v29, vcc
	v_cmp_eq_u32_e32 vcc, 28, v0
	v_cndmask_b32_e32 v33, v33, v30, vcc
	v_cmp_eq_u32_e32 vcc, 29, v0
	;; [unrolled: 2-line block ×3, first 2 shown]
	v_cndmask_b32_e32 v33, v33, v32, vcc
	s_waitcnt lgkmcnt(0)
	v_mul_f32_e32 v35, v33, v34
	s_cbranch_execz .LBB94_602
	s_branch .LBB94_603
.LBB94_601:
                                        ; implicit-def: $vgpr35
.LBB94_602:
	ds_read_b32 v35, v128
.LBB94_603:
	v_cmp_ne_u32_e32 vcc, 13, v0
	s_and_saveexec_b64 s[6:7], vcc
	s_cbranch_execz .LBB94_607
; %bb.604:
	v_mov_b32_e32 v33, 0x84
	v_lshl_add_u32 v36, v0, 2, v33
	v_mov_b32_e32 v34, v1
	s_mov_b64 s[8:9], 0
	v_mov_b32_e32 v33, v0
.LBB94_605:                             ; =>This Inner Loop Header: Depth=1
	v_add_co_u32_e32 v33, vcc, 1, v33
	v_addc_co_u32_e32 v34, vcc, 0, v34, vcc
	v_cmp_eq_u32_e32 vcc, 1, v33
	v_cndmask_b32_e32 v38, v2, v3, vcc
	v_cmp_lt_u32_e32 vcc, 12, v33
	v_cmp_eq_u32_e64 s[2:3], 2, v33
	v_cndmask_b32_e64 v38, v38, v4, s[2:3]
	s_or_b64 s[8:9], vcc, s[8:9]
	v_cmp_eq_u32_e32 vcc, 3, v33
	v_cndmask_b32_e32 v38, v38, v5, vcc
	v_cmp_eq_u32_e32 vcc, 4, v33
	v_cndmask_b32_e32 v38, v38, v6, vcc
	;; [unrolled: 2-line block ×23, first 2 shown]
	v_cmp_eq_u32_e32 vcc, 26, v33
	ds_read_b32 v37, v36
	v_cndmask_b32_e32 v38, v38, v28, vcc
	v_cmp_eq_u32_e32 vcc, 27, v33
	v_cndmask_b32_e32 v38, v38, v29, vcc
	v_cmp_eq_u32_e32 vcc, 28, v33
	;; [unrolled: 2-line block ×4, first 2 shown]
	v_cndmask_b32_e32 v38, v38, v32, vcc
	v_add_u32_e32 v36, 4, v36
	s_waitcnt lgkmcnt(0)
	v_fmac_f32_e32 v35, v38, v37
	s_andn2_b64 exec, exec, s[8:9]
	s_cbranch_execnz .LBB94_605
; %bb.606:
	s_or_b64 exec, exec, s[8:9]
.LBB94_607:
	s_or_b64 exec, exec, s[6:7]
	v_mov_b32_e32 v16, 0
	ds_read_b32 v16, v16 offset:56
	s_waitcnt lgkmcnt(0)
	v_mul_f32_e32 v16, v35, v16
.LBB94_608:
	s_or_b64 exec, exec, s[4:5]
	v_cmp_gt_u32_e32 vcc, 15, v0
	ds_write_b32 v128, v17
	s_waitcnt lgkmcnt(0)
	; wave barrier
	s_and_saveexec_b64 s[4:5], vcc
	s_cbranch_execz .LBB94_618
; %bb.609:
	s_and_b64 vcc, exec, s[0:1]
	s_cbranch_vccnz .LBB94_611
; %bb.610:
	v_cmp_eq_u32_e32 vcc, 1, v0
	v_cndmask_b32_e32 v33, v2, v3, vcc
	v_cmp_eq_u32_e32 vcc, 2, v0
	v_cndmask_b32_e32 v33, v33, v4, vcc
	;; [unrolled: 2-line block ×26, first 2 shown]
	v_cmp_eq_u32_e32 vcc, 27, v0
	ds_read_b32 v34, v128
	v_cndmask_b32_e32 v33, v33, v29, vcc
	v_cmp_eq_u32_e32 vcc, 28, v0
	v_cndmask_b32_e32 v33, v33, v30, vcc
	v_cmp_eq_u32_e32 vcc, 29, v0
	;; [unrolled: 2-line block ×3, first 2 shown]
	v_cndmask_b32_e32 v33, v33, v32, vcc
	s_waitcnt lgkmcnt(0)
	v_mul_f32_e32 v35, v33, v34
	s_cbranch_execz .LBB94_612
	s_branch .LBB94_613
.LBB94_611:
                                        ; implicit-def: $vgpr35
.LBB94_612:
	ds_read_b32 v35, v128
.LBB94_613:
	v_cmp_ne_u32_e32 vcc, 14, v0
	s_and_saveexec_b64 s[6:7], vcc
	s_cbranch_execz .LBB94_617
; %bb.614:
	v_mov_b32_e32 v33, 0x84
	v_lshl_add_u32 v36, v0, 2, v33
	v_mov_b32_e32 v34, v1
	s_mov_b64 s[8:9], 0
	v_mov_b32_e32 v33, v0
.LBB94_615:                             ; =>This Inner Loop Header: Depth=1
	v_add_co_u32_e32 v33, vcc, 1, v33
	v_addc_co_u32_e32 v34, vcc, 0, v34, vcc
	v_cmp_eq_u32_e32 vcc, 1, v33
	v_cndmask_b32_e32 v38, v2, v3, vcc
	v_cmp_lt_u32_e32 vcc, 13, v33
	v_cmp_eq_u32_e64 s[2:3], 2, v33
	v_cndmask_b32_e64 v38, v38, v4, s[2:3]
	s_or_b64 s[8:9], vcc, s[8:9]
	v_cmp_eq_u32_e32 vcc, 3, v33
	v_cndmask_b32_e32 v38, v38, v5, vcc
	v_cmp_eq_u32_e32 vcc, 4, v33
	v_cndmask_b32_e32 v38, v38, v6, vcc
	;; [unrolled: 2-line block ×23, first 2 shown]
	v_cmp_eq_u32_e32 vcc, 26, v33
	ds_read_b32 v37, v36
	v_cndmask_b32_e32 v38, v38, v28, vcc
	v_cmp_eq_u32_e32 vcc, 27, v33
	v_cndmask_b32_e32 v38, v38, v29, vcc
	v_cmp_eq_u32_e32 vcc, 28, v33
	;; [unrolled: 2-line block ×4, first 2 shown]
	v_cndmask_b32_e32 v38, v38, v32, vcc
	v_add_u32_e32 v36, 4, v36
	s_waitcnt lgkmcnt(0)
	v_fmac_f32_e32 v35, v38, v37
	s_andn2_b64 exec, exec, s[8:9]
	s_cbranch_execnz .LBB94_615
; %bb.616:
	s_or_b64 exec, exec, s[8:9]
.LBB94_617:
	s_or_b64 exec, exec, s[6:7]
	v_mov_b32_e32 v17, 0
	ds_read_b32 v17, v17 offset:60
	s_waitcnt lgkmcnt(0)
	v_mul_f32_e32 v17, v35, v17
.LBB94_618:
	s_or_b64 exec, exec, s[4:5]
	v_cmp_gt_u32_e32 vcc, 16, v0
	ds_write_b32 v128, v18
	s_waitcnt lgkmcnt(0)
	; wave barrier
	s_and_saveexec_b64 s[4:5], vcc
	s_cbranch_execz .LBB94_628
; %bb.619:
	s_and_b64 vcc, exec, s[0:1]
	s_cbranch_vccnz .LBB94_621
; %bb.620:
	v_cmp_eq_u32_e32 vcc, 1, v0
	v_cndmask_b32_e32 v33, v2, v3, vcc
	v_cmp_eq_u32_e32 vcc, 2, v0
	v_cndmask_b32_e32 v33, v33, v4, vcc
	v_cmp_eq_u32_e32 vcc, 3, v0
	v_cndmask_b32_e32 v33, v33, v5, vcc
	v_cmp_eq_u32_e32 vcc, 4, v0
	v_cndmask_b32_e32 v33, v33, v6, vcc
	v_cmp_eq_u32_e32 vcc, 5, v0
	v_cndmask_b32_e32 v33, v33, v7, vcc
	v_cmp_eq_u32_e32 vcc, 6, v0
	v_cndmask_b32_e32 v33, v33, v8, vcc
	v_cmp_eq_u32_e32 vcc, 7, v0
	v_cndmask_b32_e32 v33, v33, v9, vcc
	v_cmp_eq_u32_e32 vcc, 8, v0
	v_cndmask_b32_e32 v33, v33, v10, vcc
	v_cmp_eq_u32_e32 vcc, 9, v0
	v_cndmask_b32_e32 v33, v33, v11, vcc
	v_cmp_eq_u32_e32 vcc, 10, v0
	v_cndmask_b32_e32 v33, v33, v12, vcc
	v_cmp_eq_u32_e32 vcc, 11, v0
	v_cndmask_b32_e32 v33, v33, v13, vcc
	v_cmp_eq_u32_e32 vcc, 12, v0
	v_cndmask_b32_e32 v33, v33, v14, vcc
	v_cmp_eq_u32_e32 vcc, 13, v0
	v_cndmask_b32_e32 v33, v33, v15, vcc
	v_cmp_eq_u32_e32 vcc, 14, v0
	v_cndmask_b32_e32 v33, v33, v16, vcc
	v_cmp_eq_u32_e32 vcc, 15, v0
	v_cndmask_b32_e32 v33, v33, v17, vcc
	v_cmp_eq_u32_e32 vcc, 16, v0
	v_cndmask_b32_e32 v33, v33, v18, vcc
	v_cmp_eq_u32_e32 vcc, 17, v0
	v_cndmask_b32_e32 v33, v33, v19, vcc
	v_cmp_eq_u32_e32 vcc, 18, v0
	v_cndmask_b32_e32 v33, v33, v20, vcc
	v_cmp_eq_u32_e32 vcc, 19, v0
	v_cndmask_b32_e32 v33, v33, v21, vcc
	v_cmp_eq_u32_e32 vcc, 20, v0
	v_cndmask_b32_e32 v33, v33, v22, vcc
	v_cmp_eq_u32_e32 vcc, 21, v0
	v_cndmask_b32_e32 v33, v33, v23, vcc
	v_cmp_eq_u32_e32 vcc, 22, v0
	v_cndmask_b32_e32 v33, v33, v24, vcc
	v_cmp_eq_u32_e32 vcc, 23, v0
	v_cndmask_b32_e32 v33, v33, v25, vcc
	v_cmp_eq_u32_e32 vcc, 24, v0
	v_cndmask_b32_e32 v33, v33, v26, vcc
	v_cmp_eq_u32_e32 vcc, 25, v0
	v_cndmask_b32_e32 v33, v33, v27, vcc
	v_cmp_eq_u32_e32 vcc, 26, v0
	v_cndmask_b32_e32 v33, v33, v28, vcc
	v_cmp_eq_u32_e32 vcc, 27, v0
	ds_read_b32 v34, v128
	v_cndmask_b32_e32 v33, v33, v29, vcc
	v_cmp_eq_u32_e32 vcc, 28, v0
	v_cndmask_b32_e32 v33, v33, v30, vcc
	v_cmp_eq_u32_e32 vcc, 29, v0
	;; [unrolled: 2-line block ×3, first 2 shown]
	v_cndmask_b32_e32 v33, v33, v32, vcc
	s_waitcnt lgkmcnt(0)
	v_mul_f32_e32 v35, v33, v34
	s_cbranch_execz .LBB94_622
	s_branch .LBB94_623
.LBB94_621:
                                        ; implicit-def: $vgpr35
.LBB94_622:
	ds_read_b32 v35, v128
.LBB94_623:
	v_cmp_ne_u32_e32 vcc, 15, v0
	s_and_saveexec_b64 s[6:7], vcc
	s_cbranch_execz .LBB94_627
; %bb.624:
	v_mov_b32_e32 v33, 0x84
	v_lshl_add_u32 v36, v0, 2, v33
	v_mov_b32_e32 v34, v1
	s_mov_b64 s[8:9], 0
	v_mov_b32_e32 v33, v0
.LBB94_625:                             ; =>This Inner Loop Header: Depth=1
	v_add_co_u32_e32 v33, vcc, 1, v33
	v_addc_co_u32_e32 v34, vcc, 0, v34, vcc
	v_cmp_eq_u32_e32 vcc, 1, v33
	v_cndmask_b32_e32 v38, v2, v3, vcc
	v_cmp_lt_u32_e32 vcc, 14, v33
	v_cmp_eq_u32_e64 s[2:3], 2, v33
	v_cndmask_b32_e64 v38, v38, v4, s[2:3]
	s_or_b64 s[8:9], vcc, s[8:9]
	v_cmp_eq_u32_e32 vcc, 3, v33
	v_cndmask_b32_e32 v38, v38, v5, vcc
	v_cmp_eq_u32_e32 vcc, 4, v33
	v_cndmask_b32_e32 v38, v38, v6, vcc
	v_cmp_eq_u32_e32 vcc, 5, v33
	v_cndmask_b32_e32 v38, v38, v7, vcc
	v_cmp_eq_u32_e32 vcc, 6, v33
	v_cndmask_b32_e32 v38, v38, v8, vcc
	v_cmp_eq_u32_e32 vcc, 7, v33
	v_cndmask_b32_e32 v38, v38, v9, vcc
	v_cmp_eq_u32_e32 vcc, 8, v33
	v_cndmask_b32_e32 v38, v38, v10, vcc
	v_cmp_eq_u32_e32 vcc, 9, v33
	v_cndmask_b32_e32 v38, v38, v11, vcc
	v_cmp_eq_u32_e32 vcc, 10, v33
	v_cndmask_b32_e32 v38, v38, v12, vcc
	v_cmp_eq_u32_e32 vcc, 11, v33
	v_cndmask_b32_e32 v38, v38, v13, vcc
	v_cmp_eq_u32_e32 vcc, 12, v33
	v_cndmask_b32_e32 v38, v38, v14, vcc
	v_cmp_eq_u32_e32 vcc, 13, v33
	v_cndmask_b32_e32 v38, v38, v15, vcc
	v_cmp_eq_u32_e32 vcc, 14, v33
	v_cndmask_b32_e32 v38, v38, v16, vcc
	v_cmp_eq_u32_e32 vcc, 15, v33
	v_cndmask_b32_e32 v38, v38, v17, vcc
	v_cmp_eq_u32_e32 vcc, 16, v33
	v_cndmask_b32_e32 v38, v38, v18, vcc
	v_cmp_eq_u32_e32 vcc, 17, v33
	v_cndmask_b32_e32 v38, v38, v19, vcc
	v_cmp_eq_u32_e32 vcc, 18, v33
	v_cndmask_b32_e32 v38, v38, v20, vcc
	v_cmp_eq_u32_e32 vcc, 19, v33
	v_cndmask_b32_e32 v38, v38, v21, vcc
	v_cmp_eq_u32_e32 vcc, 20, v33
	v_cndmask_b32_e32 v38, v38, v22, vcc
	v_cmp_eq_u32_e32 vcc, 21, v33
	v_cndmask_b32_e32 v38, v38, v23, vcc
	v_cmp_eq_u32_e32 vcc, 22, v33
	v_cndmask_b32_e32 v38, v38, v24, vcc
	v_cmp_eq_u32_e32 vcc, 23, v33
	v_cndmask_b32_e32 v38, v38, v25, vcc
	v_cmp_eq_u32_e32 vcc, 24, v33
	v_cndmask_b32_e32 v38, v38, v26, vcc
	v_cmp_eq_u32_e32 vcc, 25, v33
	v_cndmask_b32_e32 v38, v38, v27, vcc
	v_cmp_eq_u32_e32 vcc, 26, v33
	ds_read_b32 v37, v36
	v_cndmask_b32_e32 v38, v38, v28, vcc
	v_cmp_eq_u32_e32 vcc, 27, v33
	v_cndmask_b32_e32 v38, v38, v29, vcc
	v_cmp_eq_u32_e32 vcc, 28, v33
	v_cndmask_b32_e32 v38, v38, v30, vcc
	v_cmp_eq_u32_e32 vcc, 29, v33
	v_cndmask_b32_e32 v38, v38, v31, vcc
	v_cmp_eq_u32_e32 vcc, 30, v33
	v_cndmask_b32_e32 v38, v38, v32, vcc
	v_add_u32_e32 v36, 4, v36
	s_waitcnt lgkmcnt(0)
	v_fmac_f32_e32 v35, v38, v37
	s_andn2_b64 exec, exec, s[8:9]
	s_cbranch_execnz .LBB94_625
; %bb.626:
	s_or_b64 exec, exec, s[8:9]
.LBB94_627:
	s_or_b64 exec, exec, s[6:7]
	v_mov_b32_e32 v18, 0
	ds_read_b32 v18, v18 offset:64
	s_waitcnt lgkmcnt(0)
	v_mul_f32_e32 v18, v35, v18
.LBB94_628:
	s_or_b64 exec, exec, s[4:5]
	v_cmp_gt_u32_e32 vcc, 17, v0
	ds_write_b32 v128, v19
	s_waitcnt lgkmcnt(0)
	; wave barrier
	s_and_saveexec_b64 s[4:5], vcc
	s_cbranch_execz .LBB94_638
; %bb.629:
	s_and_b64 vcc, exec, s[0:1]
	s_cbranch_vccnz .LBB94_631
; %bb.630:
	v_cmp_eq_u32_e32 vcc, 1, v0
	v_cndmask_b32_e32 v33, v2, v3, vcc
	v_cmp_eq_u32_e32 vcc, 2, v0
	v_cndmask_b32_e32 v33, v33, v4, vcc
	;; [unrolled: 2-line block ×26, first 2 shown]
	v_cmp_eq_u32_e32 vcc, 27, v0
	ds_read_b32 v34, v128
	v_cndmask_b32_e32 v33, v33, v29, vcc
	v_cmp_eq_u32_e32 vcc, 28, v0
	v_cndmask_b32_e32 v33, v33, v30, vcc
	v_cmp_eq_u32_e32 vcc, 29, v0
	;; [unrolled: 2-line block ×3, first 2 shown]
	v_cndmask_b32_e32 v33, v33, v32, vcc
	s_waitcnt lgkmcnt(0)
	v_mul_f32_e32 v35, v33, v34
	s_cbranch_execz .LBB94_632
	s_branch .LBB94_633
.LBB94_631:
                                        ; implicit-def: $vgpr35
.LBB94_632:
	ds_read_b32 v35, v128
.LBB94_633:
	v_cmp_ne_u32_e32 vcc, 16, v0
	s_and_saveexec_b64 s[6:7], vcc
	s_cbranch_execz .LBB94_637
; %bb.634:
	v_mov_b32_e32 v33, 0x84
	v_lshl_add_u32 v36, v0, 2, v33
	v_mov_b32_e32 v34, v1
	s_mov_b64 s[8:9], 0
	v_mov_b32_e32 v33, v0
.LBB94_635:                             ; =>This Inner Loop Header: Depth=1
	v_add_co_u32_e32 v33, vcc, 1, v33
	v_addc_co_u32_e32 v34, vcc, 0, v34, vcc
	v_cmp_eq_u32_e32 vcc, 1, v33
	v_cndmask_b32_e32 v38, v2, v3, vcc
	v_cmp_lt_u32_e32 vcc, 15, v33
	v_cmp_eq_u32_e64 s[2:3], 2, v33
	v_cndmask_b32_e64 v38, v38, v4, s[2:3]
	s_or_b64 s[8:9], vcc, s[8:9]
	v_cmp_eq_u32_e32 vcc, 3, v33
	v_cndmask_b32_e32 v38, v38, v5, vcc
	v_cmp_eq_u32_e32 vcc, 4, v33
	v_cndmask_b32_e32 v38, v38, v6, vcc
	v_cmp_eq_u32_e32 vcc, 5, v33
	v_cndmask_b32_e32 v38, v38, v7, vcc
	v_cmp_eq_u32_e32 vcc, 6, v33
	v_cndmask_b32_e32 v38, v38, v8, vcc
	v_cmp_eq_u32_e32 vcc, 7, v33
	v_cndmask_b32_e32 v38, v38, v9, vcc
	v_cmp_eq_u32_e32 vcc, 8, v33
	v_cndmask_b32_e32 v38, v38, v10, vcc
	v_cmp_eq_u32_e32 vcc, 9, v33
	v_cndmask_b32_e32 v38, v38, v11, vcc
	v_cmp_eq_u32_e32 vcc, 10, v33
	v_cndmask_b32_e32 v38, v38, v12, vcc
	v_cmp_eq_u32_e32 vcc, 11, v33
	v_cndmask_b32_e32 v38, v38, v13, vcc
	v_cmp_eq_u32_e32 vcc, 12, v33
	v_cndmask_b32_e32 v38, v38, v14, vcc
	v_cmp_eq_u32_e32 vcc, 13, v33
	v_cndmask_b32_e32 v38, v38, v15, vcc
	v_cmp_eq_u32_e32 vcc, 14, v33
	v_cndmask_b32_e32 v38, v38, v16, vcc
	v_cmp_eq_u32_e32 vcc, 15, v33
	v_cndmask_b32_e32 v38, v38, v17, vcc
	v_cmp_eq_u32_e32 vcc, 16, v33
	v_cndmask_b32_e32 v38, v38, v18, vcc
	v_cmp_eq_u32_e32 vcc, 17, v33
	v_cndmask_b32_e32 v38, v38, v19, vcc
	v_cmp_eq_u32_e32 vcc, 18, v33
	v_cndmask_b32_e32 v38, v38, v20, vcc
	v_cmp_eq_u32_e32 vcc, 19, v33
	v_cndmask_b32_e32 v38, v38, v21, vcc
	v_cmp_eq_u32_e32 vcc, 20, v33
	v_cndmask_b32_e32 v38, v38, v22, vcc
	v_cmp_eq_u32_e32 vcc, 21, v33
	v_cndmask_b32_e32 v38, v38, v23, vcc
	v_cmp_eq_u32_e32 vcc, 22, v33
	v_cndmask_b32_e32 v38, v38, v24, vcc
	v_cmp_eq_u32_e32 vcc, 23, v33
	v_cndmask_b32_e32 v38, v38, v25, vcc
	v_cmp_eq_u32_e32 vcc, 24, v33
	v_cndmask_b32_e32 v38, v38, v26, vcc
	v_cmp_eq_u32_e32 vcc, 25, v33
	v_cndmask_b32_e32 v38, v38, v27, vcc
	v_cmp_eq_u32_e32 vcc, 26, v33
	ds_read_b32 v37, v36
	v_cndmask_b32_e32 v38, v38, v28, vcc
	v_cmp_eq_u32_e32 vcc, 27, v33
	v_cndmask_b32_e32 v38, v38, v29, vcc
	v_cmp_eq_u32_e32 vcc, 28, v33
	;; [unrolled: 2-line block ×4, first 2 shown]
	v_cndmask_b32_e32 v38, v38, v32, vcc
	v_add_u32_e32 v36, 4, v36
	s_waitcnt lgkmcnt(0)
	v_fmac_f32_e32 v35, v38, v37
	s_andn2_b64 exec, exec, s[8:9]
	s_cbranch_execnz .LBB94_635
; %bb.636:
	s_or_b64 exec, exec, s[8:9]
.LBB94_637:
	s_or_b64 exec, exec, s[6:7]
	v_mov_b32_e32 v19, 0
	ds_read_b32 v19, v19 offset:68
	s_waitcnt lgkmcnt(0)
	v_mul_f32_e32 v19, v35, v19
.LBB94_638:
	s_or_b64 exec, exec, s[4:5]
	v_cmp_gt_u32_e32 vcc, 18, v0
	ds_write_b32 v128, v20
	s_waitcnt lgkmcnt(0)
	; wave barrier
	s_and_saveexec_b64 s[4:5], vcc
	s_cbranch_execz .LBB94_648
; %bb.639:
	s_and_b64 vcc, exec, s[0:1]
	s_cbranch_vccnz .LBB94_641
; %bb.640:
	v_cmp_eq_u32_e32 vcc, 1, v0
	v_cndmask_b32_e32 v33, v2, v3, vcc
	v_cmp_eq_u32_e32 vcc, 2, v0
	v_cndmask_b32_e32 v33, v33, v4, vcc
	;; [unrolled: 2-line block ×26, first 2 shown]
	v_cmp_eq_u32_e32 vcc, 27, v0
	ds_read_b32 v34, v128
	v_cndmask_b32_e32 v33, v33, v29, vcc
	v_cmp_eq_u32_e32 vcc, 28, v0
	v_cndmask_b32_e32 v33, v33, v30, vcc
	v_cmp_eq_u32_e32 vcc, 29, v0
	;; [unrolled: 2-line block ×3, first 2 shown]
	v_cndmask_b32_e32 v33, v33, v32, vcc
	s_waitcnt lgkmcnt(0)
	v_mul_f32_e32 v35, v33, v34
	s_cbranch_execz .LBB94_642
	s_branch .LBB94_643
.LBB94_641:
                                        ; implicit-def: $vgpr35
.LBB94_642:
	ds_read_b32 v35, v128
.LBB94_643:
	v_cmp_ne_u32_e32 vcc, 17, v0
	s_and_saveexec_b64 s[6:7], vcc
	s_cbranch_execz .LBB94_647
; %bb.644:
	v_mov_b32_e32 v33, 0x84
	v_lshl_add_u32 v36, v0, 2, v33
	v_mov_b32_e32 v34, v1
	s_mov_b64 s[8:9], 0
	v_mov_b32_e32 v33, v0
.LBB94_645:                             ; =>This Inner Loop Header: Depth=1
	v_add_co_u32_e32 v33, vcc, 1, v33
	v_addc_co_u32_e32 v34, vcc, 0, v34, vcc
	v_cmp_eq_u32_e32 vcc, 1, v33
	v_cndmask_b32_e32 v38, v2, v3, vcc
	v_cmp_lt_u32_e32 vcc, 16, v33
	v_cmp_eq_u32_e64 s[2:3], 2, v33
	v_cndmask_b32_e64 v38, v38, v4, s[2:3]
	s_or_b64 s[8:9], vcc, s[8:9]
	v_cmp_eq_u32_e32 vcc, 3, v33
	v_cndmask_b32_e32 v38, v38, v5, vcc
	v_cmp_eq_u32_e32 vcc, 4, v33
	v_cndmask_b32_e32 v38, v38, v6, vcc
	;; [unrolled: 2-line block ×23, first 2 shown]
	v_cmp_eq_u32_e32 vcc, 26, v33
	ds_read_b32 v37, v36
	v_cndmask_b32_e32 v38, v38, v28, vcc
	v_cmp_eq_u32_e32 vcc, 27, v33
	v_cndmask_b32_e32 v38, v38, v29, vcc
	v_cmp_eq_u32_e32 vcc, 28, v33
	;; [unrolled: 2-line block ×4, first 2 shown]
	v_cndmask_b32_e32 v38, v38, v32, vcc
	v_add_u32_e32 v36, 4, v36
	s_waitcnt lgkmcnt(0)
	v_fmac_f32_e32 v35, v38, v37
	s_andn2_b64 exec, exec, s[8:9]
	s_cbranch_execnz .LBB94_645
; %bb.646:
	s_or_b64 exec, exec, s[8:9]
.LBB94_647:
	s_or_b64 exec, exec, s[6:7]
	v_mov_b32_e32 v20, 0
	ds_read_b32 v20, v20 offset:72
	s_waitcnt lgkmcnt(0)
	v_mul_f32_e32 v20, v35, v20
.LBB94_648:
	s_or_b64 exec, exec, s[4:5]
	v_cmp_gt_u32_e32 vcc, 19, v0
	ds_write_b32 v128, v21
	s_waitcnt lgkmcnt(0)
	; wave barrier
	s_and_saveexec_b64 s[4:5], vcc
	s_cbranch_execz .LBB94_658
; %bb.649:
	s_and_b64 vcc, exec, s[0:1]
	s_cbranch_vccnz .LBB94_651
; %bb.650:
	v_cmp_eq_u32_e32 vcc, 1, v0
	v_cndmask_b32_e32 v33, v2, v3, vcc
	v_cmp_eq_u32_e32 vcc, 2, v0
	v_cndmask_b32_e32 v33, v33, v4, vcc
	;; [unrolled: 2-line block ×26, first 2 shown]
	v_cmp_eq_u32_e32 vcc, 27, v0
	ds_read_b32 v34, v128
	v_cndmask_b32_e32 v33, v33, v29, vcc
	v_cmp_eq_u32_e32 vcc, 28, v0
	v_cndmask_b32_e32 v33, v33, v30, vcc
	v_cmp_eq_u32_e32 vcc, 29, v0
	;; [unrolled: 2-line block ×3, first 2 shown]
	v_cndmask_b32_e32 v33, v33, v32, vcc
	s_waitcnt lgkmcnt(0)
	v_mul_f32_e32 v35, v33, v34
	s_cbranch_execz .LBB94_652
	s_branch .LBB94_653
.LBB94_651:
                                        ; implicit-def: $vgpr35
.LBB94_652:
	ds_read_b32 v35, v128
.LBB94_653:
	v_cmp_ne_u32_e32 vcc, 18, v0
	s_and_saveexec_b64 s[6:7], vcc
	s_cbranch_execz .LBB94_657
; %bb.654:
	v_mov_b32_e32 v33, 0x84
	v_lshl_add_u32 v36, v0, 2, v33
	v_mov_b32_e32 v34, v1
	s_mov_b64 s[8:9], 0
	v_mov_b32_e32 v33, v0
.LBB94_655:                             ; =>This Inner Loop Header: Depth=1
	v_add_co_u32_e32 v33, vcc, 1, v33
	v_addc_co_u32_e32 v34, vcc, 0, v34, vcc
	v_cmp_eq_u32_e32 vcc, 1, v33
	v_cndmask_b32_e32 v38, v2, v3, vcc
	v_cmp_lt_u32_e32 vcc, 17, v33
	v_cmp_eq_u32_e64 s[2:3], 2, v33
	v_cndmask_b32_e64 v38, v38, v4, s[2:3]
	s_or_b64 s[8:9], vcc, s[8:9]
	v_cmp_eq_u32_e32 vcc, 3, v33
	v_cndmask_b32_e32 v38, v38, v5, vcc
	v_cmp_eq_u32_e32 vcc, 4, v33
	v_cndmask_b32_e32 v38, v38, v6, vcc
	;; [unrolled: 2-line block ×23, first 2 shown]
	v_cmp_eq_u32_e32 vcc, 26, v33
	ds_read_b32 v37, v36
	v_cndmask_b32_e32 v38, v38, v28, vcc
	v_cmp_eq_u32_e32 vcc, 27, v33
	v_cndmask_b32_e32 v38, v38, v29, vcc
	v_cmp_eq_u32_e32 vcc, 28, v33
	v_cndmask_b32_e32 v38, v38, v30, vcc
	v_cmp_eq_u32_e32 vcc, 29, v33
	v_cndmask_b32_e32 v38, v38, v31, vcc
	v_cmp_eq_u32_e32 vcc, 30, v33
	v_cndmask_b32_e32 v38, v38, v32, vcc
	v_add_u32_e32 v36, 4, v36
	s_waitcnt lgkmcnt(0)
	v_fmac_f32_e32 v35, v38, v37
	s_andn2_b64 exec, exec, s[8:9]
	s_cbranch_execnz .LBB94_655
; %bb.656:
	s_or_b64 exec, exec, s[8:9]
.LBB94_657:
	s_or_b64 exec, exec, s[6:7]
	v_mov_b32_e32 v21, 0
	ds_read_b32 v21, v21 offset:76
	s_waitcnt lgkmcnt(0)
	v_mul_f32_e32 v21, v35, v21
.LBB94_658:
	s_or_b64 exec, exec, s[4:5]
	v_cmp_gt_u32_e32 vcc, 20, v0
	ds_write_b32 v128, v22
	s_waitcnt lgkmcnt(0)
	; wave barrier
	s_and_saveexec_b64 s[4:5], vcc
	s_cbranch_execz .LBB94_668
; %bb.659:
	s_and_b64 vcc, exec, s[0:1]
	s_cbranch_vccnz .LBB94_661
; %bb.660:
	v_cmp_eq_u32_e32 vcc, 1, v0
	v_cndmask_b32_e32 v33, v2, v3, vcc
	v_cmp_eq_u32_e32 vcc, 2, v0
	v_cndmask_b32_e32 v33, v33, v4, vcc
	v_cmp_eq_u32_e32 vcc, 3, v0
	v_cndmask_b32_e32 v33, v33, v5, vcc
	v_cmp_eq_u32_e32 vcc, 4, v0
	v_cndmask_b32_e32 v33, v33, v6, vcc
	v_cmp_eq_u32_e32 vcc, 5, v0
	v_cndmask_b32_e32 v33, v33, v7, vcc
	v_cmp_eq_u32_e32 vcc, 6, v0
	v_cndmask_b32_e32 v33, v33, v8, vcc
	v_cmp_eq_u32_e32 vcc, 7, v0
	v_cndmask_b32_e32 v33, v33, v9, vcc
	v_cmp_eq_u32_e32 vcc, 8, v0
	v_cndmask_b32_e32 v33, v33, v10, vcc
	v_cmp_eq_u32_e32 vcc, 9, v0
	v_cndmask_b32_e32 v33, v33, v11, vcc
	v_cmp_eq_u32_e32 vcc, 10, v0
	v_cndmask_b32_e32 v33, v33, v12, vcc
	v_cmp_eq_u32_e32 vcc, 11, v0
	v_cndmask_b32_e32 v33, v33, v13, vcc
	v_cmp_eq_u32_e32 vcc, 12, v0
	v_cndmask_b32_e32 v33, v33, v14, vcc
	v_cmp_eq_u32_e32 vcc, 13, v0
	v_cndmask_b32_e32 v33, v33, v15, vcc
	v_cmp_eq_u32_e32 vcc, 14, v0
	v_cndmask_b32_e32 v33, v33, v16, vcc
	v_cmp_eq_u32_e32 vcc, 15, v0
	v_cndmask_b32_e32 v33, v33, v17, vcc
	v_cmp_eq_u32_e32 vcc, 16, v0
	v_cndmask_b32_e32 v33, v33, v18, vcc
	v_cmp_eq_u32_e32 vcc, 17, v0
	v_cndmask_b32_e32 v33, v33, v19, vcc
	v_cmp_eq_u32_e32 vcc, 18, v0
	v_cndmask_b32_e32 v33, v33, v20, vcc
	v_cmp_eq_u32_e32 vcc, 19, v0
	v_cndmask_b32_e32 v33, v33, v21, vcc
	v_cmp_eq_u32_e32 vcc, 20, v0
	v_cndmask_b32_e32 v33, v33, v22, vcc
	v_cmp_eq_u32_e32 vcc, 21, v0
	v_cndmask_b32_e32 v33, v33, v23, vcc
	v_cmp_eq_u32_e32 vcc, 22, v0
	v_cndmask_b32_e32 v33, v33, v24, vcc
	v_cmp_eq_u32_e32 vcc, 23, v0
	v_cndmask_b32_e32 v33, v33, v25, vcc
	v_cmp_eq_u32_e32 vcc, 24, v0
	v_cndmask_b32_e32 v33, v33, v26, vcc
	v_cmp_eq_u32_e32 vcc, 25, v0
	v_cndmask_b32_e32 v33, v33, v27, vcc
	v_cmp_eq_u32_e32 vcc, 26, v0
	v_cndmask_b32_e32 v33, v33, v28, vcc
	v_cmp_eq_u32_e32 vcc, 27, v0
	ds_read_b32 v34, v128
	v_cndmask_b32_e32 v33, v33, v29, vcc
	v_cmp_eq_u32_e32 vcc, 28, v0
	v_cndmask_b32_e32 v33, v33, v30, vcc
	v_cmp_eq_u32_e32 vcc, 29, v0
	;; [unrolled: 2-line block ×3, first 2 shown]
	v_cndmask_b32_e32 v33, v33, v32, vcc
	s_waitcnt lgkmcnt(0)
	v_mul_f32_e32 v35, v33, v34
	s_cbranch_execz .LBB94_662
	s_branch .LBB94_663
.LBB94_661:
                                        ; implicit-def: $vgpr35
.LBB94_662:
	ds_read_b32 v35, v128
.LBB94_663:
	v_cmp_ne_u32_e32 vcc, 19, v0
	s_and_saveexec_b64 s[6:7], vcc
	s_cbranch_execz .LBB94_667
; %bb.664:
	v_mov_b32_e32 v33, 0x84
	v_lshl_add_u32 v36, v0, 2, v33
	v_mov_b32_e32 v34, v1
	s_mov_b64 s[8:9], 0
	v_mov_b32_e32 v33, v0
.LBB94_665:                             ; =>This Inner Loop Header: Depth=1
	v_add_co_u32_e32 v33, vcc, 1, v33
	v_addc_co_u32_e32 v34, vcc, 0, v34, vcc
	v_cmp_eq_u32_e32 vcc, 1, v33
	v_cndmask_b32_e32 v38, v2, v3, vcc
	v_cmp_lt_u32_e32 vcc, 18, v33
	v_cmp_eq_u32_e64 s[2:3], 2, v33
	v_cndmask_b32_e64 v38, v38, v4, s[2:3]
	s_or_b64 s[8:9], vcc, s[8:9]
	v_cmp_eq_u32_e32 vcc, 3, v33
	v_cndmask_b32_e32 v38, v38, v5, vcc
	v_cmp_eq_u32_e32 vcc, 4, v33
	v_cndmask_b32_e32 v38, v38, v6, vcc
	;; [unrolled: 2-line block ×23, first 2 shown]
	v_cmp_eq_u32_e32 vcc, 26, v33
	ds_read_b32 v37, v36
	v_cndmask_b32_e32 v38, v38, v28, vcc
	v_cmp_eq_u32_e32 vcc, 27, v33
	v_cndmask_b32_e32 v38, v38, v29, vcc
	v_cmp_eq_u32_e32 vcc, 28, v33
	;; [unrolled: 2-line block ×4, first 2 shown]
	v_cndmask_b32_e32 v38, v38, v32, vcc
	v_add_u32_e32 v36, 4, v36
	s_waitcnt lgkmcnt(0)
	v_fmac_f32_e32 v35, v38, v37
	s_andn2_b64 exec, exec, s[8:9]
	s_cbranch_execnz .LBB94_665
; %bb.666:
	s_or_b64 exec, exec, s[8:9]
.LBB94_667:
	s_or_b64 exec, exec, s[6:7]
	v_mov_b32_e32 v22, 0
	ds_read_b32 v22, v22 offset:80
	s_waitcnt lgkmcnt(0)
	v_mul_f32_e32 v22, v35, v22
.LBB94_668:
	s_or_b64 exec, exec, s[4:5]
	v_cmp_gt_u32_e32 vcc, 21, v0
	ds_write_b32 v128, v23
	s_waitcnt lgkmcnt(0)
	; wave barrier
	s_and_saveexec_b64 s[4:5], vcc
	s_cbranch_execz .LBB94_678
; %bb.669:
	s_and_b64 vcc, exec, s[0:1]
	s_cbranch_vccnz .LBB94_671
; %bb.670:
	v_cmp_eq_u32_e32 vcc, 1, v0
	v_cndmask_b32_e32 v33, v2, v3, vcc
	v_cmp_eq_u32_e32 vcc, 2, v0
	v_cndmask_b32_e32 v33, v33, v4, vcc
	;; [unrolled: 2-line block ×26, first 2 shown]
	v_cmp_eq_u32_e32 vcc, 27, v0
	ds_read_b32 v34, v128
	v_cndmask_b32_e32 v33, v33, v29, vcc
	v_cmp_eq_u32_e32 vcc, 28, v0
	v_cndmask_b32_e32 v33, v33, v30, vcc
	v_cmp_eq_u32_e32 vcc, 29, v0
	v_cndmask_b32_e32 v33, v33, v31, vcc
	v_cmp_eq_u32_e32 vcc, 30, v0
	v_cndmask_b32_e32 v33, v33, v32, vcc
	s_waitcnt lgkmcnt(0)
	v_mul_f32_e32 v35, v33, v34
	s_cbranch_execz .LBB94_672
	s_branch .LBB94_673
.LBB94_671:
                                        ; implicit-def: $vgpr35
.LBB94_672:
	ds_read_b32 v35, v128
.LBB94_673:
	v_cmp_ne_u32_e32 vcc, 20, v0
	s_and_saveexec_b64 s[6:7], vcc
	s_cbranch_execz .LBB94_677
; %bb.674:
	v_mov_b32_e32 v33, 0x84
	v_lshl_add_u32 v36, v0, 2, v33
	v_mov_b32_e32 v34, v1
	s_mov_b64 s[8:9], 0
	v_mov_b32_e32 v33, v0
.LBB94_675:                             ; =>This Inner Loop Header: Depth=1
	v_add_co_u32_e32 v33, vcc, 1, v33
	v_addc_co_u32_e32 v34, vcc, 0, v34, vcc
	v_cmp_eq_u32_e32 vcc, 1, v33
	v_cndmask_b32_e32 v38, v2, v3, vcc
	v_cmp_lt_u32_e32 vcc, 19, v33
	v_cmp_eq_u32_e64 s[2:3], 2, v33
	v_cndmask_b32_e64 v38, v38, v4, s[2:3]
	s_or_b64 s[8:9], vcc, s[8:9]
	v_cmp_eq_u32_e32 vcc, 3, v33
	v_cndmask_b32_e32 v38, v38, v5, vcc
	v_cmp_eq_u32_e32 vcc, 4, v33
	v_cndmask_b32_e32 v38, v38, v6, vcc
	;; [unrolled: 2-line block ×23, first 2 shown]
	v_cmp_eq_u32_e32 vcc, 26, v33
	ds_read_b32 v37, v36
	v_cndmask_b32_e32 v38, v38, v28, vcc
	v_cmp_eq_u32_e32 vcc, 27, v33
	v_cndmask_b32_e32 v38, v38, v29, vcc
	v_cmp_eq_u32_e32 vcc, 28, v33
	;; [unrolled: 2-line block ×4, first 2 shown]
	v_cndmask_b32_e32 v38, v38, v32, vcc
	v_add_u32_e32 v36, 4, v36
	s_waitcnt lgkmcnt(0)
	v_fmac_f32_e32 v35, v38, v37
	s_andn2_b64 exec, exec, s[8:9]
	s_cbranch_execnz .LBB94_675
; %bb.676:
	s_or_b64 exec, exec, s[8:9]
.LBB94_677:
	s_or_b64 exec, exec, s[6:7]
	v_mov_b32_e32 v23, 0
	ds_read_b32 v23, v23 offset:84
	s_waitcnt lgkmcnt(0)
	v_mul_f32_e32 v23, v35, v23
.LBB94_678:
	s_or_b64 exec, exec, s[4:5]
	v_cmp_gt_u32_e32 vcc, 22, v0
	ds_write_b32 v128, v24
	s_waitcnt lgkmcnt(0)
	; wave barrier
	s_and_saveexec_b64 s[4:5], vcc
	s_cbranch_execz .LBB94_688
; %bb.679:
	s_and_b64 vcc, exec, s[0:1]
	s_cbranch_vccnz .LBB94_681
; %bb.680:
	v_cmp_eq_u32_e32 vcc, 1, v0
	v_cndmask_b32_e32 v33, v2, v3, vcc
	v_cmp_eq_u32_e32 vcc, 2, v0
	v_cndmask_b32_e32 v33, v33, v4, vcc
	;; [unrolled: 2-line block ×26, first 2 shown]
	v_cmp_eq_u32_e32 vcc, 27, v0
	ds_read_b32 v34, v128
	v_cndmask_b32_e32 v33, v33, v29, vcc
	v_cmp_eq_u32_e32 vcc, 28, v0
	v_cndmask_b32_e32 v33, v33, v30, vcc
	v_cmp_eq_u32_e32 vcc, 29, v0
	;; [unrolled: 2-line block ×3, first 2 shown]
	v_cndmask_b32_e32 v33, v33, v32, vcc
	s_waitcnt lgkmcnt(0)
	v_mul_f32_e32 v35, v33, v34
	s_cbranch_execz .LBB94_682
	s_branch .LBB94_683
.LBB94_681:
                                        ; implicit-def: $vgpr35
.LBB94_682:
	ds_read_b32 v35, v128
.LBB94_683:
	v_cmp_ne_u32_e32 vcc, 21, v0
	s_and_saveexec_b64 s[6:7], vcc
	s_cbranch_execz .LBB94_687
; %bb.684:
	v_mov_b32_e32 v33, 0x84
	v_lshl_add_u32 v36, v0, 2, v33
	v_mov_b32_e32 v34, v1
	s_mov_b64 s[8:9], 0
	v_mov_b32_e32 v33, v0
.LBB94_685:                             ; =>This Inner Loop Header: Depth=1
	v_add_co_u32_e32 v33, vcc, 1, v33
	v_addc_co_u32_e32 v34, vcc, 0, v34, vcc
	v_cmp_eq_u32_e32 vcc, 1, v33
	v_cndmask_b32_e32 v38, v2, v3, vcc
	v_cmp_lt_u32_e32 vcc, 20, v33
	v_cmp_eq_u32_e64 s[2:3], 2, v33
	v_cndmask_b32_e64 v38, v38, v4, s[2:3]
	s_or_b64 s[8:9], vcc, s[8:9]
	v_cmp_eq_u32_e32 vcc, 3, v33
	v_cndmask_b32_e32 v38, v38, v5, vcc
	v_cmp_eq_u32_e32 vcc, 4, v33
	v_cndmask_b32_e32 v38, v38, v6, vcc
	;; [unrolled: 2-line block ×23, first 2 shown]
	v_cmp_eq_u32_e32 vcc, 26, v33
	ds_read_b32 v37, v36
	v_cndmask_b32_e32 v38, v38, v28, vcc
	v_cmp_eq_u32_e32 vcc, 27, v33
	v_cndmask_b32_e32 v38, v38, v29, vcc
	v_cmp_eq_u32_e32 vcc, 28, v33
	;; [unrolled: 2-line block ×4, first 2 shown]
	v_cndmask_b32_e32 v38, v38, v32, vcc
	v_add_u32_e32 v36, 4, v36
	s_waitcnt lgkmcnt(0)
	v_fmac_f32_e32 v35, v38, v37
	s_andn2_b64 exec, exec, s[8:9]
	s_cbranch_execnz .LBB94_685
; %bb.686:
	s_or_b64 exec, exec, s[8:9]
.LBB94_687:
	s_or_b64 exec, exec, s[6:7]
	v_mov_b32_e32 v24, 0
	ds_read_b32 v24, v24 offset:88
	s_waitcnt lgkmcnt(0)
	v_mul_f32_e32 v24, v35, v24
.LBB94_688:
	s_or_b64 exec, exec, s[4:5]
	v_cmp_gt_u32_e32 vcc, 23, v0
	ds_write_b32 v128, v25
	s_waitcnt lgkmcnt(0)
	; wave barrier
	s_and_saveexec_b64 s[4:5], vcc
	s_cbranch_execz .LBB94_698
; %bb.689:
	s_and_b64 vcc, exec, s[0:1]
	s_cbranch_vccnz .LBB94_691
; %bb.690:
	v_cmp_eq_u32_e32 vcc, 1, v0
	v_cndmask_b32_e32 v33, v2, v3, vcc
	v_cmp_eq_u32_e32 vcc, 2, v0
	v_cndmask_b32_e32 v33, v33, v4, vcc
	;; [unrolled: 2-line block ×26, first 2 shown]
	v_cmp_eq_u32_e32 vcc, 27, v0
	ds_read_b32 v34, v128
	v_cndmask_b32_e32 v33, v33, v29, vcc
	v_cmp_eq_u32_e32 vcc, 28, v0
	v_cndmask_b32_e32 v33, v33, v30, vcc
	v_cmp_eq_u32_e32 vcc, 29, v0
	;; [unrolled: 2-line block ×3, first 2 shown]
	v_cndmask_b32_e32 v33, v33, v32, vcc
	s_waitcnt lgkmcnt(0)
	v_mul_f32_e32 v35, v33, v34
	s_cbranch_execz .LBB94_692
	s_branch .LBB94_693
.LBB94_691:
                                        ; implicit-def: $vgpr35
.LBB94_692:
	ds_read_b32 v35, v128
.LBB94_693:
	v_cmp_ne_u32_e32 vcc, 22, v0
	s_and_saveexec_b64 s[6:7], vcc
	s_cbranch_execz .LBB94_697
; %bb.694:
	v_mov_b32_e32 v33, 0x84
	v_lshl_add_u32 v36, v0, 2, v33
	v_mov_b32_e32 v34, v1
	s_mov_b64 s[8:9], 0
	v_mov_b32_e32 v33, v0
.LBB94_695:                             ; =>This Inner Loop Header: Depth=1
	v_add_co_u32_e32 v33, vcc, 1, v33
	v_addc_co_u32_e32 v34, vcc, 0, v34, vcc
	v_cmp_eq_u32_e32 vcc, 1, v33
	v_cndmask_b32_e32 v38, v2, v3, vcc
	v_cmp_lt_u32_e32 vcc, 21, v33
	v_cmp_eq_u32_e64 s[2:3], 2, v33
	v_cndmask_b32_e64 v38, v38, v4, s[2:3]
	s_or_b64 s[8:9], vcc, s[8:9]
	v_cmp_eq_u32_e32 vcc, 3, v33
	v_cndmask_b32_e32 v38, v38, v5, vcc
	v_cmp_eq_u32_e32 vcc, 4, v33
	v_cndmask_b32_e32 v38, v38, v6, vcc
	;; [unrolled: 2-line block ×23, first 2 shown]
	v_cmp_eq_u32_e32 vcc, 26, v33
	ds_read_b32 v37, v36
	v_cndmask_b32_e32 v38, v38, v28, vcc
	v_cmp_eq_u32_e32 vcc, 27, v33
	v_cndmask_b32_e32 v38, v38, v29, vcc
	v_cmp_eq_u32_e32 vcc, 28, v33
	;; [unrolled: 2-line block ×4, first 2 shown]
	v_cndmask_b32_e32 v38, v38, v32, vcc
	v_add_u32_e32 v36, 4, v36
	s_waitcnt lgkmcnt(0)
	v_fmac_f32_e32 v35, v38, v37
	s_andn2_b64 exec, exec, s[8:9]
	s_cbranch_execnz .LBB94_695
; %bb.696:
	s_or_b64 exec, exec, s[8:9]
.LBB94_697:
	s_or_b64 exec, exec, s[6:7]
	v_mov_b32_e32 v25, 0
	ds_read_b32 v25, v25 offset:92
	s_waitcnt lgkmcnt(0)
	v_mul_f32_e32 v25, v35, v25
.LBB94_698:
	s_or_b64 exec, exec, s[4:5]
	v_cmp_gt_u32_e32 vcc, 24, v0
	ds_write_b32 v128, v26
	s_waitcnt lgkmcnt(0)
	; wave barrier
	s_and_saveexec_b64 s[4:5], vcc
	s_cbranch_execz .LBB94_708
; %bb.699:
	s_and_b64 vcc, exec, s[0:1]
	s_cbranch_vccnz .LBB94_701
; %bb.700:
	v_cmp_eq_u32_e32 vcc, 1, v0
	v_cndmask_b32_e32 v33, v2, v3, vcc
	v_cmp_eq_u32_e32 vcc, 2, v0
	v_cndmask_b32_e32 v33, v33, v4, vcc
	;; [unrolled: 2-line block ×26, first 2 shown]
	v_cmp_eq_u32_e32 vcc, 27, v0
	ds_read_b32 v34, v128
	v_cndmask_b32_e32 v33, v33, v29, vcc
	v_cmp_eq_u32_e32 vcc, 28, v0
	v_cndmask_b32_e32 v33, v33, v30, vcc
	v_cmp_eq_u32_e32 vcc, 29, v0
	;; [unrolled: 2-line block ×3, first 2 shown]
	v_cndmask_b32_e32 v33, v33, v32, vcc
	s_waitcnt lgkmcnt(0)
	v_mul_f32_e32 v35, v33, v34
	s_cbranch_execz .LBB94_702
	s_branch .LBB94_703
.LBB94_701:
                                        ; implicit-def: $vgpr35
.LBB94_702:
	ds_read_b32 v35, v128
.LBB94_703:
	v_cmp_ne_u32_e32 vcc, 23, v0
	s_and_saveexec_b64 s[6:7], vcc
	s_cbranch_execz .LBB94_707
; %bb.704:
	v_mov_b32_e32 v33, 0x84
	v_lshl_add_u32 v36, v0, 2, v33
	v_mov_b32_e32 v34, v1
	s_mov_b64 s[8:9], 0
	v_mov_b32_e32 v33, v0
.LBB94_705:                             ; =>This Inner Loop Header: Depth=1
	v_add_co_u32_e32 v33, vcc, 1, v33
	v_addc_co_u32_e32 v34, vcc, 0, v34, vcc
	v_cmp_eq_u32_e32 vcc, 1, v33
	v_cndmask_b32_e32 v38, v2, v3, vcc
	v_cmp_lt_u32_e32 vcc, 22, v33
	v_cmp_eq_u32_e64 s[2:3], 2, v33
	v_cndmask_b32_e64 v38, v38, v4, s[2:3]
	s_or_b64 s[8:9], vcc, s[8:9]
	v_cmp_eq_u32_e32 vcc, 3, v33
	v_cndmask_b32_e32 v38, v38, v5, vcc
	v_cmp_eq_u32_e32 vcc, 4, v33
	v_cndmask_b32_e32 v38, v38, v6, vcc
	;; [unrolled: 2-line block ×23, first 2 shown]
	v_cmp_eq_u32_e32 vcc, 26, v33
	ds_read_b32 v37, v36
	v_cndmask_b32_e32 v38, v38, v28, vcc
	v_cmp_eq_u32_e32 vcc, 27, v33
	v_cndmask_b32_e32 v38, v38, v29, vcc
	v_cmp_eq_u32_e32 vcc, 28, v33
	;; [unrolled: 2-line block ×4, first 2 shown]
	v_cndmask_b32_e32 v38, v38, v32, vcc
	v_add_u32_e32 v36, 4, v36
	s_waitcnt lgkmcnt(0)
	v_fmac_f32_e32 v35, v38, v37
	s_andn2_b64 exec, exec, s[8:9]
	s_cbranch_execnz .LBB94_705
; %bb.706:
	s_or_b64 exec, exec, s[8:9]
.LBB94_707:
	s_or_b64 exec, exec, s[6:7]
	v_mov_b32_e32 v26, 0
	ds_read_b32 v26, v26 offset:96
	s_waitcnt lgkmcnt(0)
	v_mul_f32_e32 v26, v35, v26
.LBB94_708:
	s_or_b64 exec, exec, s[4:5]
	v_cmp_gt_u32_e32 vcc, 25, v0
	ds_write_b32 v128, v27
	s_waitcnt lgkmcnt(0)
	; wave barrier
	s_and_saveexec_b64 s[4:5], vcc
	s_cbranch_execz .LBB94_718
; %bb.709:
	s_and_b64 vcc, exec, s[0:1]
	s_cbranch_vccnz .LBB94_711
; %bb.710:
	v_cmp_eq_u32_e32 vcc, 1, v0
	v_cndmask_b32_e32 v33, v2, v3, vcc
	v_cmp_eq_u32_e32 vcc, 2, v0
	v_cndmask_b32_e32 v33, v33, v4, vcc
	;; [unrolled: 2-line block ×26, first 2 shown]
	v_cmp_eq_u32_e32 vcc, 27, v0
	ds_read_b32 v34, v128
	v_cndmask_b32_e32 v33, v33, v29, vcc
	v_cmp_eq_u32_e32 vcc, 28, v0
	v_cndmask_b32_e32 v33, v33, v30, vcc
	v_cmp_eq_u32_e32 vcc, 29, v0
	;; [unrolled: 2-line block ×3, first 2 shown]
	v_cndmask_b32_e32 v33, v33, v32, vcc
	s_waitcnt lgkmcnt(0)
	v_mul_f32_e32 v35, v33, v34
	s_cbranch_execz .LBB94_712
	s_branch .LBB94_713
.LBB94_711:
                                        ; implicit-def: $vgpr35
.LBB94_712:
	ds_read_b32 v35, v128
.LBB94_713:
	v_cmp_ne_u32_e32 vcc, 24, v0
	s_and_saveexec_b64 s[6:7], vcc
	s_cbranch_execz .LBB94_717
; %bb.714:
	v_mov_b32_e32 v33, 0x84
	v_lshl_add_u32 v36, v0, 2, v33
	v_mov_b32_e32 v34, v1
	s_mov_b64 s[8:9], 0
	v_mov_b32_e32 v33, v0
.LBB94_715:                             ; =>This Inner Loop Header: Depth=1
	v_add_co_u32_e32 v33, vcc, 1, v33
	v_addc_co_u32_e32 v34, vcc, 0, v34, vcc
	v_cmp_eq_u32_e32 vcc, 1, v33
	v_cndmask_b32_e32 v38, v2, v3, vcc
	v_cmp_lt_u32_e32 vcc, 23, v33
	v_cmp_eq_u32_e64 s[2:3], 2, v33
	v_cndmask_b32_e64 v38, v38, v4, s[2:3]
	s_or_b64 s[8:9], vcc, s[8:9]
	v_cmp_eq_u32_e32 vcc, 3, v33
	v_cndmask_b32_e32 v38, v38, v5, vcc
	v_cmp_eq_u32_e32 vcc, 4, v33
	v_cndmask_b32_e32 v38, v38, v6, vcc
	;; [unrolled: 2-line block ×23, first 2 shown]
	v_cmp_eq_u32_e32 vcc, 26, v33
	ds_read_b32 v37, v36
	v_cndmask_b32_e32 v38, v38, v28, vcc
	v_cmp_eq_u32_e32 vcc, 27, v33
	v_cndmask_b32_e32 v38, v38, v29, vcc
	v_cmp_eq_u32_e32 vcc, 28, v33
	;; [unrolled: 2-line block ×4, first 2 shown]
	v_cndmask_b32_e32 v38, v38, v32, vcc
	v_add_u32_e32 v36, 4, v36
	s_waitcnt lgkmcnt(0)
	v_fmac_f32_e32 v35, v38, v37
	s_andn2_b64 exec, exec, s[8:9]
	s_cbranch_execnz .LBB94_715
; %bb.716:
	s_or_b64 exec, exec, s[8:9]
.LBB94_717:
	s_or_b64 exec, exec, s[6:7]
	v_mov_b32_e32 v27, 0
	ds_read_b32 v27, v27 offset:100
	s_waitcnt lgkmcnt(0)
	v_mul_f32_e32 v27, v35, v27
.LBB94_718:
	s_or_b64 exec, exec, s[4:5]
	v_cmp_gt_u32_e32 vcc, 26, v0
	ds_write_b32 v128, v28
	s_waitcnt lgkmcnt(0)
	; wave barrier
	s_and_saveexec_b64 s[4:5], vcc
	s_cbranch_execz .LBB94_728
; %bb.719:
	s_and_b64 vcc, exec, s[0:1]
	s_cbranch_vccnz .LBB94_721
; %bb.720:
	v_cmp_eq_u32_e32 vcc, 1, v0
	v_cndmask_b32_e32 v33, v2, v3, vcc
	v_cmp_eq_u32_e32 vcc, 2, v0
	v_cndmask_b32_e32 v33, v33, v4, vcc
	;; [unrolled: 2-line block ×26, first 2 shown]
	v_cmp_eq_u32_e32 vcc, 27, v0
	ds_read_b32 v34, v128
	v_cndmask_b32_e32 v33, v33, v29, vcc
	v_cmp_eq_u32_e32 vcc, 28, v0
	v_cndmask_b32_e32 v33, v33, v30, vcc
	v_cmp_eq_u32_e32 vcc, 29, v0
	;; [unrolled: 2-line block ×3, first 2 shown]
	v_cndmask_b32_e32 v33, v33, v32, vcc
	s_waitcnt lgkmcnt(0)
	v_mul_f32_e32 v35, v33, v34
	s_cbranch_execz .LBB94_722
	s_branch .LBB94_723
.LBB94_721:
                                        ; implicit-def: $vgpr35
.LBB94_722:
	ds_read_b32 v35, v128
.LBB94_723:
	v_cmp_ne_u32_e32 vcc, 25, v0
	s_and_saveexec_b64 s[6:7], vcc
	s_cbranch_execz .LBB94_727
; %bb.724:
	v_mov_b32_e32 v33, 0x84
	v_lshl_add_u32 v36, v0, 2, v33
	v_mov_b32_e32 v34, v1
	s_mov_b64 s[8:9], 0
	v_mov_b32_e32 v33, v0
.LBB94_725:                             ; =>This Inner Loop Header: Depth=1
	v_add_co_u32_e32 v33, vcc, 1, v33
	v_addc_co_u32_e32 v34, vcc, 0, v34, vcc
	v_cmp_eq_u32_e32 vcc, 1, v33
	v_cndmask_b32_e32 v38, v2, v3, vcc
	v_cmp_lt_u32_e32 vcc, 24, v33
	v_cmp_eq_u32_e64 s[2:3], 2, v33
	v_cndmask_b32_e64 v38, v38, v4, s[2:3]
	s_or_b64 s[8:9], vcc, s[8:9]
	v_cmp_eq_u32_e32 vcc, 3, v33
	v_cndmask_b32_e32 v38, v38, v5, vcc
	v_cmp_eq_u32_e32 vcc, 4, v33
	v_cndmask_b32_e32 v38, v38, v6, vcc
	;; [unrolled: 2-line block ×23, first 2 shown]
	v_cmp_eq_u32_e32 vcc, 26, v33
	ds_read_b32 v37, v36
	v_cndmask_b32_e32 v38, v38, v28, vcc
	v_cmp_eq_u32_e32 vcc, 27, v33
	v_cndmask_b32_e32 v38, v38, v29, vcc
	v_cmp_eq_u32_e32 vcc, 28, v33
	;; [unrolled: 2-line block ×4, first 2 shown]
	v_cndmask_b32_e32 v38, v38, v32, vcc
	v_add_u32_e32 v36, 4, v36
	s_waitcnt lgkmcnt(0)
	v_fmac_f32_e32 v35, v38, v37
	s_andn2_b64 exec, exec, s[8:9]
	s_cbranch_execnz .LBB94_725
; %bb.726:
	s_or_b64 exec, exec, s[8:9]
.LBB94_727:
	s_or_b64 exec, exec, s[6:7]
	v_mov_b32_e32 v28, 0
	ds_read_b32 v28, v28 offset:104
	s_waitcnt lgkmcnt(0)
	v_mul_f32_e32 v28, v35, v28
.LBB94_728:
	s_or_b64 exec, exec, s[4:5]
	v_cmp_gt_u32_e32 vcc, 27, v0
	ds_write_b32 v128, v29
	s_waitcnt lgkmcnt(0)
	; wave barrier
	s_and_saveexec_b64 s[4:5], vcc
	s_cbranch_execz .LBB94_738
; %bb.729:
	s_and_b64 vcc, exec, s[0:1]
	s_cbranch_vccnz .LBB94_731
; %bb.730:
	v_cmp_eq_u32_e32 vcc, 1, v0
	v_cndmask_b32_e32 v33, v2, v3, vcc
	v_cmp_eq_u32_e32 vcc, 2, v0
	v_cndmask_b32_e32 v33, v33, v4, vcc
	;; [unrolled: 2-line block ×26, first 2 shown]
	v_cmp_eq_u32_e32 vcc, 27, v0
	ds_read_b32 v34, v128
	v_cndmask_b32_e32 v33, v33, v29, vcc
	v_cmp_eq_u32_e32 vcc, 28, v0
	v_cndmask_b32_e32 v33, v33, v30, vcc
	v_cmp_eq_u32_e32 vcc, 29, v0
	;; [unrolled: 2-line block ×3, first 2 shown]
	v_cndmask_b32_e32 v33, v33, v32, vcc
	s_waitcnt lgkmcnt(0)
	v_mul_f32_e32 v35, v33, v34
	s_cbranch_execz .LBB94_732
	s_branch .LBB94_733
.LBB94_731:
                                        ; implicit-def: $vgpr35
.LBB94_732:
	ds_read_b32 v35, v128
.LBB94_733:
	v_cmp_ne_u32_e32 vcc, 26, v0
	s_and_saveexec_b64 s[6:7], vcc
	s_cbranch_execz .LBB94_737
; %bb.734:
	v_mov_b32_e32 v33, 0x84
	v_lshl_add_u32 v36, v0, 2, v33
	v_mov_b32_e32 v34, v1
	s_mov_b64 s[8:9], 0
	v_mov_b32_e32 v33, v0
.LBB94_735:                             ; =>This Inner Loop Header: Depth=1
	v_add_co_u32_e32 v33, vcc, 1, v33
	v_addc_co_u32_e32 v34, vcc, 0, v34, vcc
	v_cmp_eq_u32_e32 vcc, 1, v33
	v_cndmask_b32_e32 v38, v2, v3, vcc
	v_cmp_lt_u32_e32 vcc, 25, v33
	v_cmp_eq_u32_e64 s[2:3], 2, v33
	v_cndmask_b32_e64 v38, v38, v4, s[2:3]
	s_or_b64 s[8:9], vcc, s[8:9]
	v_cmp_eq_u32_e32 vcc, 3, v33
	v_cndmask_b32_e32 v38, v38, v5, vcc
	v_cmp_eq_u32_e32 vcc, 4, v33
	v_cndmask_b32_e32 v38, v38, v6, vcc
	;; [unrolled: 2-line block ×23, first 2 shown]
	v_cmp_eq_u32_e32 vcc, 26, v33
	ds_read_b32 v37, v36
	v_cndmask_b32_e32 v38, v38, v28, vcc
	v_cmp_eq_u32_e32 vcc, 27, v33
	v_cndmask_b32_e32 v38, v38, v29, vcc
	v_cmp_eq_u32_e32 vcc, 28, v33
	;; [unrolled: 2-line block ×4, first 2 shown]
	v_cndmask_b32_e32 v38, v38, v32, vcc
	v_add_u32_e32 v36, 4, v36
	s_waitcnt lgkmcnt(0)
	v_fmac_f32_e32 v35, v38, v37
	s_andn2_b64 exec, exec, s[8:9]
	s_cbranch_execnz .LBB94_735
; %bb.736:
	s_or_b64 exec, exec, s[8:9]
.LBB94_737:
	s_or_b64 exec, exec, s[6:7]
	v_mov_b32_e32 v29, 0
	ds_read_b32 v29, v29 offset:108
	s_waitcnt lgkmcnt(0)
	v_mul_f32_e32 v29, v35, v29
.LBB94_738:
	s_or_b64 exec, exec, s[4:5]
	v_cmp_gt_u32_e32 vcc, 28, v0
	ds_write_b32 v128, v30
	s_waitcnt lgkmcnt(0)
	; wave barrier
	s_and_saveexec_b64 s[4:5], vcc
	s_cbranch_execz .LBB94_748
; %bb.739:
	s_and_b64 vcc, exec, s[0:1]
	s_cbranch_vccnz .LBB94_741
; %bb.740:
	v_cmp_eq_u32_e32 vcc, 1, v0
	v_cndmask_b32_e32 v33, v2, v3, vcc
	v_cmp_eq_u32_e32 vcc, 2, v0
	v_cndmask_b32_e32 v33, v33, v4, vcc
	;; [unrolled: 2-line block ×26, first 2 shown]
	v_cmp_eq_u32_e32 vcc, 27, v0
	ds_read_b32 v34, v128
	v_cndmask_b32_e32 v33, v33, v29, vcc
	v_cmp_eq_u32_e32 vcc, 28, v0
	v_cndmask_b32_e32 v33, v33, v30, vcc
	v_cmp_eq_u32_e32 vcc, 29, v0
	;; [unrolled: 2-line block ×3, first 2 shown]
	v_cndmask_b32_e32 v33, v33, v32, vcc
	s_waitcnt lgkmcnt(0)
	v_mul_f32_e32 v35, v33, v34
	s_cbranch_execz .LBB94_742
	s_branch .LBB94_743
.LBB94_741:
                                        ; implicit-def: $vgpr35
.LBB94_742:
	ds_read_b32 v35, v128
.LBB94_743:
	v_cmp_ne_u32_e32 vcc, 27, v0
	s_and_saveexec_b64 s[6:7], vcc
	s_cbranch_execz .LBB94_747
; %bb.744:
	v_mov_b32_e32 v33, 0x84
	v_lshl_add_u32 v36, v0, 2, v33
	v_mov_b32_e32 v34, v1
	s_mov_b64 s[8:9], 0
	v_mov_b32_e32 v33, v0
.LBB94_745:                             ; =>This Inner Loop Header: Depth=1
	v_add_co_u32_e32 v33, vcc, 1, v33
	v_addc_co_u32_e32 v34, vcc, 0, v34, vcc
	v_cmp_eq_u32_e32 vcc, 1, v33
	v_cndmask_b32_e32 v38, v2, v3, vcc
	v_cmp_lt_u32_e32 vcc, 26, v33
	v_cmp_eq_u32_e64 s[2:3], 2, v33
	v_cndmask_b32_e64 v38, v38, v4, s[2:3]
	s_or_b64 s[8:9], vcc, s[8:9]
	v_cmp_eq_u32_e32 vcc, 3, v33
	v_cndmask_b32_e32 v38, v38, v5, vcc
	v_cmp_eq_u32_e32 vcc, 4, v33
	v_cndmask_b32_e32 v38, v38, v6, vcc
	;; [unrolled: 2-line block ×23, first 2 shown]
	v_cmp_eq_u32_e32 vcc, 26, v33
	ds_read_b32 v37, v36
	v_cndmask_b32_e32 v38, v38, v28, vcc
	v_cmp_eq_u32_e32 vcc, 27, v33
	v_cndmask_b32_e32 v38, v38, v29, vcc
	v_cmp_eq_u32_e32 vcc, 28, v33
	;; [unrolled: 2-line block ×4, first 2 shown]
	v_cndmask_b32_e32 v38, v38, v32, vcc
	v_add_u32_e32 v36, 4, v36
	s_waitcnt lgkmcnt(0)
	v_fmac_f32_e32 v35, v38, v37
	s_andn2_b64 exec, exec, s[8:9]
	s_cbranch_execnz .LBB94_745
; %bb.746:
	s_or_b64 exec, exec, s[8:9]
.LBB94_747:
	s_or_b64 exec, exec, s[6:7]
	v_mov_b32_e32 v30, 0
	ds_read_b32 v30, v30 offset:112
	s_waitcnt lgkmcnt(0)
	v_mul_f32_e32 v30, v35, v30
.LBB94_748:
	s_or_b64 exec, exec, s[4:5]
	v_cmp_gt_u32_e64 s[2:3], 29, v0
	ds_write_b32 v128, v31
	s_waitcnt lgkmcnt(0)
	; wave barrier
	s_and_saveexec_b64 s[6:7], s[2:3]
	s_cbranch_execz .LBB94_758
; %bb.749:
	s_and_b64 vcc, exec, s[0:1]
	s_cbranch_vccnz .LBB94_751
; %bb.750:
	v_cmp_eq_u32_e32 vcc, 1, v0
	v_cndmask_b32_e32 v33, v2, v3, vcc
	v_cmp_eq_u32_e32 vcc, 2, v0
	v_cndmask_b32_e32 v33, v33, v4, vcc
	;; [unrolled: 2-line block ×26, first 2 shown]
	v_cmp_eq_u32_e32 vcc, 27, v0
	ds_read_b32 v34, v128
	v_cndmask_b32_e32 v33, v33, v29, vcc
	v_cmp_eq_u32_e32 vcc, 28, v0
	v_cndmask_b32_e32 v33, v33, v30, vcc
	v_cmp_eq_u32_e32 vcc, 29, v0
	;; [unrolled: 2-line block ×3, first 2 shown]
	v_cndmask_b32_e32 v33, v33, v32, vcc
	s_waitcnt lgkmcnt(0)
	v_mul_f32_e32 v35, v33, v34
	s_cbranch_execz .LBB94_752
	s_branch .LBB94_753
.LBB94_751:
                                        ; implicit-def: $vgpr35
.LBB94_752:
	ds_read_b32 v35, v128
.LBB94_753:
	v_cmp_ne_u32_e32 vcc, 28, v0
	s_and_saveexec_b64 s[8:9], vcc
	s_cbranch_execz .LBB94_757
; %bb.754:
	v_mov_b32_e32 v33, 0x84
	v_lshl_add_u32 v36, v0, 2, v33
	v_mov_b32_e32 v34, v1
	s_mov_b64 s[10:11], 0
	v_mov_b32_e32 v33, v0
.LBB94_755:                             ; =>This Inner Loop Header: Depth=1
	v_add_co_u32_e32 v33, vcc, 1, v33
	v_addc_co_u32_e32 v34, vcc, 0, v34, vcc
	v_cmp_eq_u32_e32 vcc, 1, v33
	v_cndmask_b32_e32 v38, v2, v3, vcc
	v_cmp_lt_u32_e32 vcc, 27, v33
	v_cmp_eq_u32_e64 s[4:5], 2, v33
	v_cndmask_b32_e64 v38, v38, v4, s[4:5]
	s_or_b64 s[10:11], vcc, s[10:11]
	v_cmp_eq_u32_e32 vcc, 3, v33
	v_cndmask_b32_e32 v38, v38, v5, vcc
	v_cmp_eq_u32_e32 vcc, 4, v33
	v_cndmask_b32_e32 v38, v38, v6, vcc
	;; [unrolled: 2-line block ×23, first 2 shown]
	v_cmp_eq_u32_e32 vcc, 26, v33
	ds_read_b32 v37, v36
	v_cndmask_b32_e32 v38, v38, v28, vcc
	v_cmp_eq_u32_e32 vcc, 27, v33
	v_cndmask_b32_e32 v38, v38, v29, vcc
	v_cmp_eq_u32_e32 vcc, 28, v33
	;; [unrolled: 2-line block ×4, first 2 shown]
	v_cndmask_b32_e32 v38, v38, v32, vcc
	v_add_u32_e32 v36, 4, v36
	s_waitcnt lgkmcnt(0)
	v_fmac_f32_e32 v35, v38, v37
	s_andn2_b64 exec, exec, s[10:11]
	s_cbranch_execnz .LBB94_755
; %bb.756:
	s_or_b64 exec, exec, s[10:11]
.LBB94_757:
	s_or_b64 exec, exec, s[8:9]
	v_mov_b32_e32 v31, 0
	ds_read_b32 v31, v31 offset:116
	s_waitcnt lgkmcnt(0)
	v_mul_f32_e32 v31, v35, v31
.LBB94_758:
	s_or_b64 exec, exec, s[6:7]
	v_cmp_ne_u32_e32 vcc, 30, v0
	ds_write_b32 v128, v32
	s_waitcnt lgkmcnt(0)
	; wave barrier
	s_and_saveexec_b64 s[4:5], vcc
	s_cbranch_execz .LBB94_768
; %bb.759:
	s_and_b64 vcc, exec, s[0:1]
	s_cbranch_vccnz .LBB94_761
; %bb.760:
	v_cmp_eq_u32_e32 vcc, 1, v0
	v_cndmask_b32_e32 v33, v2, v3, vcc
	v_cmp_eq_u32_e32 vcc, 2, v0
	v_cndmask_b32_e32 v33, v33, v4, vcc
	;; [unrolled: 2-line block ×26, first 2 shown]
	v_cmp_eq_u32_e32 vcc, 27, v0
	ds_read_b32 v34, v128
	v_cndmask_b32_e32 v33, v33, v29, vcc
	v_cmp_eq_u32_e32 vcc, 28, v0
	v_cndmask_b32_e32 v33, v33, v30, vcc
	v_cmp_eq_u32_e32 vcc, 29, v0
	;; [unrolled: 2-line block ×3, first 2 shown]
	v_cndmask_b32_e32 v33, v33, v32, vcc
	s_waitcnt lgkmcnt(0)
	v_mul_f32_e32 v33, v33, v34
	s_cbranch_execz .LBB94_762
	s_branch .LBB94_763
.LBB94_761:
                                        ; implicit-def: $vgpr33
.LBB94_762:
	ds_read_b32 v33, v128
.LBB94_763:
	s_and_saveexec_b64 s[6:7], s[2:3]
	s_cbranch_execz .LBB94_767
; %bb.764:
	v_mov_b32_e32 v34, 0x84
	v_lshl_add_u32 v34, v0, 2, v34
	s_mov_b64 s[2:3], 0
.LBB94_765:                             ; =>This Inner Loop Header: Depth=1
	v_add_co_u32_e32 v0, vcc, 1, v0
	v_addc_co_u32_e32 v1, vcc, 0, v1, vcc
	v_cmp_eq_u32_e32 vcc, 1, v0
	v_cndmask_b32_e32 v36, v2, v3, vcc
	v_cmp_lt_u32_e32 vcc, 28, v0
	v_cmp_eq_u32_e64 s[0:1], 2, v0
	v_cndmask_b32_e64 v36, v36, v4, s[0:1]
	s_or_b64 s[2:3], vcc, s[2:3]
	v_cmp_eq_u32_e32 vcc, 3, v0
	v_cndmask_b32_e32 v36, v36, v5, vcc
	v_cmp_eq_u32_e32 vcc, 4, v0
	v_cndmask_b32_e32 v36, v36, v6, vcc
	;; [unrolled: 2-line block ×23, first 2 shown]
	v_cmp_eq_u32_e32 vcc, 26, v0
	ds_read_b32 v35, v34
	v_cndmask_b32_e32 v36, v36, v28, vcc
	v_cmp_eq_u32_e32 vcc, 27, v0
	v_cndmask_b32_e32 v36, v36, v29, vcc
	v_cmp_eq_u32_e32 vcc, 28, v0
	;; [unrolled: 2-line block ×4, first 2 shown]
	v_cndmask_b32_e32 v36, v36, v32, vcc
	v_add_u32_e32 v34, 4, v34
	s_waitcnt lgkmcnt(0)
	v_fmac_f32_e32 v33, v36, v35
	s_andn2_b64 exec, exec, s[2:3]
	s_cbranch_execnz .LBB94_765
; %bb.766:
	s_or_b64 exec, exec, s[2:3]
.LBB94_767:
	s_or_b64 exec, exec, s[6:7]
	v_mov_b32_e32 v0, 0
	ds_read_b32 v0, v0 offset:120
	s_waitcnt lgkmcnt(0)
	v_mul_f32_e32 v32, v33, v0
.LBB94_768:
	s_or_b64 exec, exec, s[4:5]
	v_mov_b32_e32 v65, v33
	v_mov_b32_e32 v64, v32
	;; [unrolled: 1-line block ×32, first 2 shown]
.LBB94_769:
	flat_store_dword v[124:125], v34
	flat_store_dword v[126:127], v35
	;; [unrolled: 1-line block ×31, first 2 shown]
.LBB94_770:
	s_endpgm
	.section	.rodata,"a",@progbits
	.p2align	6, 0x0
	.amdhsa_kernel _ZN9rocsolver6v33100L18trti2_kernel_smallILi31EfPKPfEEv13rocblas_fill_17rocblas_diagonal_T1_iil
		.amdhsa_group_segment_fixed_size 252
		.amdhsa_private_segment_fixed_size 0
		.amdhsa_kernarg_size 32
		.amdhsa_user_sgpr_count 6
		.amdhsa_user_sgpr_private_segment_buffer 1
		.amdhsa_user_sgpr_dispatch_ptr 0
		.amdhsa_user_sgpr_queue_ptr 0
		.amdhsa_user_sgpr_kernarg_segment_ptr 1
		.amdhsa_user_sgpr_dispatch_id 0
		.amdhsa_user_sgpr_flat_scratch_init 0
		.amdhsa_user_sgpr_private_segment_size 0
		.amdhsa_uses_dynamic_stack 0
		.amdhsa_system_sgpr_private_segment_wavefront_offset 0
		.amdhsa_system_sgpr_workgroup_id_x 1
		.amdhsa_system_sgpr_workgroup_id_y 0
		.amdhsa_system_sgpr_workgroup_id_z 0
		.amdhsa_system_sgpr_workgroup_info 0
		.amdhsa_system_vgpr_workitem_id 0
		.amdhsa_next_free_vgpr 146
		.amdhsa_next_free_sgpr 70
		.amdhsa_reserve_vcc 1
		.amdhsa_reserve_flat_scratch 0
		.amdhsa_float_round_mode_32 0
		.amdhsa_float_round_mode_16_64 0
		.amdhsa_float_denorm_mode_32 3
		.amdhsa_float_denorm_mode_16_64 3
		.amdhsa_dx10_clamp 1
		.amdhsa_ieee_mode 1
		.amdhsa_fp16_overflow 0
		.amdhsa_exception_fp_ieee_invalid_op 0
		.amdhsa_exception_fp_denorm_src 0
		.amdhsa_exception_fp_ieee_div_zero 0
		.amdhsa_exception_fp_ieee_overflow 0
		.amdhsa_exception_fp_ieee_underflow 0
		.amdhsa_exception_fp_ieee_inexact 0
		.amdhsa_exception_int_div_zero 0
	.end_amdhsa_kernel
	.section	.text._ZN9rocsolver6v33100L18trti2_kernel_smallILi31EfPKPfEEv13rocblas_fill_17rocblas_diagonal_T1_iil,"axG",@progbits,_ZN9rocsolver6v33100L18trti2_kernel_smallILi31EfPKPfEEv13rocblas_fill_17rocblas_diagonal_T1_iil,comdat
.Lfunc_end94:
	.size	_ZN9rocsolver6v33100L18trti2_kernel_smallILi31EfPKPfEEv13rocblas_fill_17rocblas_diagonal_T1_iil, .Lfunc_end94-_ZN9rocsolver6v33100L18trti2_kernel_smallILi31EfPKPfEEv13rocblas_fill_17rocblas_diagonal_T1_iil
                                        ; -- End function
	.set _ZN9rocsolver6v33100L18trti2_kernel_smallILi31EfPKPfEEv13rocblas_fill_17rocblas_diagonal_T1_iil.num_vgpr, 146
	.set _ZN9rocsolver6v33100L18trti2_kernel_smallILi31EfPKPfEEv13rocblas_fill_17rocblas_diagonal_T1_iil.num_agpr, 0
	.set _ZN9rocsolver6v33100L18trti2_kernel_smallILi31EfPKPfEEv13rocblas_fill_17rocblas_diagonal_T1_iil.numbered_sgpr, 70
	.set _ZN9rocsolver6v33100L18trti2_kernel_smallILi31EfPKPfEEv13rocblas_fill_17rocblas_diagonal_T1_iil.num_named_barrier, 0
	.set _ZN9rocsolver6v33100L18trti2_kernel_smallILi31EfPKPfEEv13rocblas_fill_17rocblas_diagonal_T1_iil.private_seg_size, 0
	.set _ZN9rocsolver6v33100L18trti2_kernel_smallILi31EfPKPfEEv13rocblas_fill_17rocblas_diagonal_T1_iil.uses_vcc, 1
	.set _ZN9rocsolver6v33100L18trti2_kernel_smallILi31EfPKPfEEv13rocblas_fill_17rocblas_diagonal_T1_iil.uses_flat_scratch, 0
	.set _ZN9rocsolver6v33100L18trti2_kernel_smallILi31EfPKPfEEv13rocblas_fill_17rocblas_diagonal_T1_iil.has_dyn_sized_stack, 0
	.set _ZN9rocsolver6v33100L18trti2_kernel_smallILi31EfPKPfEEv13rocblas_fill_17rocblas_diagonal_T1_iil.has_recursion, 0
	.set _ZN9rocsolver6v33100L18trti2_kernel_smallILi31EfPKPfEEv13rocblas_fill_17rocblas_diagonal_T1_iil.has_indirect_call, 0
	.section	.AMDGPU.csdata,"",@progbits
; Kernel info:
; codeLenInByte = 51780
; TotalNumSgprs: 74
; NumVgprs: 146
; ScratchSize: 0
; MemoryBound: 0
; FloatMode: 240
; IeeeMode: 1
; LDSByteSize: 252 bytes/workgroup (compile time only)
; SGPRBlocks: 9
; VGPRBlocks: 36
; NumSGPRsForWavesPerEU: 74
; NumVGPRsForWavesPerEU: 146
; Occupancy: 1
; WaveLimiterHint : 1
; COMPUTE_PGM_RSRC2:SCRATCH_EN: 0
; COMPUTE_PGM_RSRC2:USER_SGPR: 6
; COMPUTE_PGM_RSRC2:TRAP_HANDLER: 0
; COMPUTE_PGM_RSRC2:TGID_X_EN: 1
; COMPUTE_PGM_RSRC2:TGID_Y_EN: 0
; COMPUTE_PGM_RSRC2:TGID_Z_EN: 0
; COMPUTE_PGM_RSRC2:TIDIG_COMP_CNT: 0
	.section	.text._ZN9rocsolver6v33100L18trti2_kernel_smallILi32EfPKPfEEv13rocblas_fill_17rocblas_diagonal_T1_iil,"axG",@progbits,_ZN9rocsolver6v33100L18trti2_kernel_smallILi32EfPKPfEEv13rocblas_fill_17rocblas_diagonal_T1_iil,comdat
	.globl	_ZN9rocsolver6v33100L18trti2_kernel_smallILi32EfPKPfEEv13rocblas_fill_17rocblas_diagonal_T1_iil ; -- Begin function _ZN9rocsolver6v33100L18trti2_kernel_smallILi32EfPKPfEEv13rocblas_fill_17rocblas_diagonal_T1_iil
	.p2align	8
	.type	_ZN9rocsolver6v33100L18trti2_kernel_smallILi32EfPKPfEEv13rocblas_fill_17rocblas_diagonal_T1_iil,@function
_ZN9rocsolver6v33100L18trti2_kernel_smallILi32EfPKPfEEv13rocblas_fill_17rocblas_diagonal_T1_iil: ; @_ZN9rocsolver6v33100L18trti2_kernel_smallILi32EfPKPfEEv13rocblas_fill_17rocblas_diagonal_T1_iil
; %bb.0:
	v_cmp_gt_u32_e32 vcc, 32, v0
	s_and_saveexec_b64 s[0:1], vcc
	s_cbranch_execz .LBB95_796
; %bb.1:
	s_load_dwordx2 s[0:1], s[4:5], 0x10
	s_load_dwordx4 s[68:71], s[4:5], 0x0
	s_ashr_i32 s7, s6, 31
	s_lshl_b64 s[2:3], s[6:7], 3
	v_lshlrev_b32_e32 v34, 2, v0
	s_waitcnt lgkmcnt(0)
	s_ashr_i32 s5, s0, 31
	s_add_u32 s2, s70, s2
	s_addc_u32 s3, s71, s3
	s_load_dwordx2 s[2:3], s[2:3], 0x0
	s_mov_b32 s4, s0
	s_lshl_b64 s[4:5], s[4:5], 2
	v_mov_b32_e32 v35, -1.0
	s_waitcnt lgkmcnt(0)
	s_add_u32 s0, s2, s4
	s_addc_u32 s2, s3, s5
	s_add_i32 s3, s1, s1
	v_add_u32_e32 v1, s3, v0
	v_ashrrev_i32_e32 v2, 31, v1
	v_lshlrev_b64 v[2:3], 2, v[1:2]
	v_add_u32_e32 v1, s1, v1
	v_mov_b32_e32 v4, s2
	v_add_co_u32_e32 v66, vcc, s0, v2
	v_ashrrev_i32_e32 v2, 31, v1
	v_addc_co_u32_e32 v67, vcc, v4, v3, vcc
	v_lshlrev_b64 v[2:3], 2, v[1:2]
	v_add_u32_e32 v1, s1, v1
	v_add_co_u32_e32 v68, vcc, s0, v2
	v_ashrrev_i32_e32 v2, 31, v1
	v_addc_co_u32_e32 v69, vcc, v4, v3, vcc
	v_lshlrev_b64 v[2:3], 2, v[1:2]
	v_add_u32_e32 v1, s1, v1
	v_add_co_u32_e32 v70, vcc, s0, v2
	v_ashrrev_i32_e32 v2, 31, v1
	v_addc_co_u32_e32 v71, vcc, v4, v3, vcc
	v_lshlrev_b64 v[2:3], 2, v[1:2]
	v_add_u32_e32 v1, s1, v1
	v_add_co_u32_e32 v72, vcc, s0, v2
	v_ashrrev_i32_e32 v2, 31, v1
	v_addc_co_u32_e32 v73, vcc, v4, v3, vcc
	v_lshlrev_b64 v[2:3], 2, v[1:2]
	v_add_u32_e32 v1, s1, v1
	v_add_co_u32_e32 v74, vcc, s0, v2
	v_ashrrev_i32_e32 v2, 31, v1
	v_addc_co_u32_e32 v75, vcc, v4, v3, vcc
	v_lshlrev_b64 v[2:3], 2, v[1:2]
	v_add_u32_e32 v1, s1, v1
	v_add_co_u32_e32 v76, vcc, s0, v2
	v_ashrrev_i32_e32 v2, 31, v1
	v_addc_co_u32_e32 v77, vcc, v4, v3, vcc
	v_lshlrev_b64 v[2:3], 2, v[1:2]
	v_add_u32_e32 v1, s1, v1
	v_add_co_u32_e32 v78, vcc, s0, v2
	v_ashrrev_i32_e32 v2, 31, v1
	v_addc_co_u32_e32 v79, vcc, v4, v3, vcc
	v_lshlrev_b64 v[2:3], 2, v[1:2]
	v_add_u32_e32 v1, s1, v1
	v_add_co_u32_e32 v80, vcc, s0, v2
	v_ashrrev_i32_e32 v2, 31, v1
	v_addc_co_u32_e32 v81, vcc, v4, v3, vcc
	v_lshlrev_b64 v[2:3], 2, v[1:2]
	v_add_u32_e32 v1, s1, v1
	v_add_co_u32_e32 v82, vcc, s0, v2
	v_ashrrev_i32_e32 v2, 31, v1
	v_addc_co_u32_e32 v83, vcc, v4, v3, vcc
	v_lshlrev_b64 v[2:3], 2, v[1:2]
	v_add_u32_e32 v1, s1, v1
	v_add_co_u32_e32 v84, vcc, s0, v2
	v_ashrrev_i32_e32 v2, 31, v1
	v_addc_co_u32_e32 v85, vcc, v4, v3, vcc
	v_lshlrev_b64 v[2:3], 2, v[1:2]
	v_add_u32_e32 v1, s1, v1
	v_add_co_u32_e32 v86, vcc, s0, v2
	v_ashrrev_i32_e32 v2, 31, v1
	v_addc_co_u32_e32 v87, vcc, v4, v3, vcc
	v_lshlrev_b64 v[2:3], 2, v[1:2]
	v_add_u32_e32 v1, s1, v1
	v_add_co_u32_e32 v88, vcc, s0, v2
	v_ashrrev_i32_e32 v2, 31, v1
	v_addc_co_u32_e32 v89, vcc, v4, v3, vcc
	v_lshlrev_b64 v[2:3], 2, v[1:2]
	v_add_u32_e32 v1, s1, v1
	v_add_co_u32_e32 v90, vcc, s0, v2
	v_ashrrev_i32_e32 v2, 31, v1
	v_addc_co_u32_e32 v91, vcc, v4, v3, vcc
	v_lshlrev_b64 v[2:3], 2, v[1:2]
	v_add_u32_e32 v1, s1, v1
	v_add_co_u32_e32 v92, vcc, s0, v2
	v_ashrrev_i32_e32 v2, 31, v1
	v_addc_co_u32_e32 v93, vcc, v4, v3, vcc
	v_lshlrev_b64 v[2:3], 2, v[1:2]
	v_add_u32_e32 v1, s1, v1
	v_add_co_u32_e32 v94, vcc, s0, v2
	v_ashrrev_i32_e32 v2, 31, v1
	v_addc_co_u32_e32 v95, vcc, v4, v3, vcc
	v_lshlrev_b64 v[2:3], 2, v[1:2]
	v_add_u32_e32 v1, s1, v1
	v_add_co_u32_e32 v96, vcc, s0, v2
	v_ashrrev_i32_e32 v2, 31, v1
	v_addc_co_u32_e32 v97, vcc, v4, v3, vcc
	v_lshlrev_b64 v[2:3], 2, v[1:2]
	v_add_u32_e32 v1, s1, v1
	v_add_co_u32_e32 v98, vcc, s0, v2
	v_ashrrev_i32_e32 v2, 31, v1
	v_addc_co_u32_e32 v99, vcc, v4, v3, vcc
	v_lshlrev_b64 v[2:3], 2, v[1:2]
	v_add_u32_e32 v1, s1, v1
	v_add_co_u32_e32 v100, vcc, s0, v2
	v_ashrrev_i32_e32 v2, 31, v1
	v_addc_co_u32_e32 v101, vcc, v4, v3, vcc
	v_lshlrev_b64 v[2:3], 2, v[1:2]
	v_add_u32_e32 v1, s1, v1
	v_add_co_u32_e32 v102, vcc, s0, v2
	v_ashrrev_i32_e32 v2, 31, v1
	v_addc_co_u32_e32 v103, vcc, v4, v3, vcc
	v_lshlrev_b64 v[2:3], 2, v[1:2]
	v_add_u32_e32 v1, s1, v1
	v_add_co_u32_e32 v104, vcc, s0, v2
	v_ashrrev_i32_e32 v2, 31, v1
	v_addc_co_u32_e32 v105, vcc, v4, v3, vcc
	v_lshlrev_b64 v[2:3], 2, v[1:2]
	v_add_u32_e32 v1, s1, v1
	v_add_co_u32_e32 v106, vcc, s0, v2
	v_ashrrev_i32_e32 v2, 31, v1
	v_addc_co_u32_e32 v107, vcc, v4, v3, vcc
	v_lshlrev_b64 v[2:3], 2, v[1:2]
	v_add_u32_e32 v1, s1, v1
	v_add_co_u32_e32 v108, vcc, s0, v2
	v_ashrrev_i32_e32 v2, 31, v1
	v_addc_co_u32_e32 v109, vcc, v4, v3, vcc
	v_lshlrev_b64 v[2:3], 2, v[1:2]
	v_add_u32_e32 v1, s1, v1
	v_add_co_u32_e32 v110, vcc, s0, v2
	v_ashrrev_i32_e32 v2, 31, v1
	v_addc_co_u32_e32 v111, vcc, v4, v3, vcc
	v_lshlrev_b64 v[2:3], 2, v[1:2]
	v_add_u32_e32 v1, s1, v1
	v_add_co_u32_e32 v112, vcc, s0, v2
	v_ashrrev_i32_e32 v2, 31, v1
	v_addc_co_u32_e32 v113, vcc, v4, v3, vcc
	v_lshlrev_b64 v[2:3], 2, v[1:2]
	v_add_u32_e32 v1, s1, v1
	v_add_co_u32_e32 v114, vcc, s0, v2
	v_ashrrev_i32_e32 v2, 31, v1
	v_addc_co_u32_e32 v115, vcc, v4, v3, vcc
	v_lshlrev_b64 v[2:3], 2, v[1:2]
	v_add_u32_e32 v1, s1, v1
	v_add_co_u32_e32 v116, vcc, s0, v2
	v_ashrrev_i32_e32 v2, 31, v1
	v_addc_co_u32_e32 v117, vcc, v4, v3, vcc
	v_lshlrev_b64 v[2:3], 2, v[1:2]
	v_add_u32_e32 v1, s1, v1
	v_add_co_u32_e32 v118, vcc, s0, v2
	v_ashrrev_i32_e32 v2, 31, v1
	v_addc_co_u32_e32 v119, vcc, v4, v3, vcc
	v_lshlrev_b64 v[2:3], 2, v[1:2]
	v_add_u32_e32 v1, s1, v1
	v_add_co_u32_e32 v120, vcc, s0, v2
	v_ashrrev_i32_e32 v2, 31, v1
	v_addc_co_u32_e32 v121, vcc, v4, v3, vcc
	v_lshlrev_b64 v[2:3], 2, v[1:2]
	v_add_u32_e32 v1, s1, v1
	v_add_co_u32_e32 v122, vcc, s0, v2
	v_ashrrev_i32_e32 v2, 31, v1
	v_lshlrev_b64 v[1:2], 2, v[1:2]
	v_addc_co_u32_e32 v123, vcc, v4, v3, vcc
	v_mov_b32_e32 v3, s2
	v_add_co_u32_e32 v124, vcc, s0, v1
	v_addc_co_u32_e32 v125, vcc, v3, v2, vcc
	v_mov_b32_e32 v1, s2
	v_add_co_u32_e32 v126, vcc, s0, v34
	s_ashr_i32 s3, s1, 31
	s_mov_b32 s2, s1
	v_addc_co_u32_e32 v127, vcc, 0, v1, vcc
	s_lshl_b64 s[0:1], s[2:3], 2
	v_mov_b32_e32 v1, s1
	v_add_co_u32_e32 v128, vcc, s0, v126
	v_addc_co_u32_e32 v129, vcc, v127, v1, vcc
	flat_load_dword v2, v[126:127]
	flat_load_dword v3, v[128:129]
	;; [unrolled: 1-line block ×32, first 2 shown]
	s_cmpk_lg_i32 s69, 0x84
	v_mov_b32_e32 v1, 0
	s_cselect_b64 s[66:67], -1, 0
	s_cmpk_eq_i32 s69, 0x84
	v_cmp_eq_u32_e64 s[0:1], 0, v0
	s_cbranch_scc1 .LBB95_3
; %bb.2:
	v_cmp_eq_u32_e64 s[2:3], 1, v0
	s_waitcnt vmcnt(0) lgkmcnt(0)
	v_cndmask_b32_e64 v35, v2, v3, s[2:3]
	v_cmp_eq_u32_e64 s[4:5], 2, v0
	v_cndmask_b32_e64 v35, v35, v4, s[4:5]
	v_cmp_eq_u32_e64 s[6:7], 3, v0
	v_cndmask_b32_e64 v35, v35, v5, s[6:7]
	v_cmp_eq_u32_e64 s[8:9], 4, v0
	v_cndmask_b32_e64 v35, v35, v6, s[8:9]
	v_cmp_eq_u32_e64 s[10:11], 5, v0
	v_cndmask_b32_e64 v35, v35, v7, s[10:11]
	v_cmp_eq_u32_e64 s[12:13], 6, v0
	v_cndmask_b32_e64 v35, v35, v8, s[12:13]
	v_cmp_eq_u32_e64 s[14:15], 7, v0
	v_cndmask_b32_e64 v35, v35, v9, s[14:15]
	v_cmp_eq_u32_e64 s[16:17], 8, v0
	v_cndmask_b32_e64 v35, v35, v10, s[16:17]
	v_cmp_eq_u32_e64 s[18:19], 9, v0
	v_cndmask_b32_e64 v35, v35, v11, s[18:19]
	v_cmp_eq_u32_e64 s[20:21], 10, v0
	v_cndmask_b32_e64 v35, v35, v12, s[20:21]
	v_cmp_eq_u32_e64 s[22:23], 11, v0
	v_cndmask_b32_e64 v35, v35, v13, s[22:23]
	v_cmp_eq_u32_e64 s[24:25], 12, v0
	v_cndmask_b32_e64 v35, v35, v14, s[24:25]
	v_cmp_eq_u32_e64 s[26:27], 13, v0
	v_cndmask_b32_e64 v35, v35, v15, s[26:27]
	v_cmp_eq_u32_e64 s[28:29], 14, v0
	v_cndmask_b32_e64 v35, v35, v16, s[28:29]
	v_cmp_eq_u32_e64 s[30:31], 15, v0
	v_cndmask_b32_e64 v35, v35, v17, s[30:31]
	v_cmp_eq_u32_e64 s[34:35], 16, v0
	v_cndmask_b32_e64 v35, v35, v18, s[34:35]
	v_cmp_eq_u32_e64 s[36:37], 17, v0
	v_cndmask_b32_e64 v35, v35, v19, s[36:37]
	v_cmp_eq_u32_e64 s[38:39], 18, v0
	v_cndmask_b32_e64 v35, v35, v20, s[38:39]
	v_cmp_eq_u32_e64 s[40:41], 19, v0
	v_cndmask_b32_e64 v35, v35, v21, s[40:41]
	v_cmp_eq_u32_e64 s[42:43], 20, v0
	v_cndmask_b32_e64 v35, v35, v22, s[42:43]
	v_cmp_eq_u32_e64 s[44:45], 21, v0
	v_cndmask_b32_e64 v35, v35, v23, s[44:45]
	v_cmp_eq_u32_e64 s[46:47], 22, v0
	v_cndmask_b32_e64 v35, v35, v24, s[46:47]
	v_cmp_eq_u32_e64 s[48:49], 23, v0
	v_cndmask_b32_e64 v35, v35, v25, s[48:49]
	v_cmp_eq_u32_e64 s[50:51], 24, v0
	v_cndmask_b32_e64 v35, v35, v26, s[50:51]
	v_cmp_eq_u32_e64 s[52:53], 25, v0
	v_cndmask_b32_e64 v35, v35, v27, s[52:53]
	v_cmp_eq_u32_e64 s[54:55], 26, v0
	v_cndmask_b32_e64 v35, v35, v28, s[54:55]
	v_cmp_eq_u32_e64 s[56:57], 27, v0
	v_cndmask_b32_e64 v35, v35, v29, s[56:57]
	v_cmp_eq_u32_e64 s[58:59], 28, v0
	v_cndmask_b32_e64 v35, v35, v30, s[58:59]
	v_cmp_eq_u32_e64 s[60:61], 29, v0
	v_cndmask_b32_e64 v35, v35, v31, s[60:61]
	v_cmp_eq_u32_e64 s[62:63], 30, v0
	v_cndmask_b32_e64 v35, v35, v32, s[62:63]
	v_cmp_eq_u32_e64 s[64:65], 31, v0
	v_cndmask_b32_e64 v35, v35, v33, s[64:65]
	v_div_scale_f32 v36, s[70:71], v35, v35, 1.0
	v_div_scale_f32 v37, vcc, 1.0, v35, 1.0
	v_rcp_f32_e32 v38, v36
	v_fma_f32 v39, -v36, v38, 1.0
	v_fmac_f32_e32 v38, v39, v38
	v_mul_f32_e32 v39, v37, v38
	v_fma_f32 v40, -v36, v39, v37
	v_fmac_f32_e32 v39, v40, v38
	v_fma_f32 v36, -v36, v39, v37
	v_div_fmas_f32 v36, v36, v38, v39
	v_div_fixup_f32 v35, v36, v35, 1.0
	v_cndmask_b32_e64 v33, v33, v35, s[64:65]
	v_cndmask_b32_e64 v32, v32, v35, s[62:63]
	;; [unrolled: 1-line block ×32, first 2 shown]
	v_xor_b32_e32 v35, 0x80000000, v35
.LBB95_3:
	s_cmpk_eq_i32 s68, 0x79
	v_add_u32_e32 v130, 0x80, v34
	ds_write_b32 v34, v35
	s_cbranch_scc1 .LBB95_7
; %bb.4:
	s_waitcnt vmcnt(0) lgkmcnt(0)
	v_mov_b32_e32 v65, v33
	v_mov_b32_e32 v64, v32
	;; [unrolled: 1-line block ×32, first 2 shown]
	v_cmp_eq_u32_e64 s[0:1], 31, v0
	ds_write_b32 v130, v32
	s_waitcnt lgkmcnt(0)
	; wave barrier
	s_and_saveexec_b64 s[2:3], s[0:1]
	s_cbranch_execz .LBB95_11
; %bb.5:
	s_and_b64 vcc, exec, s[66:67]
	s_cbranch_vccz .LBB95_8
; %bb.6:
	v_cmp_eq_u32_e32 vcc, 1, v0
	v_cndmask_b32_e32 v34, v2, v3, vcc
	v_cmp_eq_u32_e32 vcc, 2, v0
	v_cndmask_b32_e32 v34, v34, v4, vcc
	;; [unrolled: 2-line block ×27, first 2 shown]
	v_cmp_eq_u32_e32 vcc, 28, v0
	ds_read_b32 v35, v130
	v_cndmask_b32_e32 v34, v34, v30, vcc
	v_cmp_eq_u32_e32 vcc, 29, v0
	v_cndmask_b32_e32 v34, v34, v31, vcc
	v_cmp_eq_u32_e32 vcc, 30, v0
	;; [unrolled: 2-line block ×3, first 2 shown]
	v_cndmask_b32_e32 v34, v34, v33, vcc
	s_waitcnt lgkmcnt(0)
	v_mul_f32_e32 v34, v34, v35
	s_cbranch_execz .LBB95_9
	s_branch .LBB95_10
.LBB95_7:
                                        ; implicit-def: $vgpr34_vgpr35_vgpr36_vgpr37_vgpr38_vgpr39_vgpr40_vgpr41_vgpr42_vgpr43_vgpr44_vgpr45_vgpr46_vgpr47_vgpr48_vgpr49_vgpr50_vgpr51_vgpr52_vgpr53_vgpr54_vgpr55_vgpr56_vgpr57_vgpr58_vgpr59_vgpr60_vgpr61_vgpr62_vgpr63_vgpr64_vgpr65
	s_cbranch_execnz .LBB95_482
	s_branch .LBB95_795
.LBB95_8:
                                        ; implicit-def: $vgpr34
.LBB95_9:
	ds_read_b32 v34, v130
.LBB95_10:
	v_mov_b32_e32 v35, 0
	ds_read_b32 v35, v35 offset:120
	s_waitcnt lgkmcnt(0)
	v_mul_f32_e32 v131, v34, v35
	v_mov_b32_e32 v65, v33
	v_mov_b32_e32 v64, v32
	v_mov_b32_e32 v63, v31
	v_mov_b32_e32 v62, v30
	v_mov_b32_e32 v61, v29
	v_mov_b32_e32 v60, v28
	v_mov_b32_e32 v59, v27
	v_mov_b32_e32 v58, v26
	v_mov_b32_e32 v57, v25
	v_mov_b32_e32 v56, v24
	v_mov_b32_e32 v55, v23
	v_mov_b32_e32 v54, v22
	v_mov_b32_e32 v53, v21
	v_mov_b32_e32 v52, v20
	v_mov_b32_e32 v51, v19
	v_mov_b32_e32 v50, v18
	v_mov_b32_e32 v49, v17
	v_mov_b32_e32 v48, v16
	v_mov_b32_e32 v47, v15
	v_mov_b32_e32 v46, v14
	v_mov_b32_e32 v45, v13
	v_mov_b32_e32 v44, v12
	v_mov_b32_e32 v43, v11
	v_mov_b32_e32 v42, v10
	v_mov_b32_e32 v41, v9
	v_mov_b32_e32 v40, v8
	v_mov_b32_e32 v39, v7
	v_mov_b32_e32 v38, v6
	v_mov_b32_e32 v37, v5
	v_mov_b32_e32 v36, v4
	v_mov_b32_e32 v35, v3
	v_mov_b32_e32 v34, v2
	v_mov_b32_e32 v64, v131
.LBB95_11:
	s_or_b64 exec, exec, s[2:3]
	v_cmp_lt_u32_e64 s[2:3], 29, v0
	ds_write_b32 v130, v63
	s_waitcnt lgkmcnt(0)
	; wave barrier
	s_and_saveexec_b64 s[4:5], s[2:3]
	s_cbranch_execz .LBB95_17
; %bb.12:
	s_andn2_b64 vcc, exec, s[66:67]
	s_cbranch_vccnz .LBB95_14
; %bb.13:
	v_cmp_eq_u32_e32 vcc, 1, v0
	v_cndmask_b32_e32 v131, v34, v35, vcc
	v_cmp_eq_u32_e32 vcc, 2, v0
	v_cndmask_b32_e32 v131, v131, v36, vcc
	v_cmp_eq_u32_e32 vcc, 3, v0
	v_cndmask_b32_e32 v131, v131, v37, vcc
	v_cmp_eq_u32_e32 vcc, 4, v0
	v_cndmask_b32_e32 v131, v131, v38, vcc
	v_cmp_eq_u32_e32 vcc, 5, v0
	v_cndmask_b32_e32 v131, v131, v39, vcc
	v_cmp_eq_u32_e32 vcc, 6, v0
	v_cndmask_b32_e32 v131, v131, v40, vcc
	v_cmp_eq_u32_e32 vcc, 7, v0
	v_cndmask_b32_e32 v131, v131, v41, vcc
	v_cmp_eq_u32_e32 vcc, 8, v0
	v_cndmask_b32_e32 v131, v131, v42, vcc
	v_cmp_eq_u32_e32 vcc, 9, v0
	v_cndmask_b32_e32 v131, v131, v43, vcc
	v_cmp_eq_u32_e32 vcc, 10, v0
	v_cndmask_b32_e32 v131, v131, v44, vcc
	v_cmp_eq_u32_e32 vcc, 11, v0
	v_cndmask_b32_e32 v131, v131, v45, vcc
	v_cmp_eq_u32_e32 vcc, 12, v0
	v_cndmask_b32_e32 v131, v131, v46, vcc
	v_cmp_eq_u32_e32 vcc, 13, v0
	v_cndmask_b32_e32 v131, v131, v47, vcc
	v_cmp_eq_u32_e32 vcc, 14, v0
	v_cndmask_b32_e32 v131, v131, v48, vcc
	v_cmp_eq_u32_e32 vcc, 15, v0
	v_cndmask_b32_e32 v131, v131, v49, vcc
	v_cmp_eq_u32_e32 vcc, 16, v0
	v_cndmask_b32_e32 v131, v131, v50, vcc
	v_cmp_eq_u32_e32 vcc, 17, v0
	v_cndmask_b32_e32 v131, v131, v51, vcc
	v_cmp_eq_u32_e32 vcc, 18, v0
	v_cndmask_b32_e32 v131, v131, v52, vcc
	v_cmp_eq_u32_e32 vcc, 19, v0
	v_cndmask_b32_e32 v131, v131, v53, vcc
	v_cmp_eq_u32_e32 vcc, 20, v0
	v_cndmask_b32_e32 v131, v131, v54, vcc
	v_cmp_eq_u32_e32 vcc, 21, v0
	v_cndmask_b32_e32 v131, v131, v55, vcc
	v_cmp_eq_u32_e32 vcc, 22, v0
	v_cndmask_b32_e32 v131, v131, v56, vcc
	v_cmp_eq_u32_e32 vcc, 23, v0
	v_cndmask_b32_e32 v131, v131, v57, vcc
	v_cmp_eq_u32_e32 vcc, 24, v0
	v_cndmask_b32_e32 v131, v131, v58, vcc
	v_cmp_eq_u32_e32 vcc, 25, v0
	v_cndmask_b32_e32 v131, v131, v59, vcc
	v_cmp_eq_u32_e32 vcc, 26, v0
	v_cndmask_b32_e32 v131, v131, v60, vcc
	v_cmp_eq_u32_e32 vcc, 27, v0
	v_cndmask_b32_e32 v131, v131, v61, vcc
	v_cmp_eq_u32_e32 vcc, 28, v0
	v_cndmask_b32_e32 v131, v131, v62, vcc
	v_cmp_eq_u32_e32 vcc, 29, v0
	v_cndmask_b32_e32 v63, v131, v63, vcc
	ds_read_b32 v131, v130
	v_cmp_eq_u32_e32 vcc, 30, v0
	v_cndmask_b32_e32 v63, v63, v64, vcc
	v_cmp_eq_u32_e32 vcc, 31, v0
	v_cndmask_b32_e32 v63, v63, v65, vcc
	s_waitcnt lgkmcnt(0)
	v_mul_f32_e32 v63, v63, v131
	s_cbranch_execz .LBB95_15
	s_branch .LBB95_16
.LBB95_14:
                                        ; implicit-def: $vgpr63
.LBB95_15:
	ds_read_b32 v63, v130
.LBB95_16:
	v_mov_b32_e32 v131, 0
	ds_read2_b32 v[131:132], v131 offset0:29 offset1:62
	s_waitcnt lgkmcnt(0)
	v_fma_f32 v132, v64, v132, v63
	v_cndmask_b32_e64 v63, v63, v132, s[0:1]
	v_mul_f32_e32 v63, v63, v131
.LBB95_17:
	s_or_b64 exec, exec, s[4:5]
	v_cmp_lt_u32_e64 s[0:1], 28, v0
	ds_write_b32 v130, v62
	s_waitcnt lgkmcnt(0)
	; wave barrier
	s_and_saveexec_b64 s[4:5], s[0:1]
	s_cbranch_execz .LBB95_33
; %bb.18:
	s_andn2_b64 vcc, exec, s[66:67]
	s_cbranch_vccnz .LBB95_20
; %bb.19:
	v_cmp_eq_u32_e32 vcc, 1, v0
	v_cndmask_b32_e32 v131, v34, v35, vcc
	v_cmp_eq_u32_e32 vcc, 2, v0
	v_cndmask_b32_e32 v131, v131, v36, vcc
	;; [unrolled: 2-line block ×27, first 2 shown]
	v_cmp_eq_u32_e32 vcc, 28, v0
	ds_read_b32 v132, v130
	v_cndmask_b32_e32 v131, v131, v62, vcc
	v_cmp_eq_u32_e32 vcc, 29, v0
	v_cndmask_b32_e32 v131, v131, v63, vcc
	v_cmp_eq_u32_e32 vcc, 30, v0
	;; [unrolled: 2-line block ×3, first 2 shown]
	v_cndmask_b32_e32 v131, v131, v65, vcc
	s_waitcnt lgkmcnt(0)
	v_mul_f32_e32 v131, v131, v132
	s_cbranch_execz .LBB95_21
	s_branch .LBB95_22
.LBB95_20:
                                        ; implicit-def: $vgpr131
.LBB95_21:
	ds_read_b32 v131, v130
.LBB95_22:
	s_and_saveexec_b64 s[6:7], s[2:3]
	s_cbranch_execz .LBB95_32
; %bb.23:
	v_subrev_u32_e32 v134, 30, v0
	v_mov_b32_e32 v132, 29
	v_subrev_u32_e32 v133, 29, v0
	v_cmp_lt_u32_e32 vcc, 6, v134
	s_and_saveexec_b64 s[2:3], vcc
	s_cbranch_execz .LBB95_27
; %bb.24:
	v_and_b32_e32 v132, -8, v133
	v_sub_u32_e32 v134, 0, v132
	s_mov_b64 s[8:9], 36
	s_movk_i32 s12, 0xf4
	s_mov_b64 s[10:11], 0
.LBB95_25:                              ; =>This Inner Loop Header: Depth=1
	s_add_i32 s13, s8, -7
	v_mov_b32_e32 v132, s12
	s_add_i32 s14, s8, -6
	s_set_gpr_idx_on s13, gpr_idx(SRC0)
	v_mov_b32_e32 v141, v34
	s_set_gpr_idx_off
	ds_read2_b32 v[135:136], v132 offset1:1
	s_add_i32 s15, s8, -5
	s_set_gpr_idx_on s14, gpr_idx(SRC0)
	v_mov_b32_e32 v142, v34
	s_set_gpr_idx_off
	s_add_i32 s16, s8, -4
	s_set_gpr_idx_on s15, gpr_idx(SRC0)
	v_mov_b32_e32 v143, v34
	s_set_gpr_idx_off
	ds_read2_b32 v[137:138], v132 offset0:2 offset1:3
	s_add_i32 s17, s8, -3
	s_set_gpr_idx_on s16, gpr_idx(SRC0)
	v_mov_b32_e32 v144, v34
	s_set_gpr_idx_off
	s_add_i32 s18, s8, -2
	s_set_gpr_idx_on s17, gpr_idx(SRC0)
	v_mov_b32_e32 v145, v34
	s_set_gpr_idx_off
	ds_read2_b32 v[139:140], v132 offset0:4 offset1:5
	s_add_i32 s19, s8, -1
	s_waitcnt lgkmcnt(2)
	v_fmac_f32_e32 v131, v141, v135
	s_set_gpr_idx_on s18, gpr_idx(SRC0)
	v_mov_b32_e32 v141, v34
	s_set_gpr_idx_off
	v_fmac_f32_e32 v131, v142, v136
	s_set_gpr_idx_on s19, gpr_idx(SRC0)
	v_mov_b32_e32 v142, v34
	s_set_gpr_idx_off
	ds_read2_b32 v[135:136], v132 offset0:6 offset1:7
	s_waitcnt lgkmcnt(2)
	v_fmac_f32_e32 v131, v143, v137
	s_set_gpr_idx_on s8, gpr_idx(SRC0)
	v_mov_b32_e32 v137, v34
	s_set_gpr_idx_off
	v_fmac_f32_e32 v131, v144, v138
	s_add_u32 s8, s8, 8
	s_waitcnt lgkmcnt(1)
	v_fmac_f32_e32 v131, v145, v139
	v_add_u32_e32 v132, s8, v134
	v_fmac_f32_e32 v131, v141, v140
	s_addc_u32 s9, s9, 0
	s_add_i32 s12, s12, 32
	s_add_i32 s13, s8, -7
	v_cmp_eq_u32_e32 vcc, 36, v132
	s_waitcnt lgkmcnt(0)
	v_fmac_f32_e32 v131, v142, v135
	v_mov_b32_e32 v132, s13
	s_or_b64 s[10:11], vcc, s[10:11]
	v_fmac_f32_e32 v131, v137, v136
	s_andn2_b64 exec, exec, s[10:11]
	s_cbranch_execnz .LBB95_25
; %bb.26:
	s_or_b64 exec, exec, s[10:11]
.LBB95_27:
	s_or_b64 exec, exec, s[2:3]
	v_and_b32_e32 v133, 7, v133
	v_cmp_ne_u32_e32 vcc, 0, v133
	s_and_saveexec_b64 s[8:9], vcc
	s_cbranch_execz .LBB95_31
; %bb.28:
	v_mov_b32_e32 v134, 0x80
	v_lshl_add_u32 v134, v132, 2, v134
	v_mov_b32_e32 v135, 0
	s_mov_b64 s[10:11], 0
.LBB95_29:                              ; =>This Inner Loop Header: Depth=1
	v_cmp_eq_u32_e32 vcc, 1, v132
	v_cndmask_b32_e32 v136, v34, v35, vcc
	v_add_u32_e32 v133, -1, v133
	v_cmp_eq_u32_e32 vcc, 2, v132
	v_cndmask_b32_e32 v136, v136, v36, vcc
	v_cmp_eq_u32_e32 vcc, 0, v133
	v_cmp_eq_u32_e64 s[2:3], 3, v132
	v_cndmask_b32_e64 v136, v136, v37, s[2:3]
	s_or_b64 s[10:11], vcc, s[10:11]
	v_cmp_eq_u32_e32 vcc, 4, v132
	v_cndmask_b32_e32 v136, v136, v38, vcc
	v_cmp_eq_u32_e32 vcc, 5, v132
	v_cndmask_b32_e32 v136, v136, v39, vcc
	;; [unrolled: 2-line block ×23, first 2 shown]
	v_cmp_eq_u32_e32 vcc, 27, v132
	ds_read_b32 v137, v134
	v_cndmask_b32_e32 v136, v136, v61, vcc
	v_cmp_eq_u32_e32 vcc, 28, v132
	v_cndmask_b32_e32 v136, v136, v62, vcc
	v_cmp_eq_u32_e32 vcc, 29, v132
	;; [unrolled: 2-line block ×4, first 2 shown]
	v_add_co_u32_e64 v132, s[2:3], 1, v132
	v_cndmask_b32_e32 v136, v136, v65, vcc
	v_add_u32_e32 v134, 4, v134
	v_addc_co_u32_e64 v135, s[2:3], 0, v135, s[2:3]
	s_waitcnt lgkmcnt(0)
	v_fmac_f32_e32 v131, v136, v137
	s_andn2_b64 exec, exec, s[10:11]
	s_cbranch_execnz .LBB95_29
; %bb.30:
	s_or_b64 exec, exec, s[10:11]
.LBB95_31:
	s_or_b64 exec, exec, s[8:9]
.LBB95_32:
	s_or_b64 exec, exec, s[6:7]
	v_mov_b32_e32 v62, 0
	ds_read_b32 v62, v62 offset:112
	s_waitcnt lgkmcnt(0)
	v_mul_f32_e32 v62, v131, v62
.LBB95_33:
	s_or_b64 exec, exec, s[4:5]
	v_cmp_lt_u32_e64 s[2:3], 27, v0
	ds_write_b32 v130, v61
	s_waitcnt lgkmcnt(0)
	; wave barrier
	s_and_saveexec_b64 s[4:5], s[2:3]
	s_cbranch_execz .LBB95_49
; %bb.34:
	s_andn2_b64 vcc, exec, s[66:67]
	s_cbranch_vccnz .LBB95_36
; %bb.35:
	v_cmp_eq_u32_e32 vcc, 1, v0
	v_cndmask_b32_e32 v131, v34, v35, vcc
	v_cmp_eq_u32_e32 vcc, 2, v0
	v_cndmask_b32_e32 v131, v131, v36, vcc
	v_cmp_eq_u32_e32 vcc, 3, v0
	v_cndmask_b32_e32 v131, v131, v37, vcc
	v_cmp_eq_u32_e32 vcc, 4, v0
	v_cndmask_b32_e32 v131, v131, v38, vcc
	v_cmp_eq_u32_e32 vcc, 5, v0
	v_cndmask_b32_e32 v131, v131, v39, vcc
	v_cmp_eq_u32_e32 vcc, 6, v0
	v_cndmask_b32_e32 v131, v131, v40, vcc
	v_cmp_eq_u32_e32 vcc, 7, v0
	v_cndmask_b32_e32 v131, v131, v41, vcc
	v_cmp_eq_u32_e32 vcc, 8, v0
	v_cndmask_b32_e32 v131, v131, v42, vcc
	v_cmp_eq_u32_e32 vcc, 9, v0
	v_cndmask_b32_e32 v131, v131, v43, vcc
	v_cmp_eq_u32_e32 vcc, 10, v0
	v_cndmask_b32_e32 v131, v131, v44, vcc
	v_cmp_eq_u32_e32 vcc, 11, v0
	v_cndmask_b32_e32 v131, v131, v45, vcc
	v_cmp_eq_u32_e32 vcc, 12, v0
	v_cndmask_b32_e32 v131, v131, v46, vcc
	v_cmp_eq_u32_e32 vcc, 13, v0
	v_cndmask_b32_e32 v131, v131, v47, vcc
	v_cmp_eq_u32_e32 vcc, 14, v0
	v_cndmask_b32_e32 v131, v131, v48, vcc
	v_cmp_eq_u32_e32 vcc, 15, v0
	v_cndmask_b32_e32 v131, v131, v49, vcc
	v_cmp_eq_u32_e32 vcc, 16, v0
	v_cndmask_b32_e32 v131, v131, v50, vcc
	v_cmp_eq_u32_e32 vcc, 17, v0
	v_cndmask_b32_e32 v131, v131, v51, vcc
	v_cmp_eq_u32_e32 vcc, 18, v0
	v_cndmask_b32_e32 v131, v131, v52, vcc
	v_cmp_eq_u32_e32 vcc, 19, v0
	v_cndmask_b32_e32 v131, v131, v53, vcc
	v_cmp_eq_u32_e32 vcc, 20, v0
	v_cndmask_b32_e32 v131, v131, v54, vcc
	v_cmp_eq_u32_e32 vcc, 21, v0
	v_cndmask_b32_e32 v131, v131, v55, vcc
	v_cmp_eq_u32_e32 vcc, 22, v0
	v_cndmask_b32_e32 v131, v131, v56, vcc
	v_cmp_eq_u32_e32 vcc, 23, v0
	v_cndmask_b32_e32 v131, v131, v57, vcc
	v_cmp_eq_u32_e32 vcc, 24, v0
	v_cndmask_b32_e32 v131, v131, v58, vcc
	v_cmp_eq_u32_e32 vcc, 25, v0
	v_cndmask_b32_e32 v131, v131, v59, vcc
	v_cmp_eq_u32_e32 vcc, 26, v0
	v_cndmask_b32_e32 v131, v131, v60, vcc
	v_cmp_eq_u32_e32 vcc, 27, v0
	v_cndmask_b32_e32 v131, v131, v61, vcc
	v_cmp_eq_u32_e32 vcc, 28, v0
	ds_read_b32 v132, v130
	v_cndmask_b32_e32 v131, v131, v62, vcc
	v_cmp_eq_u32_e32 vcc, 29, v0
	v_cndmask_b32_e32 v131, v131, v63, vcc
	v_cmp_eq_u32_e32 vcc, 30, v0
	;; [unrolled: 2-line block ×3, first 2 shown]
	v_cndmask_b32_e32 v131, v131, v65, vcc
	s_waitcnt lgkmcnt(0)
	v_mul_f32_e32 v131, v131, v132
	s_cbranch_execz .LBB95_37
	s_branch .LBB95_38
.LBB95_36:
                                        ; implicit-def: $vgpr131
.LBB95_37:
	ds_read_b32 v131, v130
.LBB95_38:
	s_and_saveexec_b64 s[6:7], s[0:1]
	s_cbranch_execz .LBB95_48
; %bb.39:
	v_subrev_u32_e32 v134, 29, v0
	v_mov_b32_e32 v132, 28
	v_subrev_u32_e32 v133, 28, v0
	v_cmp_lt_u32_e32 vcc, 6, v134
	s_and_saveexec_b64 s[0:1], vcc
	s_cbranch_execz .LBB95_43
; %bb.40:
	v_and_b32_e32 v132, -8, v133
	v_sub_u32_e32 v134, 0, v132
	s_mov_b64 s[8:9], 35
	s_movk_i32 s12, 0xf0
	s_mov_b64 s[10:11], 0
.LBB95_41:                              ; =>This Inner Loop Header: Depth=1
	s_add_i32 s13, s8, -7
	v_mov_b32_e32 v132, s12
	s_add_i32 s14, s8, -6
	s_set_gpr_idx_on s13, gpr_idx(SRC0)
	v_mov_b32_e32 v143, v34
	s_set_gpr_idx_off
	s_add_i32 s15, s8, -5
	ds_read_b128 v[135:138], v132
	ds_read_b128 v[139:142], v132 offset:16
	s_set_gpr_idx_on s14, gpr_idx(SRC0)
	v_mov_b32_e32 v132, v34
	s_set_gpr_idx_off
	s_add_i32 s16, s8, -4
	s_set_gpr_idx_on s15, gpr_idx(SRC0)
	v_mov_b32_e32 v144, v34
	s_set_gpr_idx_off
	s_add_i32 s17, s8, -3
	;; [unrolled: 4-line block ×4, first 2 shown]
	s_waitcnt lgkmcnt(1)
	v_fmac_f32_e32 v131, v143, v135
	s_set_gpr_idx_on s18, gpr_idx(SRC0)
	v_mov_b32_e32 v135, v34
	s_set_gpr_idx_off
	v_fmac_f32_e32 v131, v132, v136
	s_set_gpr_idx_on s19, gpr_idx(SRC0)
	v_mov_b32_e32 v136, v34
	s_set_gpr_idx_off
	;; [unrolled: 4-line block ×3, first 2 shown]
	v_fmac_f32_e32 v131, v145, v138
	s_add_u32 s8, s8, 8
	s_waitcnt lgkmcnt(0)
	v_fmac_f32_e32 v131, v146, v139
	v_add_u32_e32 v132, s8, v134
	v_fmac_f32_e32 v131, v135, v140
	s_addc_u32 s9, s9, 0
	s_add_i32 s12, s12, 32
	s_add_i32 s13, s8, -7
	v_cmp_eq_u32_e32 vcc, 35, v132
	v_fmac_f32_e32 v131, v136, v141
	v_mov_b32_e32 v132, s13
	s_or_b64 s[10:11], vcc, s[10:11]
	v_fmac_f32_e32 v131, v137, v142
	s_andn2_b64 exec, exec, s[10:11]
	s_cbranch_execnz .LBB95_41
; %bb.42:
	s_or_b64 exec, exec, s[10:11]
.LBB95_43:
	s_or_b64 exec, exec, s[0:1]
	v_and_b32_e32 v133, 7, v133
	v_cmp_ne_u32_e32 vcc, 0, v133
	s_and_saveexec_b64 s[8:9], vcc
	s_cbranch_execz .LBB95_47
; %bb.44:
	v_mov_b32_e32 v134, 0x80
	v_lshl_add_u32 v134, v132, 2, v134
	v_mov_b32_e32 v135, 0
	s_mov_b64 s[10:11], 0
.LBB95_45:                              ; =>This Inner Loop Header: Depth=1
	v_cmp_eq_u32_e32 vcc, 1, v132
	v_cndmask_b32_e32 v136, v34, v35, vcc
	v_add_u32_e32 v133, -1, v133
	v_cmp_eq_u32_e32 vcc, 2, v132
	v_cndmask_b32_e32 v136, v136, v36, vcc
	v_cmp_eq_u32_e32 vcc, 0, v133
	v_cmp_eq_u32_e64 s[0:1], 3, v132
	v_cndmask_b32_e64 v136, v136, v37, s[0:1]
	s_or_b64 s[10:11], vcc, s[10:11]
	v_cmp_eq_u32_e32 vcc, 4, v132
	v_cndmask_b32_e32 v136, v136, v38, vcc
	v_cmp_eq_u32_e32 vcc, 5, v132
	v_cndmask_b32_e32 v136, v136, v39, vcc
	;; [unrolled: 2-line block ×23, first 2 shown]
	v_cmp_eq_u32_e32 vcc, 27, v132
	ds_read_b32 v137, v134
	v_cndmask_b32_e32 v136, v136, v61, vcc
	v_cmp_eq_u32_e32 vcc, 28, v132
	v_cndmask_b32_e32 v136, v136, v62, vcc
	v_cmp_eq_u32_e32 vcc, 29, v132
	;; [unrolled: 2-line block ×4, first 2 shown]
	v_add_co_u32_e64 v132, s[0:1], 1, v132
	v_cndmask_b32_e32 v136, v136, v65, vcc
	v_add_u32_e32 v134, 4, v134
	v_addc_co_u32_e64 v135, s[0:1], 0, v135, s[0:1]
	s_waitcnt lgkmcnt(0)
	v_fmac_f32_e32 v131, v136, v137
	s_andn2_b64 exec, exec, s[10:11]
	s_cbranch_execnz .LBB95_45
; %bb.46:
	s_or_b64 exec, exec, s[10:11]
.LBB95_47:
	s_or_b64 exec, exec, s[8:9]
.LBB95_48:
	s_or_b64 exec, exec, s[6:7]
	v_mov_b32_e32 v61, 0
	ds_read_b32 v61, v61 offset:108
	s_waitcnt lgkmcnt(0)
	v_mul_f32_e32 v61, v131, v61
.LBB95_49:
	s_or_b64 exec, exec, s[4:5]
	v_cmp_lt_u32_e64 s[0:1], 26, v0
	ds_write_b32 v130, v60
	s_waitcnt lgkmcnt(0)
	; wave barrier
	s_and_saveexec_b64 s[4:5], s[0:1]
	s_cbranch_execz .LBB95_65
; %bb.50:
	s_andn2_b64 vcc, exec, s[66:67]
	s_cbranch_vccnz .LBB95_52
; %bb.51:
	v_cmp_eq_u32_e32 vcc, 1, v0
	v_cndmask_b32_e32 v131, v34, v35, vcc
	v_cmp_eq_u32_e32 vcc, 2, v0
	v_cndmask_b32_e32 v131, v131, v36, vcc
	;; [unrolled: 2-line block ×27, first 2 shown]
	v_cmp_eq_u32_e32 vcc, 28, v0
	ds_read_b32 v132, v130
	v_cndmask_b32_e32 v131, v131, v62, vcc
	v_cmp_eq_u32_e32 vcc, 29, v0
	v_cndmask_b32_e32 v131, v131, v63, vcc
	v_cmp_eq_u32_e32 vcc, 30, v0
	;; [unrolled: 2-line block ×3, first 2 shown]
	v_cndmask_b32_e32 v131, v131, v65, vcc
	s_waitcnt lgkmcnt(0)
	v_mul_f32_e32 v131, v131, v132
	s_cbranch_execz .LBB95_53
	s_branch .LBB95_54
.LBB95_52:
                                        ; implicit-def: $vgpr131
.LBB95_53:
	ds_read_b32 v131, v130
.LBB95_54:
	s_and_saveexec_b64 s[6:7], s[2:3]
	s_cbranch_execz .LBB95_64
; %bb.55:
	v_subrev_u32_e32 v134, 28, v0
	v_mov_b32_e32 v132, 27
	v_subrev_u32_e32 v133, 27, v0
	v_cmp_lt_u32_e32 vcc, 6, v134
	s_and_saveexec_b64 s[2:3], vcc
	s_cbranch_execz .LBB95_59
; %bb.56:
	v_and_b32_e32 v132, -8, v133
	v_sub_u32_e32 v134, 0, v132
	s_mov_b64 s[8:9], 34
	s_movk_i32 s12, 0xec
	s_mov_b64 s[10:11], 0
.LBB95_57:                              ; =>This Inner Loop Header: Depth=1
	s_add_i32 s13, s8, -7
	v_mov_b32_e32 v132, s12
	s_add_i32 s14, s8, -6
	s_set_gpr_idx_on s13, gpr_idx(SRC0)
	v_mov_b32_e32 v141, v34
	s_set_gpr_idx_off
	ds_read2_b32 v[135:136], v132 offset1:1
	s_add_i32 s15, s8, -5
	s_set_gpr_idx_on s14, gpr_idx(SRC0)
	v_mov_b32_e32 v142, v34
	s_set_gpr_idx_off
	s_add_i32 s16, s8, -4
	s_set_gpr_idx_on s15, gpr_idx(SRC0)
	v_mov_b32_e32 v143, v34
	s_set_gpr_idx_off
	ds_read2_b32 v[137:138], v132 offset0:2 offset1:3
	s_add_i32 s17, s8, -3
	s_set_gpr_idx_on s16, gpr_idx(SRC0)
	v_mov_b32_e32 v144, v34
	s_set_gpr_idx_off
	s_add_i32 s18, s8, -2
	s_set_gpr_idx_on s17, gpr_idx(SRC0)
	v_mov_b32_e32 v145, v34
	s_set_gpr_idx_off
	ds_read2_b32 v[139:140], v132 offset0:4 offset1:5
	s_add_i32 s19, s8, -1
	s_waitcnt lgkmcnt(2)
	v_fmac_f32_e32 v131, v141, v135
	s_set_gpr_idx_on s18, gpr_idx(SRC0)
	v_mov_b32_e32 v141, v34
	s_set_gpr_idx_off
	v_fmac_f32_e32 v131, v142, v136
	s_set_gpr_idx_on s19, gpr_idx(SRC0)
	v_mov_b32_e32 v142, v34
	s_set_gpr_idx_off
	ds_read2_b32 v[135:136], v132 offset0:6 offset1:7
	s_waitcnt lgkmcnt(2)
	v_fmac_f32_e32 v131, v143, v137
	s_set_gpr_idx_on s8, gpr_idx(SRC0)
	v_mov_b32_e32 v137, v34
	s_set_gpr_idx_off
	v_fmac_f32_e32 v131, v144, v138
	s_add_u32 s8, s8, 8
	s_waitcnt lgkmcnt(1)
	v_fmac_f32_e32 v131, v145, v139
	v_add_u32_e32 v132, s8, v134
	v_fmac_f32_e32 v131, v141, v140
	s_addc_u32 s9, s9, 0
	s_add_i32 s12, s12, 32
	s_add_i32 s13, s8, -7
	v_cmp_eq_u32_e32 vcc, 34, v132
	s_waitcnt lgkmcnt(0)
	v_fmac_f32_e32 v131, v142, v135
	v_mov_b32_e32 v132, s13
	s_or_b64 s[10:11], vcc, s[10:11]
	v_fmac_f32_e32 v131, v137, v136
	s_andn2_b64 exec, exec, s[10:11]
	s_cbranch_execnz .LBB95_57
; %bb.58:
	s_or_b64 exec, exec, s[10:11]
.LBB95_59:
	s_or_b64 exec, exec, s[2:3]
	v_and_b32_e32 v133, 7, v133
	v_cmp_ne_u32_e32 vcc, 0, v133
	s_and_saveexec_b64 s[8:9], vcc
	s_cbranch_execz .LBB95_63
; %bb.60:
	v_mov_b32_e32 v134, 0x80
	v_lshl_add_u32 v134, v132, 2, v134
	v_mov_b32_e32 v135, 0
	s_mov_b64 s[10:11], 0
.LBB95_61:                              ; =>This Inner Loop Header: Depth=1
	v_cmp_eq_u32_e32 vcc, 1, v132
	v_cndmask_b32_e32 v136, v34, v35, vcc
	v_add_u32_e32 v133, -1, v133
	v_cmp_eq_u32_e32 vcc, 2, v132
	v_cndmask_b32_e32 v136, v136, v36, vcc
	v_cmp_eq_u32_e32 vcc, 0, v133
	v_cmp_eq_u32_e64 s[2:3], 3, v132
	v_cndmask_b32_e64 v136, v136, v37, s[2:3]
	s_or_b64 s[10:11], vcc, s[10:11]
	v_cmp_eq_u32_e32 vcc, 4, v132
	v_cndmask_b32_e32 v136, v136, v38, vcc
	v_cmp_eq_u32_e32 vcc, 5, v132
	v_cndmask_b32_e32 v136, v136, v39, vcc
	;; [unrolled: 2-line block ×23, first 2 shown]
	v_cmp_eq_u32_e32 vcc, 27, v132
	ds_read_b32 v137, v134
	v_cndmask_b32_e32 v136, v136, v61, vcc
	v_cmp_eq_u32_e32 vcc, 28, v132
	v_cndmask_b32_e32 v136, v136, v62, vcc
	v_cmp_eq_u32_e32 vcc, 29, v132
	;; [unrolled: 2-line block ×4, first 2 shown]
	v_add_co_u32_e64 v132, s[2:3], 1, v132
	v_cndmask_b32_e32 v136, v136, v65, vcc
	v_add_u32_e32 v134, 4, v134
	v_addc_co_u32_e64 v135, s[2:3], 0, v135, s[2:3]
	s_waitcnt lgkmcnt(0)
	v_fmac_f32_e32 v131, v136, v137
	s_andn2_b64 exec, exec, s[10:11]
	s_cbranch_execnz .LBB95_61
; %bb.62:
	s_or_b64 exec, exec, s[10:11]
.LBB95_63:
	s_or_b64 exec, exec, s[8:9]
.LBB95_64:
	s_or_b64 exec, exec, s[6:7]
	v_mov_b32_e32 v60, 0
	ds_read_b32 v60, v60 offset:104
	s_waitcnt lgkmcnt(0)
	v_mul_f32_e32 v60, v131, v60
.LBB95_65:
	s_or_b64 exec, exec, s[4:5]
	v_cmp_lt_u32_e64 s[2:3], 25, v0
	ds_write_b32 v130, v59
	s_waitcnt lgkmcnt(0)
	; wave barrier
	s_and_saveexec_b64 s[4:5], s[2:3]
	s_cbranch_execz .LBB95_81
; %bb.66:
	s_andn2_b64 vcc, exec, s[66:67]
	s_cbranch_vccnz .LBB95_68
; %bb.67:
	v_cmp_eq_u32_e32 vcc, 1, v0
	v_cndmask_b32_e32 v131, v34, v35, vcc
	v_cmp_eq_u32_e32 vcc, 2, v0
	v_cndmask_b32_e32 v131, v131, v36, vcc
	v_cmp_eq_u32_e32 vcc, 3, v0
	v_cndmask_b32_e32 v131, v131, v37, vcc
	v_cmp_eq_u32_e32 vcc, 4, v0
	v_cndmask_b32_e32 v131, v131, v38, vcc
	v_cmp_eq_u32_e32 vcc, 5, v0
	v_cndmask_b32_e32 v131, v131, v39, vcc
	v_cmp_eq_u32_e32 vcc, 6, v0
	v_cndmask_b32_e32 v131, v131, v40, vcc
	v_cmp_eq_u32_e32 vcc, 7, v0
	v_cndmask_b32_e32 v131, v131, v41, vcc
	v_cmp_eq_u32_e32 vcc, 8, v0
	v_cndmask_b32_e32 v131, v131, v42, vcc
	v_cmp_eq_u32_e32 vcc, 9, v0
	v_cndmask_b32_e32 v131, v131, v43, vcc
	v_cmp_eq_u32_e32 vcc, 10, v0
	v_cndmask_b32_e32 v131, v131, v44, vcc
	v_cmp_eq_u32_e32 vcc, 11, v0
	v_cndmask_b32_e32 v131, v131, v45, vcc
	v_cmp_eq_u32_e32 vcc, 12, v0
	v_cndmask_b32_e32 v131, v131, v46, vcc
	v_cmp_eq_u32_e32 vcc, 13, v0
	v_cndmask_b32_e32 v131, v131, v47, vcc
	v_cmp_eq_u32_e32 vcc, 14, v0
	v_cndmask_b32_e32 v131, v131, v48, vcc
	v_cmp_eq_u32_e32 vcc, 15, v0
	v_cndmask_b32_e32 v131, v131, v49, vcc
	v_cmp_eq_u32_e32 vcc, 16, v0
	v_cndmask_b32_e32 v131, v131, v50, vcc
	v_cmp_eq_u32_e32 vcc, 17, v0
	v_cndmask_b32_e32 v131, v131, v51, vcc
	v_cmp_eq_u32_e32 vcc, 18, v0
	v_cndmask_b32_e32 v131, v131, v52, vcc
	v_cmp_eq_u32_e32 vcc, 19, v0
	v_cndmask_b32_e32 v131, v131, v53, vcc
	v_cmp_eq_u32_e32 vcc, 20, v0
	v_cndmask_b32_e32 v131, v131, v54, vcc
	v_cmp_eq_u32_e32 vcc, 21, v0
	v_cndmask_b32_e32 v131, v131, v55, vcc
	v_cmp_eq_u32_e32 vcc, 22, v0
	v_cndmask_b32_e32 v131, v131, v56, vcc
	v_cmp_eq_u32_e32 vcc, 23, v0
	v_cndmask_b32_e32 v131, v131, v57, vcc
	v_cmp_eq_u32_e32 vcc, 24, v0
	v_cndmask_b32_e32 v131, v131, v58, vcc
	v_cmp_eq_u32_e32 vcc, 25, v0
	v_cndmask_b32_e32 v131, v131, v59, vcc
	v_cmp_eq_u32_e32 vcc, 26, v0
	v_cndmask_b32_e32 v131, v131, v60, vcc
	v_cmp_eq_u32_e32 vcc, 27, v0
	v_cndmask_b32_e32 v131, v131, v61, vcc
	v_cmp_eq_u32_e32 vcc, 28, v0
	ds_read_b32 v132, v130
	v_cndmask_b32_e32 v131, v131, v62, vcc
	v_cmp_eq_u32_e32 vcc, 29, v0
	v_cndmask_b32_e32 v131, v131, v63, vcc
	v_cmp_eq_u32_e32 vcc, 30, v0
	;; [unrolled: 2-line block ×3, first 2 shown]
	v_cndmask_b32_e32 v131, v131, v65, vcc
	s_waitcnt lgkmcnt(0)
	v_mul_f32_e32 v131, v131, v132
	s_cbranch_execz .LBB95_69
	s_branch .LBB95_70
.LBB95_68:
                                        ; implicit-def: $vgpr131
.LBB95_69:
	ds_read_b32 v131, v130
.LBB95_70:
	s_and_saveexec_b64 s[6:7], s[0:1]
	s_cbranch_execz .LBB95_80
; %bb.71:
	v_subrev_u32_e32 v134, 27, v0
	v_mov_b32_e32 v132, 26
	v_subrev_u32_e32 v133, 26, v0
	v_cmp_lt_u32_e32 vcc, 6, v134
	s_and_saveexec_b64 s[0:1], vcc
	s_cbranch_execz .LBB95_75
; %bb.72:
	v_and_b32_e32 v132, -8, v133
	v_sub_u32_e32 v134, 0, v132
	s_mov_b64 s[8:9], 33
	s_movk_i32 s12, 0xe8
	s_mov_b64 s[10:11], 0
.LBB95_73:                              ; =>This Inner Loop Header: Depth=1
	s_add_i32 s13, s8, -7
	v_mov_b32_e32 v132, s12
	s_add_i32 s14, s8, -6
	s_set_gpr_idx_on s13, gpr_idx(SRC0)
	v_mov_b32_e32 v143, v34
	s_set_gpr_idx_off
	ds_read2_b64 v[135:138], v132 offset1:1
	s_add_i32 s15, s8, -5
	s_set_gpr_idx_on s14, gpr_idx(SRC0)
	v_mov_b32_e32 v144, v34
	s_set_gpr_idx_off
	s_add_i32 s16, s8, -4
	s_set_gpr_idx_on s15, gpr_idx(SRC0)
	v_mov_b32_e32 v145, v34
	s_set_gpr_idx_off
	;; [unrolled: 4-line block ×4, first 2 shown]
	ds_read2_b64 v[139:142], v132 offset0:2 offset1:3
	s_add_i32 s19, s8, -1
	s_waitcnt lgkmcnt(1)
	v_fmac_f32_e32 v131, v143, v135
	s_set_gpr_idx_on s18, gpr_idx(SRC0)
	v_mov_b32_e32 v135, v34
	s_set_gpr_idx_off
	v_fmac_f32_e32 v131, v144, v136
	s_set_gpr_idx_on s19, gpr_idx(SRC0)
	v_mov_b32_e32 v136, v34
	s_set_gpr_idx_off
	;; [unrolled: 4-line block ×3, first 2 shown]
	v_fmac_f32_e32 v131, v146, v138
	s_add_u32 s8, s8, 8
	s_waitcnt lgkmcnt(0)
	v_fmac_f32_e32 v131, v147, v139
	v_add_u32_e32 v132, s8, v134
	v_fmac_f32_e32 v131, v135, v140
	s_addc_u32 s9, s9, 0
	s_add_i32 s12, s12, 32
	s_add_i32 s13, s8, -7
	v_cmp_eq_u32_e32 vcc, 33, v132
	v_fmac_f32_e32 v131, v136, v141
	v_mov_b32_e32 v132, s13
	s_or_b64 s[10:11], vcc, s[10:11]
	v_fmac_f32_e32 v131, v137, v142
	s_andn2_b64 exec, exec, s[10:11]
	s_cbranch_execnz .LBB95_73
; %bb.74:
	s_or_b64 exec, exec, s[10:11]
.LBB95_75:
	s_or_b64 exec, exec, s[0:1]
	v_and_b32_e32 v133, 7, v133
	v_cmp_ne_u32_e32 vcc, 0, v133
	s_and_saveexec_b64 s[8:9], vcc
	s_cbranch_execz .LBB95_79
; %bb.76:
	v_mov_b32_e32 v134, 0x80
	v_lshl_add_u32 v134, v132, 2, v134
	v_mov_b32_e32 v135, 0
	s_mov_b64 s[10:11], 0
.LBB95_77:                              ; =>This Inner Loop Header: Depth=1
	v_cmp_eq_u32_e32 vcc, 1, v132
	v_cndmask_b32_e32 v136, v34, v35, vcc
	v_add_u32_e32 v133, -1, v133
	v_cmp_eq_u32_e32 vcc, 2, v132
	v_cndmask_b32_e32 v136, v136, v36, vcc
	v_cmp_eq_u32_e32 vcc, 0, v133
	v_cmp_eq_u32_e64 s[0:1], 3, v132
	v_cndmask_b32_e64 v136, v136, v37, s[0:1]
	s_or_b64 s[10:11], vcc, s[10:11]
	v_cmp_eq_u32_e32 vcc, 4, v132
	v_cndmask_b32_e32 v136, v136, v38, vcc
	v_cmp_eq_u32_e32 vcc, 5, v132
	v_cndmask_b32_e32 v136, v136, v39, vcc
	;; [unrolled: 2-line block ×23, first 2 shown]
	v_cmp_eq_u32_e32 vcc, 27, v132
	ds_read_b32 v137, v134
	v_cndmask_b32_e32 v136, v136, v61, vcc
	v_cmp_eq_u32_e32 vcc, 28, v132
	v_cndmask_b32_e32 v136, v136, v62, vcc
	v_cmp_eq_u32_e32 vcc, 29, v132
	;; [unrolled: 2-line block ×4, first 2 shown]
	v_add_co_u32_e64 v132, s[0:1], 1, v132
	v_cndmask_b32_e32 v136, v136, v65, vcc
	v_add_u32_e32 v134, 4, v134
	v_addc_co_u32_e64 v135, s[0:1], 0, v135, s[0:1]
	s_waitcnt lgkmcnt(0)
	v_fmac_f32_e32 v131, v136, v137
	s_andn2_b64 exec, exec, s[10:11]
	s_cbranch_execnz .LBB95_77
; %bb.78:
	s_or_b64 exec, exec, s[10:11]
.LBB95_79:
	s_or_b64 exec, exec, s[8:9]
.LBB95_80:
	s_or_b64 exec, exec, s[6:7]
	v_mov_b32_e32 v59, 0
	ds_read_b32 v59, v59 offset:100
	s_waitcnt lgkmcnt(0)
	v_mul_f32_e32 v59, v131, v59
.LBB95_81:
	s_or_b64 exec, exec, s[4:5]
	v_cmp_lt_u32_e64 s[0:1], 24, v0
	ds_write_b32 v130, v58
	s_waitcnt lgkmcnt(0)
	; wave barrier
	s_and_saveexec_b64 s[4:5], s[0:1]
	s_cbranch_execz .LBB95_97
; %bb.82:
	s_andn2_b64 vcc, exec, s[66:67]
	s_cbranch_vccnz .LBB95_84
; %bb.83:
	v_cmp_eq_u32_e32 vcc, 1, v0
	v_cndmask_b32_e32 v131, v34, v35, vcc
	v_cmp_eq_u32_e32 vcc, 2, v0
	v_cndmask_b32_e32 v131, v131, v36, vcc
	v_cmp_eq_u32_e32 vcc, 3, v0
	v_cndmask_b32_e32 v131, v131, v37, vcc
	v_cmp_eq_u32_e32 vcc, 4, v0
	v_cndmask_b32_e32 v131, v131, v38, vcc
	v_cmp_eq_u32_e32 vcc, 5, v0
	v_cndmask_b32_e32 v131, v131, v39, vcc
	v_cmp_eq_u32_e32 vcc, 6, v0
	v_cndmask_b32_e32 v131, v131, v40, vcc
	v_cmp_eq_u32_e32 vcc, 7, v0
	v_cndmask_b32_e32 v131, v131, v41, vcc
	v_cmp_eq_u32_e32 vcc, 8, v0
	v_cndmask_b32_e32 v131, v131, v42, vcc
	v_cmp_eq_u32_e32 vcc, 9, v0
	v_cndmask_b32_e32 v131, v131, v43, vcc
	v_cmp_eq_u32_e32 vcc, 10, v0
	v_cndmask_b32_e32 v131, v131, v44, vcc
	v_cmp_eq_u32_e32 vcc, 11, v0
	v_cndmask_b32_e32 v131, v131, v45, vcc
	v_cmp_eq_u32_e32 vcc, 12, v0
	v_cndmask_b32_e32 v131, v131, v46, vcc
	v_cmp_eq_u32_e32 vcc, 13, v0
	v_cndmask_b32_e32 v131, v131, v47, vcc
	v_cmp_eq_u32_e32 vcc, 14, v0
	v_cndmask_b32_e32 v131, v131, v48, vcc
	v_cmp_eq_u32_e32 vcc, 15, v0
	v_cndmask_b32_e32 v131, v131, v49, vcc
	v_cmp_eq_u32_e32 vcc, 16, v0
	v_cndmask_b32_e32 v131, v131, v50, vcc
	v_cmp_eq_u32_e32 vcc, 17, v0
	v_cndmask_b32_e32 v131, v131, v51, vcc
	v_cmp_eq_u32_e32 vcc, 18, v0
	v_cndmask_b32_e32 v131, v131, v52, vcc
	v_cmp_eq_u32_e32 vcc, 19, v0
	v_cndmask_b32_e32 v131, v131, v53, vcc
	v_cmp_eq_u32_e32 vcc, 20, v0
	v_cndmask_b32_e32 v131, v131, v54, vcc
	v_cmp_eq_u32_e32 vcc, 21, v0
	v_cndmask_b32_e32 v131, v131, v55, vcc
	v_cmp_eq_u32_e32 vcc, 22, v0
	v_cndmask_b32_e32 v131, v131, v56, vcc
	v_cmp_eq_u32_e32 vcc, 23, v0
	v_cndmask_b32_e32 v131, v131, v57, vcc
	v_cmp_eq_u32_e32 vcc, 24, v0
	v_cndmask_b32_e32 v131, v131, v58, vcc
	v_cmp_eq_u32_e32 vcc, 25, v0
	v_cndmask_b32_e32 v131, v131, v59, vcc
	v_cmp_eq_u32_e32 vcc, 26, v0
	v_cndmask_b32_e32 v131, v131, v60, vcc
	v_cmp_eq_u32_e32 vcc, 27, v0
	v_cndmask_b32_e32 v131, v131, v61, vcc
	v_cmp_eq_u32_e32 vcc, 28, v0
	ds_read_b32 v132, v130
	v_cndmask_b32_e32 v131, v131, v62, vcc
	v_cmp_eq_u32_e32 vcc, 29, v0
	v_cndmask_b32_e32 v131, v131, v63, vcc
	v_cmp_eq_u32_e32 vcc, 30, v0
	;; [unrolled: 2-line block ×3, first 2 shown]
	v_cndmask_b32_e32 v131, v131, v65, vcc
	s_waitcnt lgkmcnt(0)
	v_mul_f32_e32 v131, v131, v132
	s_cbranch_execz .LBB95_85
	s_branch .LBB95_86
.LBB95_84:
                                        ; implicit-def: $vgpr131
.LBB95_85:
	ds_read_b32 v131, v130
.LBB95_86:
	s_and_saveexec_b64 s[6:7], s[2:3]
	s_cbranch_execz .LBB95_96
; %bb.87:
	v_subrev_u32_e32 v134, 26, v0
	v_mov_b32_e32 v132, 25
	v_subrev_u32_e32 v133, 25, v0
	v_cmp_lt_u32_e32 vcc, 6, v134
	s_and_saveexec_b64 s[2:3], vcc
	s_cbranch_execz .LBB95_91
; %bb.88:
	v_and_b32_e32 v132, -8, v133
	v_sub_u32_e32 v134, 0, v132
	s_mov_b64 s[8:9], 32
	s_movk_i32 s12, 0xe4
	s_mov_b64 s[10:11], 0
.LBB95_89:                              ; =>This Inner Loop Header: Depth=1
	s_add_i32 s13, s8, -7
	v_mov_b32_e32 v132, s12
	s_add_i32 s14, s8, -6
	s_set_gpr_idx_on s13, gpr_idx(SRC0)
	v_mov_b32_e32 v141, v34
	s_set_gpr_idx_off
	ds_read2_b32 v[135:136], v132 offset1:1
	s_add_i32 s15, s8, -5
	s_set_gpr_idx_on s14, gpr_idx(SRC0)
	v_mov_b32_e32 v142, v34
	s_set_gpr_idx_off
	s_add_i32 s16, s8, -4
	s_set_gpr_idx_on s15, gpr_idx(SRC0)
	v_mov_b32_e32 v143, v34
	s_set_gpr_idx_off
	ds_read2_b32 v[137:138], v132 offset0:2 offset1:3
	s_add_i32 s17, s8, -3
	s_set_gpr_idx_on s16, gpr_idx(SRC0)
	v_mov_b32_e32 v144, v34
	s_set_gpr_idx_off
	s_add_i32 s18, s8, -2
	s_set_gpr_idx_on s17, gpr_idx(SRC0)
	v_mov_b32_e32 v145, v34
	s_set_gpr_idx_off
	ds_read2_b32 v[139:140], v132 offset0:4 offset1:5
	s_add_i32 s19, s8, -1
	s_waitcnt lgkmcnt(2)
	v_fmac_f32_e32 v131, v141, v135
	s_set_gpr_idx_on s18, gpr_idx(SRC0)
	v_mov_b32_e32 v141, v34
	s_set_gpr_idx_off
	v_fmac_f32_e32 v131, v142, v136
	s_set_gpr_idx_on s19, gpr_idx(SRC0)
	v_mov_b32_e32 v142, v34
	s_set_gpr_idx_off
	ds_read2_b32 v[135:136], v132 offset0:6 offset1:7
	s_waitcnt lgkmcnt(2)
	v_fmac_f32_e32 v131, v143, v137
	s_set_gpr_idx_on s8, gpr_idx(SRC0)
	v_mov_b32_e32 v137, v34
	s_set_gpr_idx_off
	v_fmac_f32_e32 v131, v144, v138
	s_add_u32 s8, s8, 8
	s_waitcnt lgkmcnt(1)
	v_fmac_f32_e32 v131, v145, v139
	v_add_u32_e32 v132, s8, v134
	v_fmac_f32_e32 v131, v141, v140
	s_addc_u32 s9, s9, 0
	s_add_i32 s12, s12, 32
	s_add_i32 s13, s8, -7
	v_cmp_eq_u32_e32 vcc, 32, v132
	s_waitcnt lgkmcnt(0)
	v_fmac_f32_e32 v131, v142, v135
	v_mov_b32_e32 v132, s13
	s_or_b64 s[10:11], vcc, s[10:11]
	v_fmac_f32_e32 v131, v137, v136
	s_andn2_b64 exec, exec, s[10:11]
	s_cbranch_execnz .LBB95_89
; %bb.90:
	s_or_b64 exec, exec, s[10:11]
.LBB95_91:
	s_or_b64 exec, exec, s[2:3]
	v_and_b32_e32 v133, 7, v133
	v_cmp_ne_u32_e32 vcc, 0, v133
	s_and_saveexec_b64 s[8:9], vcc
	s_cbranch_execz .LBB95_95
; %bb.92:
	v_mov_b32_e32 v134, 0x80
	v_lshl_add_u32 v134, v132, 2, v134
	v_mov_b32_e32 v135, 0
	s_mov_b64 s[10:11], 0
.LBB95_93:                              ; =>This Inner Loop Header: Depth=1
	v_cmp_eq_u32_e32 vcc, 1, v132
	v_cndmask_b32_e32 v136, v34, v35, vcc
	v_add_u32_e32 v133, -1, v133
	v_cmp_eq_u32_e32 vcc, 2, v132
	v_cndmask_b32_e32 v136, v136, v36, vcc
	v_cmp_eq_u32_e32 vcc, 0, v133
	v_cmp_eq_u32_e64 s[2:3], 3, v132
	v_cndmask_b32_e64 v136, v136, v37, s[2:3]
	s_or_b64 s[10:11], vcc, s[10:11]
	v_cmp_eq_u32_e32 vcc, 4, v132
	v_cndmask_b32_e32 v136, v136, v38, vcc
	v_cmp_eq_u32_e32 vcc, 5, v132
	v_cndmask_b32_e32 v136, v136, v39, vcc
	;; [unrolled: 2-line block ×23, first 2 shown]
	v_cmp_eq_u32_e32 vcc, 27, v132
	ds_read_b32 v137, v134
	v_cndmask_b32_e32 v136, v136, v61, vcc
	v_cmp_eq_u32_e32 vcc, 28, v132
	v_cndmask_b32_e32 v136, v136, v62, vcc
	v_cmp_eq_u32_e32 vcc, 29, v132
	v_cndmask_b32_e32 v136, v136, v63, vcc
	v_cmp_eq_u32_e32 vcc, 30, v132
	v_cndmask_b32_e32 v136, v136, v64, vcc
	v_cmp_eq_u32_e32 vcc, 31, v132
	v_add_co_u32_e64 v132, s[2:3], 1, v132
	v_cndmask_b32_e32 v136, v136, v65, vcc
	v_add_u32_e32 v134, 4, v134
	v_addc_co_u32_e64 v135, s[2:3], 0, v135, s[2:3]
	s_waitcnt lgkmcnt(0)
	v_fmac_f32_e32 v131, v136, v137
	s_andn2_b64 exec, exec, s[10:11]
	s_cbranch_execnz .LBB95_93
; %bb.94:
	s_or_b64 exec, exec, s[10:11]
.LBB95_95:
	s_or_b64 exec, exec, s[8:9]
.LBB95_96:
	s_or_b64 exec, exec, s[6:7]
	v_mov_b32_e32 v58, 0
	ds_read_b32 v58, v58 offset:96
	s_waitcnt lgkmcnt(0)
	v_mul_f32_e32 v58, v131, v58
.LBB95_97:
	s_or_b64 exec, exec, s[4:5]
	v_cmp_lt_u32_e64 s[2:3], 23, v0
	ds_write_b32 v130, v57
	s_waitcnt lgkmcnt(0)
	; wave barrier
	s_and_saveexec_b64 s[4:5], s[2:3]
	s_cbranch_execz .LBB95_113
; %bb.98:
	s_andn2_b64 vcc, exec, s[66:67]
	s_cbranch_vccnz .LBB95_100
; %bb.99:
	v_cmp_eq_u32_e32 vcc, 1, v0
	v_cndmask_b32_e32 v131, v34, v35, vcc
	v_cmp_eq_u32_e32 vcc, 2, v0
	v_cndmask_b32_e32 v131, v131, v36, vcc
	;; [unrolled: 2-line block ×27, first 2 shown]
	v_cmp_eq_u32_e32 vcc, 28, v0
	ds_read_b32 v132, v130
	v_cndmask_b32_e32 v131, v131, v62, vcc
	v_cmp_eq_u32_e32 vcc, 29, v0
	v_cndmask_b32_e32 v131, v131, v63, vcc
	v_cmp_eq_u32_e32 vcc, 30, v0
	;; [unrolled: 2-line block ×3, first 2 shown]
	v_cndmask_b32_e32 v131, v131, v65, vcc
	s_waitcnt lgkmcnt(0)
	v_mul_f32_e32 v131, v131, v132
	s_cbranch_execz .LBB95_101
	s_branch .LBB95_102
.LBB95_100:
                                        ; implicit-def: $vgpr131
.LBB95_101:
	ds_read_b32 v131, v130
.LBB95_102:
	s_and_saveexec_b64 s[6:7], s[0:1]
	s_cbranch_execz .LBB95_112
; %bb.103:
	v_subrev_u32_e32 v132, 25, v0
	v_cmp_lt_u32_e32 vcc, 6, v132
	v_mov_b32_e32 v132, 24
	s_and_saveexec_b64 s[0:1], vcc
	s_cbranch_execz .LBB95_107
; %bb.104:
	v_and_b32_e32 v132, 24, v0
	v_sub_u32_e32 v133, 0, v132
	s_mov_b64 s[8:9], 31
	s_movk_i32 s12, 0xe0
	s_mov_b64 s[10:11], 0
.LBB95_105:                             ; =>This Inner Loop Header: Depth=1
	s_add_i32 s13, s8, -7
	v_mov_b32_e32 v132, s12
	s_add_i32 s14, s8, -6
	s_set_gpr_idx_on s13, gpr_idx(SRC0)
	v_mov_b32_e32 v142, v34
	s_set_gpr_idx_off
	s_add_i32 s15, s8, -5
	ds_read_b128 v[134:137], v132
	ds_read_b128 v[138:141], v132 offset:16
	s_set_gpr_idx_on s14, gpr_idx(SRC0)
	v_mov_b32_e32 v132, v34
	s_set_gpr_idx_off
	s_add_i32 s16, s8, -4
	s_set_gpr_idx_on s15, gpr_idx(SRC0)
	v_mov_b32_e32 v143, v34
	s_set_gpr_idx_off
	s_add_i32 s17, s8, -3
	;; [unrolled: 4-line block ×4, first 2 shown]
	s_waitcnt lgkmcnt(1)
	v_fmac_f32_e32 v131, v142, v134
	s_set_gpr_idx_on s18, gpr_idx(SRC0)
	v_mov_b32_e32 v134, v34
	s_set_gpr_idx_off
	v_fmac_f32_e32 v131, v132, v135
	s_set_gpr_idx_on s19, gpr_idx(SRC0)
	v_mov_b32_e32 v135, v34
	s_set_gpr_idx_off
	v_fmac_f32_e32 v131, v143, v136
	s_set_gpr_idx_on s8, gpr_idx(SRC0)
	v_mov_b32_e32 v136, v34
	s_set_gpr_idx_off
	v_fmac_f32_e32 v131, v144, v137
	s_add_u32 s8, s8, 8
	s_waitcnt lgkmcnt(0)
	v_fmac_f32_e32 v131, v145, v138
	v_add_u32_e32 v132, s8, v133
	v_fmac_f32_e32 v131, v134, v139
	s_addc_u32 s9, s9, 0
	s_add_i32 s12, s12, 32
	s_add_i32 s13, s8, -7
	v_cmp_eq_u32_e32 vcc, 7, v132
	v_fmac_f32_e32 v131, v135, v140
	v_mov_b32_e32 v132, s13
	s_or_b64 s[10:11], vcc, s[10:11]
	v_fmac_f32_e32 v131, v136, v141
	s_andn2_b64 exec, exec, s[10:11]
	s_cbranch_execnz .LBB95_105
; %bb.106:
	s_or_b64 exec, exec, s[10:11]
.LBB95_107:
	s_or_b64 exec, exec, s[0:1]
	v_and_b32_e32 v133, 7, v0
	v_cmp_ne_u32_e32 vcc, 0, v133
	s_and_saveexec_b64 s[8:9], vcc
	s_cbranch_execz .LBB95_111
; %bb.108:
	v_mov_b32_e32 v134, 0x80
	v_lshl_add_u32 v134, v132, 2, v134
	v_mov_b32_e32 v135, 0
	s_mov_b64 s[10:11], 0
.LBB95_109:                             ; =>This Inner Loop Header: Depth=1
	v_cmp_eq_u32_e32 vcc, 1, v132
	v_cndmask_b32_e32 v136, v34, v35, vcc
	v_add_u32_e32 v133, -1, v133
	v_cmp_eq_u32_e32 vcc, 2, v132
	v_cndmask_b32_e32 v136, v136, v36, vcc
	v_cmp_eq_u32_e32 vcc, 0, v133
	v_cmp_eq_u32_e64 s[0:1], 3, v132
	v_cndmask_b32_e64 v136, v136, v37, s[0:1]
	s_or_b64 s[10:11], vcc, s[10:11]
	v_cmp_eq_u32_e32 vcc, 4, v132
	v_cndmask_b32_e32 v136, v136, v38, vcc
	v_cmp_eq_u32_e32 vcc, 5, v132
	v_cndmask_b32_e32 v136, v136, v39, vcc
	;; [unrolled: 2-line block ×23, first 2 shown]
	v_cmp_eq_u32_e32 vcc, 27, v132
	ds_read_b32 v137, v134
	v_cndmask_b32_e32 v136, v136, v61, vcc
	v_cmp_eq_u32_e32 vcc, 28, v132
	v_cndmask_b32_e32 v136, v136, v62, vcc
	v_cmp_eq_u32_e32 vcc, 29, v132
	v_cndmask_b32_e32 v136, v136, v63, vcc
	v_cmp_eq_u32_e32 vcc, 30, v132
	v_cndmask_b32_e32 v136, v136, v64, vcc
	v_cmp_eq_u32_e32 vcc, 31, v132
	v_add_co_u32_e64 v132, s[0:1], 1, v132
	v_cndmask_b32_e32 v136, v136, v65, vcc
	v_add_u32_e32 v134, 4, v134
	v_addc_co_u32_e64 v135, s[0:1], 0, v135, s[0:1]
	s_waitcnt lgkmcnt(0)
	v_fmac_f32_e32 v131, v136, v137
	s_andn2_b64 exec, exec, s[10:11]
	s_cbranch_execnz .LBB95_109
; %bb.110:
	s_or_b64 exec, exec, s[10:11]
.LBB95_111:
	s_or_b64 exec, exec, s[8:9]
.LBB95_112:
	s_or_b64 exec, exec, s[6:7]
	v_mov_b32_e32 v57, 0
	ds_read_b32 v57, v57 offset:92
	s_waitcnt lgkmcnt(0)
	v_mul_f32_e32 v57, v131, v57
.LBB95_113:
	s_or_b64 exec, exec, s[4:5]
	v_cmp_lt_u32_e64 s[0:1], 22, v0
	ds_write_b32 v130, v56
	s_waitcnt lgkmcnt(0)
	; wave barrier
	s_and_saveexec_b64 s[4:5], s[0:1]
	s_cbranch_execz .LBB95_129
; %bb.114:
	s_andn2_b64 vcc, exec, s[66:67]
	s_cbranch_vccnz .LBB95_116
; %bb.115:
	v_cmp_eq_u32_e32 vcc, 1, v0
	v_cndmask_b32_e32 v131, v34, v35, vcc
	v_cmp_eq_u32_e32 vcc, 2, v0
	v_cndmask_b32_e32 v131, v131, v36, vcc
	;; [unrolled: 2-line block ×27, first 2 shown]
	v_cmp_eq_u32_e32 vcc, 28, v0
	ds_read_b32 v132, v130
	v_cndmask_b32_e32 v131, v131, v62, vcc
	v_cmp_eq_u32_e32 vcc, 29, v0
	v_cndmask_b32_e32 v131, v131, v63, vcc
	v_cmp_eq_u32_e32 vcc, 30, v0
	v_cndmask_b32_e32 v131, v131, v64, vcc
	v_cmp_eq_u32_e32 vcc, 31, v0
	v_cndmask_b32_e32 v131, v131, v65, vcc
	s_waitcnt lgkmcnt(0)
	v_mul_f32_e32 v131, v131, v132
	s_cbranch_execz .LBB95_117
	s_branch .LBB95_118
.LBB95_116:
                                        ; implicit-def: $vgpr131
.LBB95_117:
	ds_read_b32 v131, v130
.LBB95_118:
	s_and_saveexec_b64 s[6:7], s[2:3]
	s_cbranch_execz .LBB95_128
; %bb.119:
	v_subrev_u32_e32 v134, 24, v0
	v_mov_b32_e32 v132, 23
	v_subrev_u32_e32 v133, 23, v0
	v_cmp_lt_u32_e32 vcc, 6, v134
	s_and_saveexec_b64 s[2:3], vcc
	s_cbranch_execz .LBB95_123
; %bb.120:
	v_and_b32_e32 v132, -8, v133
	v_sub_u32_e32 v134, 0, v132
	s_mov_b64 s[8:9], 30
	s_movk_i32 s12, 0xdc
	s_mov_b64 s[10:11], 0
.LBB95_121:                             ; =>This Inner Loop Header: Depth=1
	s_add_i32 s13, s8, -7
	v_mov_b32_e32 v132, s12
	s_add_i32 s14, s8, -6
	s_set_gpr_idx_on s13, gpr_idx(SRC0)
	v_mov_b32_e32 v141, v34
	s_set_gpr_idx_off
	ds_read2_b32 v[135:136], v132 offset1:1
	s_add_i32 s15, s8, -5
	s_set_gpr_idx_on s14, gpr_idx(SRC0)
	v_mov_b32_e32 v142, v34
	s_set_gpr_idx_off
	s_add_i32 s16, s8, -4
	s_set_gpr_idx_on s15, gpr_idx(SRC0)
	v_mov_b32_e32 v143, v34
	s_set_gpr_idx_off
	ds_read2_b32 v[137:138], v132 offset0:2 offset1:3
	s_add_i32 s17, s8, -3
	s_set_gpr_idx_on s16, gpr_idx(SRC0)
	v_mov_b32_e32 v144, v34
	s_set_gpr_idx_off
	s_add_i32 s18, s8, -2
	s_set_gpr_idx_on s17, gpr_idx(SRC0)
	v_mov_b32_e32 v145, v34
	s_set_gpr_idx_off
	ds_read2_b32 v[139:140], v132 offset0:4 offset1:5
	s_add_i32 s19, s8, -1
	s_waitcnt lgkmcnt(2)
	v_fmac_f32_e32 v131, v141, v135
	s_set_gpr_idx_on s18, gpr_idx(SRC0)
	v_mov_b32_e32 v141, v34
	s_set_gpr_idx_off
	v_fmac_f32_e32 v131, v142, v136
	s_set_gpr_idx_on s19, gpr_idx(SRC0)
	v_mov_b32_e32 v142, v34
	s_set_gpr_idx_off
	ds_read2_b32 v[135:136], v132 offset0:6 offset1:7
	s_waitcnt lgkmcnt(2)
	v_fmac_f32_e32 v131, v143, v137
	s_set_gpr_idx_on s8, gpr_idx(SRC0)
	v_mov_b32_e32 v137, v34
	s_set_gpr_idx_off
	v_fmac_f32_e32 v131, v144, v138
	s_add_u32 s8, s8, 8
	s_waitcnt lgkmcnt(1)
	v_fmac_f32_e32 v131, v145, v139
	v_add_u32_e32 v132, s8, v134
	v_fmac_f32_e32 v131, v141, v140
	s_addc_u32 s9, s9, 0
	s_add_i32 s12, s12, 32
	s_add_i32 s13, s8, -7
	v_cmp_eq_u32_e32 vcc, 30, v132
	s_waitcnt lgkmcnt(0)
	v_fmac_f32_e32 v131, v142, v135
	v_mov_b32_e32 v132, s13
	s_or_b64 s[10:11], vcc, s[10:11]
	v_fmac_f32_e32 v131, v137, v136
	s_andn2_b64 exec, exec, s[10:11]
	s_cbranch_execnz .LBB95_121
; %bb.122:
	s_or_b64 exec, exec, s[10:11]
.LBB95_123:
	s_or_b64 exec, exec, s[2:3]
	v_and_b32_e32 v133, 7, v133
	v_cmp_ne_u32_e32 vcc, 0, v133
	s_and_saveexec_b64 s[8:9], vcc
	s_cbranch_execz .LBB95_127
; %bb.124:
	v_mov_b32_e32 v134, 0x80
	v_lshl_add_u32 v134, v132, 2, v134
	v_mov_b32_e32 v135, 0
	s_mov_b64 s[10:11], 0
.LBB95_125:                             ; =>This Inner Loop Header: Depth=1
	v_cmp_eq_u32_e32 vcc, 1, v132
	v_cndmask_b32_e32 v136, v34, v35, vcc
	v_add_u32_e32 v133, -1, v133
	v_cmp_eq_u32_e32 vcc, 2, v132
	v_cndmask_b32_e32 v136, v136, v36, vcc
	v_cmp_eq_u32_e32 vcc, 0, v133
	v_cmp_eq_u32_e64 s[2:3], 3, v132
	v_cndmask_b32_e64 v136, v136, v37, s[2:3]
	s_or_b64 s[10:11], vcc, s[10:11]
	v_cmp_eq_u32_e32 vcc, 4, v132
	v_cndmask_b32_e32 v136, v136, v38, vcc
	v_cmp_eq_u32_e32 vcc, 5, v132
	v_cndmask_b32_e32 v136, v136, v39, vcc
	v_cmp_eq_u32_e32 vcc, 6, v132
	v_cndmask_b32_e32 v136, v136, v40, vcc
	v_cmp_eq_u32_e32 vcc, 7, v132
	v_cndmask_b32_e32 v136, v136, v41, vcc
	v_cmp_eq_u32_e32 vcc, 8, v132
	v_cndmask_b32_e32 v136, v136, v42, vcc
	v_cmp_eq_u32_e32 vcc, 9, v132
	v_cndmask_b32_e32 v136, v136, v43, vcc
	v_cmp_eq_u32_e32 vcc, 10, v132
	v_cndmask_b32_e32 v136, v136, v44, vcc
	v_cmp_eq_u32_e32 vcc, 11, v132
	v_cndmask_b32_e32 v136, v136, v45, vcc
	v_cmp_eq_u32_e32 vcc, 12, v132
	v_cndmask_b32_e32 v136, v136, v46, vcc
	v_cmp_eq_u32_e32 vcc, 13, v132
	v_cndmask_b32_e32 v136, v136, v47, vcc
	v_cmp_eq_u32_e32 vcc, 14, v132
	v_cndmask_b32_e32 v136, v136, v48, vcc
	v_cmp_eq_u32_e32 vcc, 15, v132
	v_cndmask_b32_e32 v136, v136, v49, vcc
	v_cmp_eq_u32_e32 vcc, 16, v132
	v_cndmask_b32_e32 v136, v136, v50, vcc
	v_cmp_eq_u32_e32 vcc, 17, v132
	v_cndmask_b32_e32 v136, v136, v51, vcc
	v_cmp_eq_u32_e32 vcc, 18, v132
	v_cndmask_b32_e32 v136, v136, v52, vcc
	v_cmp_eq_u32_e32 vcc, 19, v132
	v_cndmask_b32_e32 v136, v136, v53, vcc
	v_cmp_eq_u32_e32 vcc, 20, v132
	v_cndmask_b32_e32 v136, v136, v54, vcc
	v_cmp_eq_u32_e32 vcc, 21, v132
	v_cndmask_b32_e32 v136, v136, v55, vcc
	v_cmp_eq_u32_e32 vcc, 22, v132
	v_cndmask_b32_e32 v136, v136, v56, vcc
	v_cmp_eq_u32_e32 vcc, 23, v132
	v_cndmask_b32_e32 v136, v136, v57, vcc
	v_cmp_eq_u32_e32 vcc, 24, v132
	v_cndmask_b32_e32 v136, v136, v58, vcc
	v_cmp_eq_u32_e32 vcc, 25, v132
	v_cndmask_b32_e32 v136, v136, v59, vcc
	v_cmp_eq_u32_e32 vcc, 26, v132
	v_cndmask_b32_e32 v136, v136, v60, vcc
	v_cmp_eq_u32_e32 vcc, 27, v132
	ds_read_b32 v137, v134
	v_cndmask_b32_e32 v136, v136, v61, vcc
	v_cmp_eq_u32_e32 vcc, 28, v132
	v_cndmask_b32_e32 v136, v136, v62, vcc
	v_cmp_eq_u32_e32 vcc, 29, v132
	;; [unrolled: 2-line block ×4, first 2 shown]
	v_add_co_u32_e64 v132, s[2:3], 1, v132
	v_cndmask_b32_e32 v136, v136, v65, vcc
	v_add_u32_e32 v134, 4, v134
	v_addc_co_u32_e64 v135, s[2:3], 0, v135, s[2:3]
	s_waitcnt lgkmcnt(0)
	v_fmac_f32_e32 v131, v136, v137
	s_andn2_b64 exec, exec, s[10:11]
	s_cbranch_execnz .LBB95_125
; %bb.126:
	s_or_b64 exec, exec, s[10:11]
.LBB95_127:
	s_or_b64 exec, exec, s[8:9]
.LBB95_128:
	s_or_b64 exec, exec, s[6:7]
	v_mov_b32_e32 v56, 0
	ds_read_b32 v56, v56 offset:88
	s_waitcnt lgkmcnt(0)
	v_mul_f32_e32 v56, v131, v56
.LBB95_129:
	s_or_b64 exec, exec, s[4:5]
	v_cmp_lt_u32_e64 s[2:3], 21, v0
	ds_write_b32 v130, v55
	s_waitcnt lgkmcnt(0)
	; wave barrier
	s_and_saveexec_b64 s[4:5], s[2:3]
	s_cbranch_execz .LBB95_145
; %bb.130:
	s_andn2_b64 vcc, exec, s[66:67]
	s_cbranch_vccnz .LBB95_132
; %bb.131:
	v_cmp_eq_u32_e32 vcc, 1, v0
	v_cndmask_b32_e32 v131, v34, v35, vcc
	v_cmp_eq_u32_e32 vcc, 2, v0
	v_cndmask_b32_e32 v131, v131, v36, vcc
	;; [unrolled: 2-line block ×27, first 2 shown]
	v_cmp_eq_u32_e32 vcc, 28, v0
	ds_read_b32 v132, v130
	v_cndmask_b32_e32 v131, v131, v62, vcc
	v_cmp_eq_u32_e32 vcc, 29, v0
	v_cndmask_b32_e32 v131, v131, v63, vcc
	v_cmp_eq_u32_e32 vcc, 30, v0
	;; [unrolled: 2-line block ×3, first 2 shown]
	v_cndmask_b32_e32 v131, v131, v65, vcc
	s_waitcnt lgkmcnt(0)
	v_mul_f32_e32 v131, v131, v132
	s_cbranch_execz .LBB95_133
	s_branch .LBB95_134
.LBB95_132:
                                        ; implicit-def: $vgpr131
.LBB95_133:
	ds_read_b32 v131, v130
.LBB95_134:
	s_and_saveexec_b64 s[6:7], s[0:1]
	s_cbranch_execz .LBB95_144
; %bb.135:
	v_subrev_u32_e32 v134, 23, v0
	v_mov_b32_e32 v132, 22
	v_subrev_u32_e32 v133, 22, v0
	v_cmp_lt_u32_e32 vcc, 6, v134
	s_and_saveexec_b64 s[0:1], vcc
	s_cbranch_execz .LBB95_139
; %bb.136:
	v_and_b32_e32 v132, -8, v133
	v_sub_u32_e32 v134, 0, v132
	s_mov_b64 s[8:9], 29
	s_movk_i32 s12, 0xd8
	s_mov_b64 s[10:11], 0
.LBB95_137:                             ; =>This Inner Loop Header: Depth=1
	s_add_i32 s13, s8, -7
	v_mov_b32_e32 v132, s12
	s_add_i32 s14, s8, -6
	s_set_gpr_idx_on s13, gpr_idx(SRC0)
	v_mov_b32_e32 v143, v34
	s_set_gpr_idx_off
	ds_read2_b64 v[135:138], v132 offset1:1
	s_add_i32 s15, s8, -5
	s_set_gpr_idx_on s14, gpr_idx(SRC0)
	v_mov_b32_e32 v144, v34
	s_set_gpr_idx_off
	s_add_i32 s16, s8, -4
	s_set_gpr_idx_on s15, gpr_idx(SRC0)
	v_mov_b32_e32 v145, v34
	s_set_gpr_idx_off
	;; [unrolled: 4-line block ×4, first 2 shown]
	ds_read2_b64 v[139:142], v132 offset0:2 offset1:3
	s_add_i32 s19, s8, -1
	s_waitcnt lgkmcnt(1)
	v_fmac_f32_e32 v131, v143, v135
	s_set_gpr_idx_on s18, gpr_idx(SRC0)
	v_mov_b32_e32 v135, v34
	s_set_gpr_idx_off
	v_fmac_f32_e32 v131, v144, v136
	s_set_gpr_idx_on s19, gpr_idx(SRC0)
	v_mov_b32_e32 v136, v34
	s_set_gpr_idx_off
	;; [unrolled: 4-line block ×3, first 2 shown]
	v_fmac_f32_e32 v131, v146, v138
	s_add_u32 s8, s8, 8
	s_waitcnt lgkmcnt(0)
	v_fmac_f32_e32 v131, v147, v139
	v_add_u32_e32 v132, s8, v134
	v_fmac_f32_e32 v131, v135, v140
	s_addc_u32 s9, s9, 0
	s_add_i32 s12, s12, 32
	s_add_i32 s13, s8, -7
	v_cmp_eq_u32_e32 vcc, 29, v132
	v_fmac_f32_e32 v131, v136, v141
	v_mov_b32_e32 v132, s13
	s_or_b64 s[10:11], vcc, s[10:11]
	v_fmac_f32_e32 v131, v137, v142
	s_andn2_b64 exec, exec, s[10:11]
	s_cbranch_execnz .LBB95_137
; %bb.138:
	s_or_b64 exec, exec, s[10:11]
.LBB95_139:
	s_or_b64 exec, exec, s[0:1]
	v_and_b32_e32 v133, 7, v133
	v_cmp_ne_u32_e32 vcc, 0, v133
	s_and_saveexec_b64 s[8:9], vcc
	s_cbranch_execz .LBB95_143
; %bb.140:
	v_mov_b32_e32 v134, 0x80
	v_lshl_add_u32 v134, v132, 2, v134
	v_mov_b32_e32 v135, 0
	s_mov_b64 s[10:11], 0
.LBB95_141:                             ; =>This Inner Loop Header: Depth=1
	v_cmp_eq_u32_e32 vcc, 1, v132
	v_cndmask_b32_e32 v136, v34, v35, vcc
	v_add_u32_e32 v133, -1, v133
	v_cmp_eq_u32_e32 vcc, 2, v132
	v_cndmask_b32_e32 v136, v136, v36, vcc
	v_cmp_eq_u32_e32 vcc, 0, v133
	v_cmp_eq_u32_e64 s[0:1], 3, v132
	v_cndmask_b32_e64 v136, v136, v37, s[0:1]
	s_or_b64 s[10:11], vcc, s[10:11]
	v_cmp_eq_u32_e32 vcc, 4, v132
	v_cndmask_b32_e32 v136, v136, v38, vcc
	v_cmp_eq_u32_e32 vcc, 5, v132
	v_cndmask_b32_e32 v136, v136, v39, vcc
	;; [unrolled: 2-line block ×23, first 2 shown]
	v_cmp_eq_u32_e32 vcc, 27, v132
	ds_read_b32 v137, v134
	v_cndmask_b32_e32 v136, v136, v61, vcc
	v_cmp_eq_u32_e32 vcc, 28, v132
	v_cndmask_b32_e32 v136, v136, v62, vcc
	v_cmp_eq_u32_e32 vcc, 29, v132
	;; [unrolled: 2-line block ×4, first 2 shown]
	v_add_co_u32_e64 v132, s[0:1], 1, v132
	v_cndmask_b32_e32 v136, v136, v65, vcc
	v_add_u32_e32 v134, 4, v134
	v_addc_co_u32_e64 v135, s[0:1], 0, v135, s[0:1]
	s_waitcnt lgkmcnt(0)
	v_fmac_f32_e32 v131, v136, v137
	s_andn2_b64 exec, exec, s[10:11]
	s_cbranch_execnz .LBB95_141
; %bb.142:
	s_or_b64 exec, exec, s[10:11]
.LBB95_143:
	s_or_b64 exec, exec, s[8:9]
.LBB95_144:
	s_or_b64 exec, exec, s[6:7]
	v_mov_b32_e32 v55, 0
	ds_read_b32 v55, v55 offset:84
	s_waitcnt lgkmcnt(0)
	v_mul_f32_e32 v55, v131, v55
.LBB95_145:
	s_or_b64 exec, exec, s[4:5]
	v_cmp_lt_u32_e64 s[0:1], 20, v0
	ds_write_b32 v130, v54
	s_waitcnt lgkmcnt(0)
	; wave barrier
	s_and_saveexec_b64 s[4:5], s[0:1]
	s_cbranch_execz .LBB95_161
; %bb.146:
	s_andn2_b64 vcc, exec, s[66:67]
	s_cbranch_vccnz .LBB95_148
; %bb.147:
	v_cmp_eq_u32_e32 vcc, 1, v0
	v_cndmask_b32_e32 v131, v34, v35, vcc
	v_cmp_eq_u32_e32 vcc, 2, v0
	v_cndmask_b32_e32 v131, v131, v36, vcc
	;; [unrolled: 2-line block ×27, first 2 shown]
	v_cmp_eq_u32_e32 vcc, 28, v0
	ds_read_b32 v132, v130
	v_cndmask_b32_e32 v131, v131, v62, vcc
	v_cmp_eq_u32_e32 vcc, 29, v0
	v_cndmask_b32_e32 v131, v131, v63, vcc
	v_cmp_eq_u32_e32 vcc, 30, v0
	;; [unrolled: 2-line block ×3, first 2 shown]
	v_cndmask_b32_e32 v131, v131, v65, vcc
	s_waitcnt lgkmcnt(0)
	v_mul_f32_e32 v131, v131, v132
	s_cbranch_execz .LBB95_149
	s_branch .LBB95_150
.LBB95_148:
                                        ; implicit-def: $vgpr131
.LBB95_149:
	ds_read_b32 v131, v130
.LBB95_150:
	s_and_saveexec_b64 s[6:7], s[2:3]
	s_cbranch_execz .LBB95_160
; %bb.151:
	v_subrev_u32_e32 v134, 22, v0
	v_mov_b32_e32 v132, 21
	v_subrev_u32_e32 v133, 21, v0
	v_cmp_lt_u32_e32 vcc, 6, v134
	s_and_saveexec_b64 s[2:3], vcc
	s_cbranch_execz .LBB95_155
; %bb.152:
	v_and_b32_e32 v132, -8, v133
	v_sub_u32_e32 v134, 0, v132
	s_mov_b64 s[8:9], 28
	s_movk_i32 s12, 0xd4
	s_mov_b64 s[10:11], 0
.LBB95_153:                             ; =>This Inner Loop Header: Depth=1
	s_add_i32 s13, s8, -7
	v_mov_b32_e32 v132, s12
	s_add_i32 s14, s8, -6
	s_set_gpr_idx_on s13, gpr_idx(SRC0)
	v_mov_b32_e32 v141, v34
	s_set_gpr_idx_off
	ds_read2_b32 v[135:136], v132 offset1:1
	s_add_i32 s15, s8, -5
	s_set_gpr_idx_on s14, gpr_idx(SRC0)
	v_mov_b32_e32 v142, v34
	s_set_gpr_idx_off
	s_add_i32 s16, s8, -4
	s_set_gpr_idx_on s15, gpr_idx(SRC0)
	v_mov_b32_e32 v143, v34
	s_set_gpr_idx_off
	ds_read2_b32 v[137:138], v132 offset0:2 offset1:3
	s_add_i32 s17, s8, -3
	s_set_gpr_idx_on s16, gpr_idx(SRC0)
	v_mov_b32_e32 v144, v34
	s_set_gpr_idx_off
	s_add_i32 s18, s8, -2
	s_set_gpr_idx_on s17, gpr_idx(SRC0)
	v_mov_b32_e32 v145, v34
	s_set_gpr_idx_off
	ds_read2_b32 v[139:140], v132 offset0:4 offset1:5
	s_add_i32 s19, s8, -1
	s_waitcnt lgkmcnt(2)
	v_fmac_f32_e32 v131, v141, v135
	s_set_gpr_idx_on s18, gpr_idx(SRC0)
	v_mov_b32_e32 v141, v34
	s_set_gpr_idx_off
	v_fmac_f32_e32 v131, v142, v136
	s_set_gpr_idx_on s19, gpr_idx(SRC0)
	v_mov_b32_e32 v142, v34
	s_set_gpr_idx_off
	ds_read2_b32 v[135:136], v132 offset0:6 offset1:7
	s_waitcnt lgkmcnt(2)
	v_fmac_f32_e32 v131, v143, v137
	s_set_gpr_idx_on s8, gpr_idx(SRC0)
	v_mov_b32_e32 v137, v34
	s_set_gpr_idx_off
	v_fmac_f32_e32 v131, v144, v138
	s_add_u32 s8, s8, 8
	s_waitcnt lgkmcnt(1)
	v_fmac_f32_e32 v131, v145, v139
	v_add_u32_e32 v132, s8, v134
	v_fmac_f32_e32 v131, v141, v140
	s_addc_u32 s9, s9, 0
	s_add_i32 s12, s12, 32
	s_add_i32 s13, s8, -7
	v_cmp_eq_u32_e32 vcc, 28, v132
	s_waitcnt lgkmcnt(0)
	v_fmac_f32_e32 v131, v142, v135
	v_mov_b32_e32 v132, s13
	s_or_b64 s[10:11], vcc, s[10:11]
	v_fmac_f32_e32 v131, v137, v136
	s_andn2_b64 exec, exec, s[10:11]
	s_cbranch_execnz .LBB95_153
; %bb.154:
	s_or_b64 exec, exec, s[10:11]
.LBB95_155:
	s_or_b64 exec, exec, s[2:3]
	v_and_b32_e32 v133, 7, v133
	v_cmp_ne_u32_e32 vcc, 0, v133
	s_and_saveexec_b64 s[8:9], vcc
	s_cbranch_execz .LBB95_159
; %bb.156:
	v_mov_b32_e32 v134, 0x80
	v_lshl_add_u32 v134, v132, 2, v134
	v_mov_b32_e32 v135, 0
	s_mov_b64 s[10:11], 0
.LBB95_157:                             ; =>This Inner Loop Header: Depth=1
	v_cmp_eq_u32_e32 vcc, 1, v132
	v_cndmask_b32_e32 v136, v34, v35, vcc
	v_add_u32_e32 v133, -1, v133
	v_cmp_eq_u32_e32 vcc, 2, v132
	v_cndmask_b32_e32 v136, v136, v36, vcc
	v_cmp_eq_u32_e32 vcc, 0, v133
	v_cmp_eq_u32_e64 s[2:3], 3, v132
	v_cndmask_b32_e64 v136, v136, v37, s[2:3]
	s_or_b64 s[10:11], vcc, s[10:11]
	v_cmp_eq_u32_e32 vcc, 4, v132
	v_cndmask_b32_e32 v136, v136, v38, vcc
	v_cmp_eq_u32_e32 vcc, 5, v132
	v_cndmask_b32_e32 v136, v136, v39, vcc
	v_cmp_eq_u32_e32 vcc, 6, v132
	v_cndmask_b32_e32 v136, v136, v40, vcc
	v_cmp_eq_u32_e32 vcc, 7, v132
	v_cndmask_b32_e32 v136, v136, v41, vcc
	v_cmp_eq_u32_e32 vcc, 8, v132
	v_cndmask_b32_e32 v136, v136, v42, vcc
	v_cmp_eq_u32_e32 vcc, 9, v132
	v_cndmask_b32_e32 v136, v136, v43, vcc
	v_cmp_eq_u32_e32 vcc, 10, v132
	v_cndmask_b32_e32 v136, v136, v44, vcc
	v_cmp_eq_u32_e32 vcc, 11, v132
	v_cndmask_b32_e32 v136, v136, v45, vcc
	v_cmp_eq_u32_e32 vcc, 12, v132
	v_cndmask_b32_e32 v136, v136, v46, vcc
	v_cmp_eq_u32_e32 vcc, 13, v132
	v_cndmask_b32_e32 v136, v136, v47, vcc
	v_cmp_eq_u32_e32 vcc, 14, v132
	v_cndmask_b32_e32 v136, v136, v48, vcc
	v_cmp_eq_u32_e32 vcc, 15, v132
	v_cndmask_b32_e32 v136, v136, v49, vcc
	v_cmp_eq_u32_e32 vcc, 16, v132
	v_cndmask_b32_e32 v136, v136, v50, vcc
	v_cmp_eq_u32_e32 vcc, 17, v132
	v_cndmask_b32_e32 v136, v136, v51, vcc
	v_cmp_eq_u32_e32 vcc, 18, v132
	v_cndmask_b32_e32 v136, v136, v52, vcc
	v_cmp_eq_u32_e32 vcc, 19, v132
	v_cndmask_b32_e32 v136, v136, v53, vcc
	v_cmp_eq_u32_e32 vcc, 20, v132
	v_cndmask_b32_e32 v136, v136, v54, vcc
	v_cmp_eq_u32_e32 vcc, 21, v132
	v_cndmask_b32_e32 v136, v136, v55, vcc
	v_cmp_eq_u32_e32 vcc, 22, v132
	v_cndmask_b32_e32 v136, v136, v56, vcc
	v_cmp_eq_u32_e32 vcc, 23, v132
	v_cndmask_b32_e32 v136, v136, v57, vcc
	v_cmp_eq_u32_e32 vcc, 24, v132
	v_cndmask_b32_e32 v136, v136, v58, vcc
	v_cmp_eq_u32_e32 vcc, 25, v132
	v_cndmask_b32_e32 v136, v136, v59, vcc
	v_cmp_eq_u32_e32 vcc, 26, v132
	v_cndmask_b32_e32 v136, v136, v60, vcc
	v_cmp_eq_u32_e32 vcc, 27, v132
	ds_read_b32 v137, v134
	v_cndmask_b32_e32 v136, v136, v61, vcc
	v_cmp_eq_u32_e32 vcc, 28, v132
	v_cndmask_b32_e32 v136, v136, v62, vcc
	v_cmp_eq_u32_e32 vcc, 29, v132
	;; [unrolled: 2-line block ×4, first 2 shown]
	v_add_co_u32_e64 v132, s[2:3], 1, v132
	v_cndmask_b32_e32 v136, v136, v65, vcc
	v_add_u32_e32 v134, 4, v134
	v_addc_co_u32_e64 v135, s[2:3], 0, v135, s[2:3]
	s_waitcnt lgkmcnt(0)
	v_fmac_f32_e32 v131, v136, v137
	s_andn2_b64 exec, exec, s[10:11]
	s_cbranch_execnz .LBB95_157
; %bb.158:
	s_or_b64 exec, exec, s[10:11]
.LBB95_159:
	s_or_b64 exec, exec, s[8:9]
.LBB95_160:
	s_or_b64 exec, exec, s[6:7]
	v_mov_b32_e32 v54, 0
	ds_read_b32 v54, v54 offset:80
	s_waitcnt lgkmcnt(0)
	v_mul_f32_e32 v54, v131, v54
.LBB95_161:
	s_or_b64 exec, exec, s[4:5]
	v_cmp_lt_u32_e64 s[2:3], 19, v0
	ds_write_b32 v130, v53
	s_waitcnt lgkmcnt(0)
	; wave barrier
	s_and_saveexec_b64 s[4:5], s[2:3]
	s_cbranch_execz .LBB95_177
; %bb.162:
	s_andn2_b64 vcc, exec, s[66:67]
	s_cbranch_vccnz .LBB95_164
; %bb.163:
	v_cmp_eq_u32_e32 vcc, 1, v0
	v_cndmask_b32_e32 v131, v34, v35, vcc
	v_cmp_eq_u32_e32 vcc, 2, v0
	v_cndmask_b32_e32 v131, v131, v36, vcc
	;; [unrolled: 2-line block ×27, first 2 shown]
	v_cmp_eq_u32_e32 vcc, 28, v0
	ds_read_b32 v132, v130
	v_cndmask_b32_e32 v131, v131, v62, vcc
	v_cmp_eq_u32_e32 vcc, 29, v0
	v_cndmask_b32_e32 v131, v131, v63, vcc
	v_cmp_eq_u32_e32 vcc, 30, v0
	;; [unrolled: 2-line block ×3, first 2 shown]
	v_cndmask_b32_e32 v131, v131, v65, vcc
	s_waitcnt lgkmcnt(0)
	v_mul_f32_e32 v131, v131, v132
	s_cbranch_execz .LBB95_165
	s_branch .LBB95_166
.LBB95_164:
                                        ; implicit-def: $vgpr131
.LBB95_165:
	ds_read_b32 v131, v130
.LBB95_166:
	s_and_saveexec_b64 s[6:7], s[0:1]
	s_cbranch_execz .LBB95_176
; %bb.167:
	v_subrev_u32_e32 v134, 21, v0
	v_mov_b32_e32 v132, 20
	v_subrev_u32_e32 v133, 20, v0
	v_cmp_lt_u32_e32 vcc, 6, v134
	s_and_saveexec_b64 s[0:1], vcc
	s_cbranch_execz .LBB95_171
; %bb.168:
	v_and_b32_e32 v132, -8, v133
	v_sub_u32_e32 v134, 0, v132
	s_mov_b64 s[8:9], 27
	s_movk_i32 s12, 0xd0
	s_mov_b64 s[10:11], 0
.LBB95_169:                             ; =>This Inner Loop Header: Depth=1
	s_add_i32 s13, s8, -7
	v_mov_b32_e32 v132, s12
	s_add_i32 s14, s8, -6
	s_set_gpr_idx_on s13, gpr_idx(SRC0)
	v_mov_b32_e32 v143, v34
	s_set_gpr_idx_off
	s_add_i32 s15, s8, -5
	ds_read_b128 v[135:138], v132
	ds_read_b128 v[139:142], v132 offset:16
	s_set_gpr_idx_on s14, gpr_idx(SRC0)
	v_mov_b32_e32 v132, v34
	s_set_gpr_idx_off
	s_add_i32 s16, s8, -4
	s_set_gpr_idx_on s15, gpr_idx(SRC0)
	v_mov_b32_e32 v144, v34
	s_set_gpr_idx_off
	s_add_i32 s17, s8, -3
	;; [unrolled: 4-line block ×4, first 2 shown]
	s_waitcnt lgkmcnt(1)
	v_fmac_f32_e32 v131, v143, v135
	s_set_gpr_idx_on s18, gpr_idx(SRC0)
	v_mov_b32_e32 v135, v34
	s_set_gpr_idx_off
	v_fmac_f32_e32 v131, v132, v136
	s_set_gpr_idx_on s19, gpr_idx(SRC0)
	v_mov_b32_e32 v136, v34
	s_set_gpr_idx_off
	;; [unrolled: 4-line block ×3, first 2 shown]
	v_fmac_f32_e32 v131, v145, v138
	s_add_u32 s8, s8, 8
	s_waitcnt lgkmcnt(0)
	v_fmac_f32_e32 v131, v146, v139
	v_add_u32_e32 v132, s8, v134
	v_fmac_f32_e32 v131, v135, v140
	s_addc_u32 s9, s9, 0
	s_add_i32 s12, s12, 32
	s_add_i32 s13, s8, -7
	v_cmp_eq_u32_e32 vcc, 27, v132
	v_fmac_f32_e32 v131, v136, v141
	v_mov_b32_e32 v132, s13
	s_or_b64 s[10:11], vcc, s[10:11]
	v_fmac_f32_e32 v131, v137, v142
	s_andn2_b64 exec, exec, s[10:11]
	s_cbranch_execnz .LBB95_169
; %bb.170:
	s_or_b64 exec, exec, s[10:11]
.LBB95_171:
	s_or_b64 exec, exec, s[0:1]
	v_and_b32_e32 v133, 7, v133
	v_cmp_ne_u32_e32 vcc, 0, v133
	s_and_saveexec_b64 s[8:9], vcc
	s_cbranch_execz .LBB95_175
; %bb.172:
	v_mov_b32_e32 v134, 0x80
	v_lshl_add_u32 v134, v132, 2, v134
	v_mov_b32_e32 v135, 0
	s_mov_b64 s[10:11], 0
.LBB95_173:                             ; =>This Inner Loop Header: Depth=1
	v_cmp_eq_u32_e32 vcc, 1, v132
	v_cndmask_b32_e32 v136, v34, v35, vcc
	v_add_u32_e32 v133, -1, v133
	v_cmp_eq_u32_e32 vcc, 2, v132
	v_cndmask_b32_e32 v136, v136, v36, vcc
	v_cmp_eq_u32_e32 vcc, 0, v133
	v_cmp_eq_u32_e64 s[0:1], 3, v132
	v_cndmask_b32_e64 v136, v136, v37, s[0:1]
	s_or_b64 s[10:11], vcc, s[10:11]
	v_cmp_eq_u32_e32 vcc, 4, v132
	v_cndmask_b32_e32 v136, v136, v38, vcc
	v_cmp_eq_u32_e32 vcc, 5, v132
	v_cndmask_b32_e32 v136, v136, v39, vcc
	v_cmp_eq_u32_e32 vcc, 6, v132
	v_cndmask_b32_e32 v136, v136, v40, vcc
	v_cmp_eq_u32_e32 vcc, 7, v132
	v_cndmask_b32_e32 v136, v136, v41, vcc
	v_cmp_eq_u32_e32 vcc, 8, v132
	v_cndmask_b32_e32 v136, v136, v42, vcc
	v_cmp_eq_u32_e32 vcc, 9, v132
	v_cndmask_b32_e32 v136, v136, v43, vcc
	v_cmp_eq_u32_e32 vcc, 10, v132
	v_cndmask_b32_e32 v136, v136, v44, vcc
	v_cmp_eq_u32_e32 vcc, 11, v132
	v_cndmask_b32_e32 v136, v136, v45, vcc
	v_cmp_eq_u32_e32 vcc, 12, v132
	v_cndmask_b32_e32 v136, v136, v46, vcc
	v_cmp_eq_u32_e32 vcc, 13, v132
	v_cndmask_b32_e32 v136, v136, v47, vcc
	v_cmp_eq_u32_e32 vcc, 14, v132
	v_cndmask_b32_e32 v136, v136, v48, vcc
	v_cmp_eq_u32_e32 vcc, 15, v132
	v_cndmask_b32_e32 v136, v136, v49, vcc
	v_cmp_eq_u32_e32 vcc, 16, v132
	v_cndmask_b32_e32 v136, v136, v50, vcc
	v_cmp_eq_u32_e32 vcc, 17, v132
	v_cndmask_b32_e32 v136, v136, v51, vcc
	v_cmp_eq_u32_e32 vcc, 18, v132
	v_cndmask_b32_e32 v136, v136, v52, vcc
	v_cmp_eq_u32_e32 vcc, 19, v132
	v_cndmask_b32_e32 v136, v136, v53, vcc
	v_cmp_eq_u32_e32 vcc, 20, v132
	v_cndmask_b32_e32 v136, v136, v54, vcc
	v_cmp_eq_u32_e32 vcc, 21, v132
	v_cndmask_b32_e32 v136, v136, v55, vcc
	v_cmp_eq_u32_e32 vcc, 22, v132
	v_cndmask_b32_e32 v136, v136, v56, vcc
	v_cmp_eq_u32_e32 vcc, 23, v132
	v_cndmask_b32_e32 v136, v136, v57, vcc
	v_cmp_eq_u32_e32 vcc, 24, v132
	v_cndmask_b32_e32 v136, v136, v58, vcc
	v_cmp_eq_u32_e32 vcc, 25, v132
	v_cndmask_b32_e32 v136, v136, v59, vcc
	v_cmp_eq_u32_e32 vcc, 26, v132
	v_cndmask_b32_e32 v136, v136, v60, vcc
	v_cmp_eq_u32_e32 vcc, 27, v132
	ds_read_b32 v137, v134
	v_cndmask_b32_e32 v136, v136, v61, vcc
	v_cmp_eq_u32_e32 vcc, 28, v132
	v_cndmask_b32_e32 v136, v136, v62, vcc
	v_cmp_eq_u32_e32 vcc, 29, v132
	;; [unrolled: 2-line block ×4, first 2 shown]
	v_add_co_u32_e64 v132, s[0:1], 1, v132
	v_cndmask_b32_e32 v136, v136, v65, vcc
	v_add_u32_e32 v134, 4, v134
	v_addc_co_u32_e64 v135, s[0:1], 0, v135, s[0:1]
	s_waitcnt lgkmcnt(0)
	v_fmac_f32_e32 v131, v136, v137
	s_andn2_b64 exec, exec, s[10:11]
	s_cbranch_execnz .LBB95_173
; %bb.174:
	s_or_b64 exec, exec, s[10:11]
.LBB95_175:
	s_or_b64 exec, exec, s[8:9]
.LBB95_176:
	s_or_b64 exec, exec, s[6:7]
	v_mov_b32_e32 v53, 0
	ds_read_b32 v53, v53 offset:76
	s_waitcnt lgkmcnt(0)
	v_mul_f32_e32 v53, v131, v53
.LBB95_177:
	s_or_b64 exec, exec, s[4:5]
	v_cmp_lt_u32_e64 s[0:1], 18, v0
	ds_write_b32 v130, v52
	s_waitcnt lgkmcnt(0)
	; wave barrier
	s_and_saveexec_b64 s[4:5], s[0:1]
	s_cbranch_execz .LBB95_193
; %bb.178:
	s_andn2_b64 vcc, exec, s[66:67]
	s_cbranch_vccnz .LBB95_180
; %bb.179:
	v_cmp_eq_u32_e32 vcc, 1, v0
	v_cndmask_b32_e32 v131, v34, v35, vcc
	v_cmp_eq_u32_e32 vcc, 2, v0
	v_cndmask_b32_e32 v131, v131, v36, vcc
	;; [unrolled: 2-line block ×27, first 2 shown]
	v_cmp_eq_u32_e32 vcc, 28, v0
	ds_read_b32 v132, v130
	v_cndmask_b32_e32 v131, v131, v62, vcc
	v_cmp_eq_u32_e32 vcc, 29, v0
	v_cndmask_b32_e32 v131, v131, v63, vcc
	v_cmp_eq_u32_e32 vcc, 30, v0
	v_cndmask_b32_e32 v131, v131, v64, vcc
	v_cmp_eq_u32_e32 vcc, 31, v0
	v_cndmask_b32_e32 v131, v131, v65, vcc
	s_waitcnt lgkmcnt(0)
	v_mul_f32_e32 v131, v131, v132
	s_cbranch_execz .LBB95_181
	s_branch .LBB95_182
.LBB95_180:
                                        ; implicit-def: $vgpr131
.LBB95_181:
	ds_read_b32 v131, v130
.LBB95_182:
	s_and_saveexec_b64 s[6:7], s[2:3]
	s_cbranch_execz .LBB95_192
; %bb.183:
	v_subrev_u32_e32 v134, 20, v0
	v_mov_b32_e32 v132, 19
	v_subrev_u32_e32 v133, 19, v0
	v_cmp_lt_u32_e32 vcc, 6, v134
	s_and_saveexec_b64 s[2:3], vcc
	s_cbranch_execz .LBB95_187
; %bb.184:
	v_and_b32_e32 v132, -8, v133
	v_sub_u32_e32 v134, 0, v132
	s_mov_b64 s[8:9], 26
	s_movk_i32 s12, 0xcc
	s_mov_b64 s[10:11], 0
.LBB95_185:                             ; =>This Inner Loop Header: Depth=1
	s_add_i32 s13, s8, -7
	v_mov_b32_e32 v132, s12
	s_add_i32 s14, s8, -6
	s_set_gpr_idx_on s13, gpr_idx(SRC0)
	v_mov_b32_e32 v141, v34
	s_set_gpr_idx_off
	ds_read2_b32 v[135:136], v132 offset1:1
	s_add_i32 s15, s8, -5
	s_set_gpr_idx_on s14, gpr_idx(SRC0)
	v_mov_b32_e32 v142, v34
	s_set_gpr_idx_off
	s_add_i32 s16, s8, -4
	s_set_gpr_idx_on s15, gpr_idx(SRC0)
	v_mov_b32_e32 v143, v34
	s_set_gpr_idx_off
	ds_read2_b32 v[137:138], v132 offset0:2 offset1:3
	s_add_i32 s17, s8, -3
	s_set_gpr_idx_on s16, gpr_idx(SRC0)
	v_mov_b32_e32 v144, v34
	s_set_gpr_idx_off
	s_add_i32 s18, s8, -2
	s_set_gpr_idx_on s17, gpr_idx(SRC0)
	v_mov_b32_e32 v145, v34
	s_set_gpr_idx_off
	ds_read2_b32 v[139:140], v132 offset0:4 offset1:5
	s_add_i32 s19, s8, -1
	s_waitcnt lgkmcnt(2)
	v_fmac_f32_e32 v131, v141, v135
	s_set_gpr_idx_on s18, gpr_idx(SRC0)
	v_mov_b32_e32 v141, v34
	s_set_gpr_idx_off
	v_fmac_f32_e32 v131, v142, v136
	s_set_gpr_idx_on s19, gpr_idx(SRC0)
	v_mov_b32_e32 v142, v34
	s_set_gpr_idx_off
	ds_read2_b32 v[135:136], v132 offset0:6 offset1:7
	s_waitcnt lgkmcnt(2)
	v_fmac_f32_e32 v131, v143, v137
	s_set_gpr_idx_on s8, gpr_idx(SRC0)
	v_mov_b32_e32 v137, v34
	s_set_gpr_idx_off
	v_fmac_f32_e32 v131, v144, v138
	s_add_u32 s8, s8, 8
	s_waitcnt lgkmcnt(1)
	v_fmac_f32_e32 v131, v145, v139
	v_add_u32_e32 v132, s8, v134
	v_fmac_f32_e32 v131, v141, v140
	s_addc_u32 s9, s9, 0
	s_add_i32 s12, s12, 32
	s_add_i32 s13, s8, -7
	v_cmp_eq_u32_e32 vcc, 26, v132
	s_waitcnt lgkmcnt(0)
	v_fmac_f32_e32 v131, v142, v135
	v_mov_b32_e32 v132, s13
	s_or_b64 s[10:11], vcc, s[10:11]
	v_fmac_f32_e32 v131, v137, v136
	s_andn2_b64 exec, exec, s[10:11]
	s_cbranch_execnz .LBB95_185
; %bb.186:
	s_or_b64 exec, exec, s[10:11]
.LBB95_187:
	s_or_b64 exec, exec, s[2:3]
	v_and_b32_e32 v133, 7, v133
	v_cmp_ne_u32_e32 vcc, 0, v133
	s_and_saveexec_b64 s[8:9], vcc
	s_cbranch_execz .LBB95_191
; %bb.188:
	v_mov_b32_e32 v134, 0x80
	v_lshl_add_u32 v134, v132, 2, v134
	v_mov_b32_e32 v135, 0
	s_mov_b64 s[10:11], 0
.LBB95_189:                             ; =>This Inner Loop Header: Depth=1
	v_cmp_eq_u32_e32 vcc, 1, v132
	v_cndmask_b32_e32 v136, v34, v35, vcc
	v_add_u32_e32 v133, -1, v133
	v_cmp_eq_u32_e32 vcc, 2, v132
	v_cndmask_b32_e32 v136, v136, v36, vcc
	v_cmp_eq_u32_e32 vcc, 0, v133
	v_cmp_eq_u32_e64 s[2:3], 3, v132
	v_cndmask_b32_e64 v136, v136, v37, s[2:3]
	s_or_b64 s[10:11], vcc, s[10:11]
	v_cmp_eq_u32_e32 vcc, 4, v132
	v_cndmask_b32_e32 v136, v136, v38, vcc
	v_cmp_eq_u32_e32 vcc, 5, v132
	v_cndmask_b32_e32 v136, v136, v39, vcc
	;; [unrolled: 2-line block ×23, first 2 shown]
	v_cmp_eq_u32_e32 vcc, 27, v132
	ds_read_b32 v137, v134
	v_cndmask_b32_e32 v136, v136, v61, vcc
	v_cmp_eq_u32_e32 vcc, 28, v132
	v_cndmask_b32_e32 v136, v136, v62, vcc
	v_cmp_eq_u32_e32 vcc, 29, v132
	;; [unrolled: 2-line block ×4, first 2 shown]
	v_add_co_u32_e64 v132, s[2:3], 1, v132
	v_cndmask_b32_e32 v136, v136, v65, vcc
	v_add_u32_e32 v134, 4, v134
	v_addc_co_u32_e64 v135, s[2:3], 0, v135, s[2:3]
	s_waitcnt lgkmcnt(0)
	v_fmac_f32_e32 v131, v136, v137
	s_andn2_b64 exec, exec, s[10:11]
	s_cbranch_execnz .LBB95_189
; %bb.190:
	s_or_b64 exec, exec, s[10:11]
.LBB95_191:
	s_or_b64 exec, exec, s[8:9]
.LBB95_192:
	s_or_b64 exec, exec, s[6:7]
	v_mov_b32_e32 v52, 0
	ds_read_b32 v52, v52 offset:72
	s_waitcnt lgkmcnt(0)
	v_mul_f32_e32 v52, v131, v52
.LBB95_193:
	s_or_b64 exec, exec, s[4:5]
	v_cmp_lt_u32_e64 s[2:3], 17, v0
	ds_write_b32 v130, v51
	s_waitcnt lgkmcnt(0)
	; wave barrier
	s_and_saveexec_b64 s[4:5], s[2:3]
	s_cbranch_execz .LBB95_209
; %bb.194:
	s_andn2_b64 vcc, exec, s[66:67]
	s_cbranch_vccnz .LBB95_196
; %bb.195:
	v_cmp_eq_u32_e32 vcc, 1, v0
	v_cndmask_b32_e32 v131, v34, v35, vcc
	v_cmp_eq_u32_e32 vcc, 2, v0
	v_cndmask_b32_e32 v131, v131, v36, vcc
	;; [unrolled: 2-line block ×27, first 2 shown]
	v_cmp_eq_u32_e32 vcc, 28, v0
	ds_read_b32 v132, v130
	v_cndmask_b32_e32 v131, v131, v62, vcc
	v_cmp_eq_u32_e32 vcc, 29, v0
	v_cndmask_b32_e32 v131, v131, v63, vcc
	v_cmp_eq_u32_e32 vcc, 30, v0
	v_cndmask_b32_e32 v131, v131, v64, vcc
	v_cmp_eq_u32_e32 vcc, 31, v0
	v_cndmask_b32_e32 v131, v131, v65, vcc
	s_waitcnt lgkmcnt(0)
	v_mul_f32_e32 v131, v131, v132
	s_cbranch_execz .LBB95_197
	s_branch .LBB95_198
.LBB95_196:
                                        ; implicit-def: $vgpr131
.LBB95_197:
	ds_read_b32 v131, v130
.LBB95_198:
	s_and_saveexec_b64 s[6:7], s[0:1]
	s_cbranch_execz .LBB95_208
; %bb.199:
	v_subrev_u32_e32 v134, 19, v0
	v_mov_b32_e32 v132, 18
	v_subrev_u32_e32 v133, 18, v0
	v_cmp_lt_u32_e32 vcc, 6, v134
	s_and_saveexec_b64 s[0:1], vcc
	s_cbranch_execz .LBB95_203
; %bb.200:
	v_and_b32_e32 v132, -8, v133
	v_sub_u32_e32 v134, 0, v132
	s_mov_b64 s[8:9], 25
	s_movk_i32 s12, 0xc8
	s_mov_b64 s[10:11], 0
.LBB95_201:                             ; =>This Inner Loop Header: Depth=1
	s_add_i32 s13, s8, -7
	v_mov_b32_e32 v132, s12
	s_add_i32 s14, s8, -6
	s_set_gpr_idx_on s13, gpr_idx(SRC0)
	v_mov_b32_e32 v143, v34
	s_set_gpr_idx_off
	ds_read2_b64 v[135:138], v132 offset1:1
	s_add_i32 s15, s8, -5
	s_set_gpr_idx_on s14, gpr_idx(SRC0)
	v_mov_b32_e32 v144, v34
	s_set_gpr_idx_off
	s_add_i32 s16, s8, -4
	s_set_gpr_idx_on s15, gpr_idx(SRC0)
	v_mov_b32_e32 v145, v34
	s_set_gpr_idx_off
	;; [unrolled: 4-line block ×4, first 2 shown]
	ds_read2_b64 v[139:142], v132 offset0:2 offset1:3
	s_add_i32 s19, s8, -1
	s_waitcnt lgkmcnt(1)
	v_fmac_f32_e32 v131, v143, v135
	s_set_gpr_idx_on s18, gpr_idx(SRC0)
	v_mov_b32_e32 v135, v34
	s_set_gpr_idx_off
	v_fmac_f32_e32 v131, v144, v136
	s_set_gpr_idx_on s19, gpr_idx(SRC0)
	v_mov_b32_e32 v136, v34
	s_set_gpr_idx_off
	v_fmac_f32_e32 v131, v145, v137
	s_set_gpr_idx_on s8, gpr_idx(SRC0)
	v_mov_b32_e32 v137, v34
	s_set_gpr_idx_off
	v_fmac_f32_e32 v131, v146, v138
	s_add_u32 s8, s8, 8
	s_waitcnt lgkmcnt(0)
	v_fmac_f32_e32 v131, v147, v139
	v_add_u32_e32 v132, s8, v134
	v_fmac_f32_e32 v131, v135, v140
	s_addc_u32 s9, s9, 0
	s_add_i32 s12, s12, 32
	s_add_i32 s13, s8, -7
	v_cmp_eq_u32_e32 vcc, 25, v132
	v_fmac_f32_e32 v131, v136, v141
	v_mov_b32_e32 v132, s13
	s_or_b64 s[10:11], vcc, s[10:11]
	v_fmac_f32_e32 v131, v137, v142
	s_andn2_b64 exec, exec, s[10:11]
	s_cbranch_execnz .LBB95_201
; %bb.202:
	s_or_b64 exec, exec, s[10:11]
.LBB95_203:
	s_or_b64 exec, exec, s[0:1]
	v_and_b32_e32 v133, 7, v133
	v_cmp_ne_u32_e32 vcc, 0, v133
	s_and_saveexec_b64 s[8:9], vcc
	s_cbranch_execz .LBB95_207
; %bb.204:
	v_mov_b32_e32 v134, 0x80
	v_lshl_add_u32 v134, v132, 2, v134
	v_mov_b32_e32 v135, 0
	s_mov_b64 s[10:11], 0
.LBB95_205:                             ; =>This Inner Loop Header: Depth=1
	v_cmp_eq_u32_e32 vcc, 1, v132
	v_cndmask_b32_e32 v136, v34, v35, vcc
	v_add_u32_e32 v133, -1, v133
	v_cmp_eq_u32_e32 vcc, 2, v132
	v_cndmask_b32_e32 v136, v136, v36, vcc
	v_cmp_eq_u32_e32 vcc, 0, v133
	v_cmp_eq_u32_e64 s[0:1], 3, v132
	v_cndmask_b32_e64 v136, v136, v37, s[0:1]
	s_or_b64 s[10:11], vcc, s[10:11]
	v_cmp_eq_u32_e32 vcc, 4, v132
	v_cndmask_b32_e32 v136, v136, v38, vcc
	v_cmp_eq_u32_e32 vcc, 5, v132
	v_cndmask_b32_e32 v136, v136, v39, vcc
	;; [unrolled: 2-line block ×23, first 2 shown]
	v_cmp_eq_u32_e32 vcc, 27, v132
	ds_read_b32 v137, v134
	v_cndmask_b32_e32 v136, v136, v61, vcc
	v_cmp_eq_u32_e32 vcc, 28, v132
	v_cndmask_b32_e32 v136, v136, v62, vcc
	v_cmp_eq_u32_e32 vcc, 29, v132
	;; [unrolled: 2-line block ×4, first 2 shown]
	v_add_co_u32_e64 v132, s[0:1], 1, v132
	v_cndmask_b32_e32 v136, v136, v65, vcc
	v_add_u32_e32 v134, 4, v134
	v_addc_co_u32_e64 v135, s[0:1], 0, v135, s[0:1]
	s_waitcnt lgkmcnt(0)
	v_fmac_f32_e32 v131, v136, v137
	s_andn2_b64 exec, exec, s[10:11]
	s_cbranch_execnz .LBB95_205
; %bb.206:
	s_or_b64 exec, exec, s[10:11]
.LBB95_207:
	s_or_b64 exec, exec, s[8:9]
.LBB95_208:
	s_or_b64 exec, exec, s[6:7]
	v_mov_b32_e32 v51, 0
	ds_read_b32 v51, v51 offset:68
	s_waitcnt lgkmcnt(0)
	v_mul_f32_e32 v51, v131, v51
.LBB95_209:
	s_or_b64 exec, exec, s[4:5]
	v_cmp_lt_u32_e64 s[0:1], 16, v0
	ds_write_b32 v130, v50
	s_waitcnt lgkmcnt(0)
	; wave barrier
	s_and_saveexec_b64 s[4:5], s[0:1]
	s_cbranch_execz .LBB95_225
; %bb.210:
	s_andn2_b64 vcc, exec, s[66:67]
	s_cbranch_vccnz .LBB95_212
; %bb.211:
	v_cmp_eq_u32_e32 vcc, 1, v0
	v_cndmask_b32_e32 v131, v34, v35, vcc
	v_cmp_eq_u32_e32 vcc, 2, v0
	v_cndmask_b32_e32 v131, v131, v36, vcc
	;; [unrolled: 2-line block ×27, first 2 shown]
	v_cmp_eq_u32_e32 vcc, 28, v0
	ds_read_b32 v132, v130
	v_cndmask_b32_e32 v131, v131, v62, vcc
	v_cmp_eq_u32_e32 vcc, 29, v0
	v_cndmask_b32_e32 v131, v131, v63, vcc
	v_cmp_eq_u32_e32 vcc, 30, v0
	v_cndmask_b32_e32 v131, v131, v64, vcc
	v_cmp_eq_u32_e32 vcc, 31, v0
	v_cndmask_b32_e32 v131, v131, v65, vcc
	s_waitcnt lgkmcnt(0)
	v_mul_f32_e32 v131, v131, v132
	s_cbranch_execz .LBB95_213
	s_branch .LBB95_214
.LBB95_212:
                                        ; implicit-def: $vgpr131
.LBB95_213:
	ds_read_b32 v131, v130
.LBB95_214:
	s_and_saveexec_b64 s[6:7], s[2:3]
	s_cbranch_execz .LBB95_224
; %bb.215:
	v_subrev_u32_e32 v134, 18, v0
	v_mov_b32_e32 v132, 17
	v_subrev_u32_e32 v133, 17, v0
	v_cmp_lt_u32_e32 vcc, 6, v134
	s_and_saveexec_b64 s[2:3], vcc
	s_cbranch_execz .LBB95_219
; %bb.216:
	v_and_b32_e32 v132, -8, v133
	v_sub_u32_e32 v134, 0, v132
	s_mov_b64 s[8:9], 24
	s_movk_i32 s12, 0xc4
	s_mov_b64 s[10:11], 0
.LBB95_217:                             ; =>This Inner Loop Header: Depth=1
	s_add_i32 s13, s8, -7
	v_mov_b32_e32 v132, s12
	s_add_i32 s14, s8, -6
	s_set_gpr_idx_on s13, gpr_idx(SRC0)
	v_mov_b32_e32 v141, v34
	s_set_gpr_idx_off
	ds_read2_b32 v[135:136], v132 offset1:1
	s_add_i32 s15, s8, -5
	s_set_gpr_idx_on s14, gpr_idx(SRC0)
	v_mov_b32_e32 v142, v34
	s_set_gpr_idx_off
	s_add_i32 s16, s8, -4
	s_set_gpr_idx_on s15, gpr_idx(SRC0)
	v_mov_b32_e32 v143, v34
	s_set_gpr_idx_off
	ds_read2_b32 v[137:138], v132 offset0:2 offset1:3
	s_add_i32 s17, s8, -3
	s_set_gpr_idx_on s16, gpr_idx(SRC0)
	v_mov_b32_e32 v144, v34
	s_set_gpr_idx_off
	s_add_i32 s18, s8, -2
	s_set_gpr_idx_on s17, gpr_idx(SRC0)
	v_mov_b32_e32 v145, v34
	s_set_gpr_idx_off
	ds_read2_b32 v[139:140], v132 offset0:4 offset1:5
	s_add_i32 s19, s8, -1
	s_waitcnt lgkmcnt(2)
	v_fmac_f32_e32 v131, v141, v135
	s_set_gpr_idx_on s18, gpr_idx(SRC0)
	v_mov_b32_e32 v141, v34
	s_set_gpr_idx_off
	v_fmac_f32_e32 v131, v142, v136
	s_set_gpr_idx_on s19, gpr_idx(SRC0)
	v_mov_b32_e32 v142, v34
	s_set_gpr_idx_off
	ds_read2_b32 v[135:136], v132 offset0:6 offset1:7
	s_waitcnt lgkmcnt(2)
	v_fmac_f32_e32 v131, v143, v137
	s_set_gpr_idx_on s8, gpr_idx(SRC0)
	v_mov_b32_e32 v137, v34
	s_set_gpr_idx_off
	v_fmac_f32_e32 v131, v144, v138
	s_add_u32 s8, s8, 8
	s_waitcnt lgkmcnt(1)
	v_fmac_f32_e32 v131, v145, v139
	v_add_u32_e32 v132, s8, v134
	v_fmac_f32_e32 v131, v141, v140
	s_addc_u32 s9, s9, 0
	s_add_i32 s12, s12, 32
	s_add_i32 s13, s8, -7
	v_cmp_eq_u32_e32 vcc, 24, v132
	s_waitcnt lgkmcnt(0)
	v_fmac_f32_e32 v131, v142, v135
	v_mov_b32_e32 v132, s13
	s_or_b64 s[10:11], vcc, s[10:11]
	v_fmac_f32_e32 v131, v137, v136
	s_andn2_b64 exec, exec, s[10:11]
	s_cbranch_execnz .LBB95_217
; %bb.218:
	s_or_b64 exec, exec, s[10:11]
.LBB95_219:
	s_or_b64 exec, exec, s[2:3]
	v_and_b32_e32 v133, 7, v133
	v_cmp_ne_u32_e32 vcc, 0, v133
	s_and_saveexec_b64 s[8:9], vcc
	s_cbranch_execz .LBB95_223
; %bb.220:
	v_mov_b32_e32 v134, 0x80
	v_lshl_add_u32 v134, v132, 2, v134
	v_mov_b32_e32 v135, 0
	s_mov_b64 s[10:11], 0
.LBB95_221:                             ; =>This Inner Loop Header: Depth=1
	v_cmp_eq_u32_e32 vcc, 1, v132
	v_cndmask_b32_e32 v136, v34, v35, vcc
	v_add_u32_e32 v133, -1, v133
	v_cmp_eq_u32_e32 vcc, 2, v132
	v_cndmask_b32_e32 v136, v136, v36, vcc
	v_cmp_eq_u32_e32 vcc, 0, v133
	v_cmp_eq_u32_e64 s[2:3], 3, v132
	v_cndmask_b32_e64 v136, v136, v37, s[2:3]
	s_or_b64 s[10:11], vcc, s[10:11]
	v_cmp_eq_u32_e32 vcc, 4, v132
	v_cndmask_b32_e32 v136, v136, v38, vcc
	v_cmp_eq_u32_e32 vcc, 5, v132
	v_cndmask_b32_e32 v136, v136, v39, vcc
	;; [unrolled: 2-line block ×23, first 2 shown]
	v_cmp_eq_u32_e32 vcc, 27, v132
	ds_read_b32 v137, v134
	v_cndmask_b32_e32 v136, v136, v61, vcc
	v_cmp_eq_u32_e32 vcc, 28, v132
	v_cndmask_b32_e32 v136, v136, v62, vcc
	v_cmp_eq_u32_e32 vcc, 29, v132
	;; [unrolled: 2-line block ×4, first 2 shown]
	v_add_co_u32_e64 v132, s[2:3], 1, v132
	v_cndmask_b32_e32 v136, v136, v65, vcc
	v_add_u32_e32 v134, 4, v134
	v_addc_co_u32_e64 v135, s[2:3], 0, v135, s[2:3]
	s_waitcnt lgkmcnt(0)
	v_fmac_f32_e32 v131, v136, v137
	s_andn2_b64 exec, exec, s[10:11]
	s_cbranch_execnz .LBB95_221
; %bb.222:
	s_or_b64 exec, exec, s[10:11]
.LBB95_223:
	s_or_b64 exec, exec, s[8:9]
.LBB95_224:
	s_or_b64 exec, exec, s[6:7]
	v_mov_b32_e32 v50, 0
	ds_read_b32 v50, v50 offset:64
	s_waitcnt lgkmcnt(0)
	v_mul_f32_e32 v50, v131, v50
.LBB95_225:
	s_or_b64 exec, exec, s[4:5]
	v_cmp_lt_u32_e64 s[2:3], 15, v0
	ds_write_b32 v130, v49
	s_waitcnt lgkmcnt(0)
	; wave barrier
	s_and_saveexec_b64 s[4:5], s[2:3]
	s_cbranch_execz .LBB95_241
; %bb.226:
	s_andn2_b64 vcc, exec, s[66:67]
	s_cbranch_vccnz .LBB95_228
; %bb.227:
	v_cmp_eq_u32_e32 vcc, 1, v0
	v_cndmask_b32_e32 v131, v34, v35, vcc
	v_cmp_eq_u32_e32 vcc, 2, v0
	v_cndmask_b32_e32 v131, v131, v36, vcc
	;; [unrolled: 2-line block ×27, first 2 shown]
	v_cmp_eq_u32_e32 vcc, 28, v0
	ds_read_b32 v132, v130
	v_cndmask_b32_e32 v131, v131, v62, vcc
	v_cmp_eq_u32_e32 vcc, 29, v0
	v_cndmask_b32_e32 v131, v131, v63, vcc
	v_cmp_eq_u32_e32 vcc, 30, v0
	;; [unrolled: 2-line block ×3, first 2 shown]
	v_cndmask_b32_e32 v131, v131, v65, vcc
	s_waitcnt lgkmcnt(0)
	v_mul_f32_e32 v131, v131, v132
	s_cbranch_execz .LBB95_229
	s_branch .LBB95_230
.LBB95_228:
                                        ; implicit-def: $vgpr131
.LBB95_229:
	ds_read_b32 v131, v130
.LBB95_230:
	s_and_saveexec_b64 s[6:7], s[0:1]
	s_cbranch_execz .LBB95_240
; %bb.231:
	v_subrev_u32_e32 v132, 17, v0
	v_cmp_lt_u32_e32 vcc, 6, v132
	v_mov_b32_e32 v132, 16
	s_and_saveexec_b64 s[0:1], vcc
	s_cbranch_execz .LBB95_235
; %bb.232:
	v_and_b32_e32 v132, 24, v0
	v_sub_u32_e32 v133, 0, v132
	s_mov_b64 s[8:9], 23
	s_movk_i32 s12, 0xc0
	s_mov_b64 s[10:11], 0
.LBB95_233:                             ; =>This Inner Loop Header: Depth=1
	s_add_i32 s13, s8, -7
	v_mov_b32_e32 v132, s12
	s_add_i32 s14, s8, -6
	s_set_gpr_idx_on s13, gpr_idx(SRC0)
	v_mov_b32_e32 v142, v34
	s_set_gpr_idx_off
	s_add_i32 s15, s8, -5
	ds_read_b128 v[134:137], v132
	ds_read_b128 v[138:141], v132 offset:16
	s_set_gpr_idx_on s14, gpr_idx(SRC0)
	v_mov_b32_e32 v132, v34
	s_set_gpr_idx_off
	s_add_i32 s16, s8, -4
	s_set_gpr_idx_on s15, gpr_idx(SRC0)
	v_mov_b32_e32 v143, v34
	s_set_gpr_idx_off
	s_add_i32 s17, s8, -3
	;; [unrolled: 4-line block ×4, first 2 shown]
	s_waitcnt lgkmcnt(1)
	v_fmac_f32_e32 v131, v142, v134
	s_set_gpr_idx_on s18, gpr_idx(SRC0)
	v_mov_b32_e32 v134, v34
	s_set_gpr_idx_off
	v_fmac_f32_e32 v131, v132, v135
	s_set_gpr_idx_on s19, gpr_idx(SRC0)
	v_mov_b32_e32 v135, v34
	s_set_gpr_idx_off
	;; [unrolled: 4-line block ×3, first 2 shown]
	v_fmac_f32_e32 v131, v144, v137
	s_add_u32 s8, s8, 8
	s_waitcnt lgkmcnt(0)
	v_fmac_f32_e32 v131, v145, v138
	v_add_u32_e32 v132, s8, v133
	v_fmac_f32_e32 v131, v134, v139
	s_addc_u32 s9, s9, 0
	s_add_i32 s12, s12, 32
	s_add_i32 s13, s8, -7
	v_cmp_eq_u32_e32 vcc, 7, v132
	v_fmac_f32_e32 v131, v135, v140
	v_mov_b32_e32 v132, s13
	s_or_b64 s[10:11], vcc, s[10:11]
	v_fmac_f32_e32 v131, v136, v141
	s_andn2_b64 exec, exec, s[10:11]
	s_cbranch_execnz .LBB95_233
; %bb.234:
	s_or_b64 exec, exec, s[10:11]
.LBB95_235:
	s_or_b64 exec, exec, s[0:1]
	v_and_b32_e32 v133, 7, v0
	v_cmp_ne_u32_e32 vcc, 0, v133
	s_and_saveexec_b64 s[8:9], vcc
	s_cbranch_execz .LBB95_239
; %bb.236:
	v_mov_b32_e32 v134, 0x80
	v_lshl_add_u32 v134, v132, 2, v134
	v_mov_b32_e32 v135, 0
	s_mov_b64 s[10:11], 0
.LBB95_237:                             ; =>This Inner Loop Header: Depth=1
	v_cmp_eq_u32_e32 vcc, 1, v132
	v_cndmask_b32_e32 v136, v34, v35, vcc
	v_add_u32_e32 v133, -1, v133
	v_cmp_eq_u32_e32 vcc, 2, v132
	v_cndmask_b32_e32 v136, v136, v36, vcc
	v_cmp_eq_u32_e32 vcc, 0, v133
	v_cmp_eq_u32_e64 s[0:1], 3, v132
	v_cndmask_b32_e64 v136, v136, v37, s[0:1]
	s_or_b64 s[10:11], vcc, s[10:11]
	v_cmp_eq_u32_e32 vcc, 4, v132
	v_cndmask_b32_e32 v136, v136, v38, vcc
	v_cmp_eq_u32_e32 vcc, 5, v132
	v_cndmask_b32_e32 v136, v136, v39, vcc
	;; [unrolled: 2-line block ×23, first 2 shown]
	v_cmp_eq_u32_e32 vcc, 27, v132
	ds_read_b32 v137, v134
	v_cndmask_b32_e32 v136, v136, v61, vcc
	v_cmp_eq_u32_e32 vcc, 28, v132
	v_cndmask_b32_e32 v136, v136, v62, vcc
	v_cmp_eq_u32_e32 vcc, 29, v132
	v_cndmask_b32_e32 v136, v136, v63, vcc
	v_cmp_eq_u32_e32 vcc, 30, v132
	v_cndmask_b32_e32 v136, v136, v64, vcc
	v_cmp_eq_u32_e32 vcc, 31, v132
	v_add_co_u32_e64 v132, s[0:1], 1, v132
	v_cndmask_b32_e32 v136, v136, v65, vcc
	v_add_u32_e32 v134, 4, v134
	v_addc_co_u32_e64 v135, s[0:1], 0, v135, s[0:1]
	s_waitcnt lgkmcnt(0)
	v_fmac_f32_e32 v131, v136, v137
	s_andn2_b64 exec, exec, s[10:11]
	s_cbranch_execnz .LBB95_237
; %bb.238:
	s_or_b64 exec, exec, s[10:11]
.LBB95_239:
	s_or_b64 exec, exec, s[8:9]
.LBB95_240:
	s_or_b64 exec, exec, s[6:7]
	v_mov_b32_e32 v49, 0
	ds_read_b32 v49, v49 offset:60
	s_waitcnt lgkmcnt(0)
	v_mul_f32_e32 v49, v131, v49
.LBB95_241:
	s_or_b64 exec, exec, s[4:5]
	v_cmp_lt_u32_e64 s[0:1], 14, v0
	ds_write_b32 v130, v48
	s_waitcnt lgkmcnt(0)
	; wave barrier
	s_and_saveexec_b64 s[4:5], s[0:1]
	s_cbranch_execz .LBB95_257
; %bb.242:
	s_andn2_b64 vcc, exec, s[66:67]
	s_cbranch_vccnz .LBB95_244
; %bb.243:
	v_cmp_eq_u32_e32 vcc, 1, v0
	v_cndmask_b32_e32 v131, v34, v35, vcc
	v_cmp_eq_u32_e32 vcc, 2, v0
	v_cndmask_b32_e32 v131, v131, v36, vcc
	;; [unrolled: 2-line block ×27, first 2 shown]
	v_cmp_eq_u32_e32 vcc, 28, v0
	ds_read_b32 v132, v130
	v_cndmask_b32_e32 v131, v131, v62, vcc
	v_cmp_eq_u32_e32 vcc, 29, v0
	v_cndmask_b32_e32 v131, v131, v63, vcc
	v_cmp_eq_u32_e32 vcc, 30, v0
	;; [unrolled: 2-line block ×3, first 2 shown]
	v_cndmask_b32_e32 v131, v131, v65, vcc
	s_waitcnt lgkmcnt(0)
	v_mul_f32_e32 v131, v131, v132
	s_cbranch_execz .LBB95_245
	s_branch .LBB95_246
.LBB95_244:
                                        ; implicit-def: $vgpr131
.LBB95_245:
	ds_read_b32 v131, v130
.LBB95_246:
	s_and_saveexec_b64 s[6:7], s[2:3]
	s_cbranch_execz .LBB95_256
; %bb.247:
	v_add_u32_e32 v132, -16, v0
	v_add_u32_e32 v133, -15, v0
	v_cmp_lt_u32_e32 vcc, 6, v132
	v_mov_b32_e32 v132, 15
	s_and_saveexec_b64 s[2:3], vcc
	s_cbranch_execz .LBB95_251
; %bb.248:
	v_and_b32_e32 v132, -8, v133
	v_sub_u32_e32 v134, 0, v132
	s_mov_b64 s[8:9], 22
	s_movk_i32 s12, 0xbc
	s_mov_b64 s[10:11], 0
.LBB95_249:                             ; =>This Inner Loop Header: Depth=1
	s_add_i32 s13, s8, -7
	v_mov_b32_e32 v132, s12
	s_add_i32 s14, s8, -6
	s_set_gpr_idx_on s13, gpr_idx(SRC0)
	v_mov_b32_e32 v141, v34
	s_set_gpr_idx_off
	ds_read2_b32 v[135:136], v132 offset1:1
	s_add_i32 s15, s8, -5
	s_set_gpr_idx_on s14, gpr_idx(SRC0)
	v_mov_b32_e32 v142, v34
	s_set_gpr_idx_off
	s_add_i32 s16, s8, -4
	s_set_gpr_idx_on s15, gpr_idx(SRC0)
	v_mov_b32_e32 v143, v34
	s_set_gpr_idx_off
	ds_read2_b32 v[137:138], v132 offset0:2 offset1:3
	s_add_i32 s17, s8, -3
	s_set_gpr_idx_on s16, gpr_idx(SRC0)
	v_mov_b32_e32 v144, v34
	s_set_gpr_idx_off
	s_add_i32 s18, s8, -2
	s_set_gpr_idx_on s17, gpr_idx(SRC0)
	v_mov_b32_e32 v145, v34
	s_set_gpr_idx_off
	ds_read2_b32 v[139:140], v132 offset0:4 offset1:5
	s_add_i32 s19, s8, -1
	s_waitcnt lgkmcnt(2)
	v_fmac_f32_e32 v131, v141, v135
	s_set_gpr_idx_on s18, gpr_idx(SRC0)
	v_mov_b32_e32 v141, v34
	s_set_gpr_idx_off
	v_fmac_f32_e32 v131, v142, v136
	s_set_gpr_idx_on s19, gpr_idx(SRC0)
	v_mov_b32_e32 v142, v34
	s_set_gpr_idx_off
	ds_read2_b32 v[135:136], v132 offset0:6 offset1:7
	s_waitcnt lgkmcnt(2)
	v_fmac_f32_e32 v131, v143, v137
	s_set_gpr_idx_on s8, gpr_idx(SRC0)
	v_mov_b32_e32 v137, v34
	s_set_gpr_idx_off
	v_fmac_f32_e32 v131, v144, v138
	s_add_u32 s8, s8, 8
	s_waitcnt lgkmcnt(1)
	v_fmac_f32_e32 v131, v145, v139
	v_add_u32_e32 v132, s8, v134
	v_fmac_f32_e32 v131, v141, v140
	s_addc_u32 s9, s9, 0
	s_add_i32 s12, s12, 32
	s_add_i32 s13, s8, -7
	v_cmp_eq_u32_e32 vcc, 22, v132
	s_waitcnt lgkmcnt(0)
	v_fmac_f32_e32 v131, v142, v135
	v_mov_b32_e32 v132, s13
	s_or_b64 s[10:11], vcc, s[10:11]
	v_fmac_f32_e32 v131, v137, v136
	s_andn2_b64 exec, exec, s[10:11]
	s_cbranch_execnz .LBB95_249
; %bb.250:
	s_or_b64 exec, exec, s[10:11]
.LBB95_251:
	s_or_b64 exec, exec, s[2:3]
	v_and_b32_e32 v133, 7, v133
	v_cmp_ne_u32_e32 vcc, 0, v133
	s_and_saveexec_b64 s[8:9], vcc
	s_cbranch_execz .LBB95_255
; %bb.252:
	v_mov_b32_e32 v134, 0x80
	v_lshl_add_u32 v134, v132, 2, v134
	v_mov_b32_e32 v135, 0
	s_mov_b64 s[10:11], 0
.LBB95_253:                             ; =>This Inner Loop Header: Depth=1
	v_cmp_eq_u32_e32 vcc, 1, v132
	v_cndmask_b32_e32 v136, v34, v35, vcc
	v_add_u32_e32 v133, -1, v133
	v_cmp_eq_u32_e32 vcc, 2, v132
	v_cndmask_b32_e32 v136, v136, v36, vcc
	v_cmp_eq_u32_e32 vcc, 0, v133
	v_cmp_eq_u32_e64 s[2:3], 3, v132
	v_cndmask_b32_e64 v136, v136, v37, s[2:3]
	s_or_b64 s[10:11], vcc, s[10:11]
	v_cmp_eq_u32_e32 vcc, 4, v132
	v_cndmask_b32_e32 v136, v136, v38, vcc
	v_cmp_eq_u32_e32 vcc, 5, v132
	v_cndmask_b32_e32 v136, v136, v39, vcc
	v_cmp_eq_u32_e32 vcc, 6, v132
	v_cndmask_b32_e32 v136, v136, v40, vcc
	v_cmp_eq_u32_e32 vcc, 7, v132
	v_cndmask_b32_e32 v136, v136, v41, vcc
	v_cmp_eq_u32_e32 vcc, 8, v132
	v_cndmask_b32_e32 v136, v136, v42, vcc
	v_cmp_eq_u32_e32 vcc, 9, v132
	v_cndmask_b32_e32 v136, v136, v43, vcc
	v_cmp_eq_u32_e32 vcc, 10, v132
	v_cndmask_b32_e32 v136, v136, v44, vcc
	v_cmp_eq_u32_e32 vcc, 11, v132
	v_cndmask_b32_e32 v136, v136, v45, vcc
	v_cmp_eq_u32_e32 vcc, 12, v132
	v_cndmask_b32_e32 v136, v136, v46, vcc
	v_cmp_eq_u32_e32 vcc, 13, v132
	v_cndmask_b32_e32 v136, v136, v47, vcc
	v_cmp_eq_u32_e32 vcc, 14, v132
	v_cndmask_b32_e32 v136, v136, v48, vcc
	v_cmp_eq_u32_e32 vcc, 15, v132
	v_cndmask_b32_e32 v136, v136, v49, vcc
	v_cmp_eq_u32_e32 vcc, 16, v132
	v_cndmask_b32_e32 v136, v136, v50, vcc
	v_cmp_eq_u32_e32 vcc, 17, v132
	v_cndmask_b32_e32 v136, v136, v51, vcc
	v_cmp_eq_u32_e32 vcc, 18, v132
	v_cndmask_b32_e32 v136, v136, v52, vcc
	v_cmp_eq_u32_e32 vcc, 19, v132
	v_cndmask_b32_e32 v136, v136, v53, vcc
	v_cmp_eq_u32_e32 vcc, 20, v132
	v_cndmask_b32_e32 v136, v136, v54, vcc
	v_cmp_eq_u32_e32 vcc, 21, v132
	v_cndmask_b32_e32 v136, v136, v55, vcc
	v_cmp_eq_u32_e32 vcc, 22, v132
	v_cndmask_b32_e32 v136, v136, v56, vcc
	v_cmp_eq_u32_e32 vcc, 23, v132
	v_cndmask_b32_e32 v136, v136, v57, vcc
	v_cmp_eq_u32_e32 vcc, 24, v132
	v_cndmask_b32_e32 v136, v136, v58, vcc
	v_cmp_eq_u32_e32 vcc, 25, v132
	v_cndmask_b32_e32 v136, v136, v59, vcc
	v_cmp_eq_u32_e32 vcc, 26, v132
	v_cndmask_b32_e32 v136, v136, v60, vcc
	v_cmp_eq_u32_e32 vcc, 27, v132
	ds_read_b32 v137, v134
	v_cndmask_b32_e32 v136, v136, v61, vcc
	v_cmp_eq_u32_e32 vcc, 28, v132
	v_cndmask_b32_e32 v136, v136, v62, vcc
	v_cmp_eq_u32_e32 vcc, 29, v132
	;; [unrolled: 2-line block ×4, first 2 shown]
	v_add_co_u32_e64 v132, s[2:3], 1, v132
	v_cndmask_b32_e32 v136, v136, v65, vcc
	v_add_u32_e32 v134, 4, v134
	v_addc_co_u32_e64 v135, s[2:3], 0, v135, s[2:3]
	s_waitcnt lgkmcnt(0)
	v_fmac_f32_e32 v131, v136, v137
	s_andn2_b64 exec, exec, s[10:11]
	s_cbranch_execnz .LBB95_253
; %bb.254:
	s_or_b64 exec, exec, s[10:11]
.LBB95_255:
	s_or_b64 exec, exec, s[8:9]
.LBB95_256:
	s_or_b64 exec, exec, s[6:7]
	v_mov_b32_e32 v48, 0
	ds_read_b32 v48, v48 offset:56
	s_waitcnt lgkmcnt(0)
	v_mul_f32_e32 v48, v131, v48
.LBB95_257:
	s_or_b64 exec, exec, s[4:5]
	v_cmp_lt_u32_e64 s[2:3], 13, v0
	ds_write_b32 v130, v47
	s_waitcnt lgkmcnt(0)
	; wave barrier
	s_and_saveexec_b64 s[4:5], s[2:3]
	s_cbranch_execz .LBB95_273
; %bb.258:
	s_andn2_b64 vcc, exec, s[66:67]
	s_cbranch_vccnz .LBB95_260
; %bb.259:
	v_cmp_eq_u32_e32 vcc, 1, v0
	v_cndmask_b32_e32 v131, v34, v35, vcc
	v_cmp_eq_u32_e32 vcc, 2, v0
	v_cndmask_b32_e32 v131, v131, v36, vcc
	;; [unrolled: 2-line block ×27, first 2 shown]
	v_cmp_eq_u32_e32 vcc, 28, v0
	ds_read_b32 v132, v130
	v_cndmask_b32_e32 v131, v131, v62, vcc
	v_cmp_eq_u32_e32 vcc, 29, v0
	v_cndmask_b32_e32 v131, v131, v63, vcc
	v_cmp_eq_u32_e32 vcc, 30, v0
	;; [unrolled: 2-line block ×3, first 2 shown]
	v_cndmask_b32_e32 v131, v131, v65, vcc
	s_waitcnt lgkmcnt(0)
	v_mul_f32_e32 v131, v131, v132
	s_cbranch_execz .LBB95_261
	s_branch .LBB95_262
.LBB95_260:
                                        ; implicit-def: $vgpr131
.LBB95_261:
	ds_read_b32 v131, v130
.LBB95_262:
	s_and_saveexec_b64 s[6:7], s[0:1]
	s_cbranch_execz .LBB95_272
; %bb.263:
	v_add_u32_e32 v132, -15, v0
	v_add_u32_e32 v133, -14, v0
	v_cmp_lt_u32_e32 vcc, 6, v132
	v_mov_b32_e32 v132, 14
	s_and_saveexec_b64 s[0:1], vcc
	s_cbranch_execz .LBB95_267
; %bb.264:
	v_and_b32_e32 v132, -8, v133
	v_sub_u32_e32 v134, 0, v132
	s_mov_b64 s[8:9], 21
	s_movk_i32 s12, 0xb8
	s_mov_b64 s[10:11], 0
.LBB95_265:                             ; =>This Inner Loop Header: Depth=1
	s_add_i32 s13, s8, -7
	v_mov_b32_e32 v132, s12
	s_add_i32 s14, s8, -6
	s_set_gpr_idx_on s13, gpr_idx(SRC0)
	v_mov_b32_e32 v143, v34
	s_set_gpr_idx_off
	ds_read2_b64 v[135:138], v132 offset1:1
	s_add_i32 s15, s8, -5
	s_set_gpr_idx_on s14, gpr_idx(SRC0)
	v_mov_b32_e32 v144, v34
	s_set_gpr_idx_off
	s_add_i32 s16, s8, -4
	s_set_gpr_idx_on s15, gpr_idx(SRC0)
	v_mov_b32_e32 v145, v34
	s_set_gpr_idx_off
	;; [unrolled: 4-line block ×4, first 2 shown]
	ds_read2_b64 v[139:142], v132 offset0:2 offset1:3
	s_add_i32 s19, s8, -1
	s_waitcnt lgkmcnt(1)
	v_fmac_f32_e32 v131, v143, v135
	s_set_gpr_idx_on s18, gpr_idx(SRC0)
	v_mov_b32_e32 v135, v34
	s_set_gpr_idx_off
	v_fmac_f32_e32 v131, v144, v136
	s_set_gpr_idx_on s19, gpr_idx(SRC0)
	v_mov_b32_e32 v136, v34
	s_set_gpr_idx_off
	;; [unrolled: 4-line block ×3, first 2 shown]
	v_fmac_f32_e32 v131, v146, v138
	s_add_u32 s8, s8, 8
	s_waitcnt lgkmcnt(0)
	v_fmac_f32_e32 v131, v147, v139
	v_add_u32_e32 v132, s8, v134
	v_fmac_f32_e32 v131, v135, v140
	s_addc_u32 s9, s9, 0
	s_add_i32 s12, s12, 32
	s_add_i32 s13, s8, -7
	v_cmp_eq_u32_e32 vcc, 21, v132
	v_fmac_f32_e32 v131, v136, v141
	v_mov_b32_e32 v132, s13
	s_or_b64 s[10:11], vcc, s[10:11]
	v_fmac_f32_e32 v131, v137, v142
	s_andn2_b64 exec, exec, s[10:11]
	s_cbranch_execnz .LBB95_265
; %bb.266:
	s_or_b64 exec, exec, s[10:11]
.LBB95_267:
	s_or_b64 exec, exec, s[0:1]
	v_and_b32_e32 v133, 7, v133
	v_cmp_ne_u32_e32 vcc, 0, v133
	s_and_saveexec_b64 s[8:9], vcc
	s_cbranch_execz .LBB95_271
; %bb.268:
	v_mov_b32_e32 v134, 0x80
	v_lshl_add_u32 v134, v132, 2, v134
	v_mov_b32_e32 v135, 0
	s_mov_b64 s[10:11], 0
.LBB95_269:                             ; =>This Inner Loop Header: Depth=1
	v_cmp_eq_u32_e32 vcc, 1, v132
	v_cndmask_b32_e32 v136, v34, v35, vcc
	v_add_u32_e32 v133, -1, v133
	v_cmp_eq_u32_e32 vcc, 2, v132
	v_cndmask_b32_e32 v136, v136, v36, vcc
	v_cmp_eq_u32_e32 vcc, 0, v133
	v_cmp_eq_u32_e64 s[0:1], 3, v132
	v_cndmask_b32_e64 v136, v136, v37, s[0:1]
	s_or_b64 s[10:11], vcc, s[10:11]
	v_cmp_eq_u32_e32 vcc, 4, v132
	v_cndmask_b32_e32 v136, v136, v38, vcc
	v_cmp_eq_u32_e32 vcc, 5, v132
	v_cndmask_b32_e32 v136, v136, v39, vcc
	;; [unrolled: 2-line block ×23, first 2 shown]
	v_cmp_eq_u32_e32 vcc, 27, v132
	ds_read_b32 v137, v134
	v_cndmask_b32_e32 v136, v136, v61, vcc
	v_cmp_eq_u32_e32 vcc, 28, v132
	v_cndmask_b32_e32 v136, v136, v62, vcc
	v_cmp_eq_u32_e32 vcc, 29, v132
	;; [unrolled: 2-line block ×4, first 2 shown]
	v_add_co_u32_e64 v132, s[0:1], 1, v132
	v_cndmask_b32_e32 v136, v136, v65, vcc
	v_add_u32_e32 v134, 4, v134
	v_addc_co_u32_e64 v135, s[0:1], 0, v135, s[0:1]
	s_waitcnt lgkmcnt(0)
	v_fmac_f32_e32 v131, v136, v137
	s_andn2_b64 exec, exec, s[10:11]
	s_cbranch_execnz .LBB95_269
; %bb.270:
	s_or_b64 exec, exec, s[10:11]
.LBB95_271:
	s_or_b64 exec, exec, s[8:9]
.LBB95_272:
	s_or_b64 exec, exec, s[6:7]
	v_mov_b32_e32 v47, 0
	ds_read_b32 v47, v47 offset:52
	s_waitcnt lgkmcnt(0)
	v_mul_f32_e32 v47, v131, v47
.LBB95_273:
	s_or_b64 exec, exec, s[4:5]
	v_cmp_lt_u32_e64 s[0:1], 12, v0
	ds_write_b32 v130, v46
	s_waitcnt lgkmcnt(0)
	; wave barrier
	s_and_saveexec_b64 s[4:5], s[0:1]
	s_cbranch_execz .LBB95_289
; %bb.274:
	s_andn2_b64 vcc, exec, s[66:67]
	s_cbranch_vccnz .LBB95_276
; %bb.275:
	v_cmp_eq_u32_e32 vcc, 1, v0
	v_cndmask_b32_e32 v131, v34, v35, vcc
	v_cmp_eq_u32_e32 vcc, 2, v0
	v_cndmask_b32_e32 v131, v131, v36, vcc
	v_cmp_eq_u32_e32 vcc, 3, v0
	v_cndmask_b32_e32 v131, v131, v37, vcc
	v_cmp_eq_u32_e32 vcc, 4, v0
	v_cndmask_b32_e32 v131, v131, v38, vcc
	v_cmp_eq_u32_e32 vcc, 5, v0
	v_cndmask_b32_e32 v131, v131, v39, vcc
	v_cmp_eq_u32_e32 vcc, 6, v0
	v_cndmask_b32_e32 v131, v131, v40, vcc
	v_cmp_eq_u32_e32 vcc, 7, v0
	v_cndmask_b32_e32 v131, v131, v41, vcc
	v_cmp_eq_u32_e32 vcc, 8, v0
	v_cndmask_b32_e32 v131, v131, v42, vcc
	v_cmp_eq_u32_e32 vcc, 9, v0
	v_cndmask_b32_e32 v131, v131, v43, vcc
	v_cmp_eq_u32_e32 vcc, 10, v0
	v_cndmask_b32_e32 v131, v131, v44, vcc
	v_cmp_eq_u32_e32 vcc, 11, v0
	v_cndmask_b32_e32 v131, v131, v45, vcc
	v_cmp_eq_u32_e32 vcc, 12, v0
	v_cndmask_b32_e32 v131, v131, v46, vcc
	v_cmp_eq_u32_e32 vcc, 13, v0
	v_cndmask_b32_e32 v131, v131, v47, vcc
	v_cmp_eq_u32_e32 vcc, 14, v0
	v_cndmask_b32_e32 v131, v131, v48, vcc
	v_cmp_eq_u32_e32 vcc, 15, v0
	v_cndmask_b32_e32 v131, v131, v49, vcc
	v_cmp_eq_u32_e32 vcc, 16, v0
	v_cndmask_b32_e32 v131, v131, v50, vcc
	v_cmp_eq_u32_e32 vcc, 17, v0
	v_cndmask_b32_e32 v131, v131, v51, vcc
	v_cmp_eq_u32_e32 vcc, 18, v0
	v_cndmask_b32_e32 v131, v131, v52, vcc
	v_cmp_eq_u32_e32 vcc, 19, v0
	v_cndmask_b32_e32 v131, v131, v53, vcc
	v_cmp_eq_u32_e32 vcc, 20, v0
	v_cndmask_b32_e32 v131, v131, v54, vcc
	v_cmp_eq_u32_e32 vcc, 21, v0
	v_cndmask_b32_e32 v131, v131, v55, vcc
	v_cmp_eq_u32_e32 vcc, 22, v0
	v_cndmask_b32_e32 v131, v131, v56, vcc
	v_cmp_eq_u32_e32 vcc, 23, v0
	v_cndmask_b32_e32 v131, v131, v57, vcc
	v_cmp_eq_u32_e32 vcc, 24, v0
	v_cndmask_b32_e32 v131, v131, v58, vcc
	v_cmp_eq_u32_e32 vcc, 25, v0
	v_cndmask_b32_e32 v131, v131, v59, vcc
	v_cmp_eq_u32_e32 vcc, 26, v0
	v_cndmask_b32_e32 v131, v131, v60, vcc
	v_cmp_eq_u32_e32 vcc, 27, v0
	v_cndmask_b32_e32 v131, v131, v61, vcc
	v_cmp_eq_u32_e32 vcc, 28, v0
	ds_read_b32 v132, v130
	v_cndmask_b32_e32 v131, v131, v62, vcc
	v_cmp_eq_u32_e32 vcc, 29, v0
	v_cndmask_b32_e32 v131, v131, v63, vcc
	v_cmp_eq_u32_e32 vcc, 30, v0
	;; [unrolled: 2-line block ×3, first 2 shown]
	v_cndmask_b32_e32 v131, v131, v65, vcc
	s_waitcnt lgkmcnt(0)
	v_mul_f32_e32 v131, v131, v132
	s_cbranch_execz .LBB95_277
	s_branch .LBB95_278
.LBB95_276:
                                        ; implicit-def: $vgpr131
.LBB95_277:
	ds_read_b32 v131, v130
.LBB95_278:
	s_and_saveexec_b64 s[6:7], s[2:3]
	s_cbranch_execz .LBB95_288
; %bb.279:
	v_add_u32_e32 v132, -14, v0
	v_add_u32_e32 v133, -13, v0
	v_cmp_lt_u32_e32 vcc, 6, v132
	v_mov_b32_e32 v132, 13
	s_and_saveexec_b64 s[2:3], vcc
	s_cbranch_execz .LBB95_283
; %bb.280:
	v_and_b32_e32 v132, -8, v133
	v_sub_u32_e32 v134, 0, v132
	s_mov_b64 s[8:9], 20
	s_movk_i32 s12, 0xb4
	s_mov_b64 s[10:11], 0
.LBB95_281:                             ; =>This Inner Loop Header: Depth=1
	s_add_i32 s13, s8, -7
	v_mov_b32_e32 v132, s12
	s_add_i32 s14, s8, -6
	s_set_gpr_idx_on s13, gpr_idx(SRC0)
	v_mov_b32_e32 v141, v34
	s_set_gpr_idx_off
	ds_read2_b32 v[135:136], v132 offset1:1
	s_add_i32 s15, s8, -5
	s_set_gpr_idx_on s14, gpr_idx(SRC0)
	v_mov_b32_e32 v142, v34
	s_set_gpr_idx_off
	s_add_i32 s16, s8, -4
	s_set_gpr_idx_on s15, gpr_idx(SRC0)
	v_mov_b32_e32 v143, v34
	s_set_gpr_idx_off
	ds_read2_b32 v[137:138], v132 offset0:2 offset1:3
	s_add_i32 s17, s8, -3
	s_set_gpr_idx_on s16, gpr_idx(SRC0)
	v_mov_b32_e32 v144, v34
	s_set_gpr_idx_off
	s_add_i32 s18, s8, -2
	s_set_gpr_idx_on s17, gpr_idx(SRC0)
	v_mov_b32_e32 v145, v34
	s_set_gpr_idx_off
	ds_read2_b32 v[139:140], v132 offset0:4 offset1:5
	s_add_i32 s19, s8, -1
	s_waitcnt lgkmcnt(2)
	v_fmac_f32_e32 v131, v141, v135
	s_set_gpr_idx_on s18, gpr_idx(SRC0)
	v_mov_b32_e32 v141, v34
	s_set_gpr_idx_off
	v_fmac_f32_e32 v131, v142, v136
	s_set_gpr_idx_on s19, gpr_idx(SRC0)
	v_mov_b32_e32 v142, v34
	s_set_gpr_idx_off
	ds_read2_b32 v[135:136], v132 offset0:6 offset1:7
	s_waitcnt lgkmcnt(2)
	v_fmac_f32_e32 v131, v143, v137
	s_set_gpr_idx_on s8, gpr_idx(SRC0)
	v_mov_b32_e32 v137, v34
	s_set_gpr_idx_off
	v_fmac_f32_e32 v131, v144, v138
	s_add_u32 s8, s8, 8
	s_waitcnt lgkmcnt(1)
	v_fmac_f32_e32 v131, v145, v139
	v_add_u32_e32 v132, s8, v134
	v_fmac_f32_e32 v131, v141, v140
	s_addc_u32 s9, s9, 0
	s_add_i32 s12, s12, 32
	s_add_i32 s13, s8, -7
	v_cmp_eq_u32_e32 vcc, 20, v132
	s_waitcnt lgkmcnt(0)
	v_fmac_f32_e32 v131, v142, v135
	v_mov_b32_e32 v132, s13
	s_or_b64 s[10:11], vcc, s[10:11]
	v_fmac_f32_e32 v131, v137, v136
	s_andn2_b64 exec, exec, s[10:11]
	s_cbranch_execnz .LBB95_281
; %bb.282:
	s_or_b64 exec, exec, s[10:11]
.LBB95_283:
	s_or_b64 exec, exec, s[2:3]
	v_and_b32_e32 v133, 7, v133
	v_cmp_ne_u32_e32 vcc, 0, v133
	s_and_saveexec_b64 s[8:9], vcc
	s_cbranch_execz .LBB95_287
; %bb.284:
	v_mov_b32_e32 v134, 0x80
	v_lshl_add_u32 v134, v132, 2, v134
	v_mov_b32_e32 v135, 0
	s_mov_b64 s[10:11], 0
.LBB95_285:                             ; =>This Inner Loop Header: Depth=1
	v_cmp_eq_u32_e32 vcc, 1, v132
	v_cndmask_b32_e32 v136, v34, v35, vcc
	v_add_u32_e32 v133, -1, v133
	v_cmp_eq_u32_e32 vcc, 2, v132
	v_cndmask_b32_e32 v136, v136, v36, vcc
	v_cmp_eq_u32_e32 vcc, 0, v133
	v_cmp_eq_u32_e64 s[2:3], 3, v132
	v_cndmask_b32_e64 v136, v136, v37, s[2:3]
	s_or_b64 s[10:11], vcc, s[10:11]
	v_cmp_eq_u32_e32 vcc, 4, v132
	v_cndmask_b32_e32 v136, v136, v38, vcc
	v_cmp_eq_u32_e32 vcc, 5, v132
	v_cndmask_b32_e32 v136, v136, v39, vcc
	;; [unrolled: 2-line block ×23, first 2 shown]
	v_cmp_eq_u32_e32 vcc, 27, v132
	ds_read_b32 v137, v134
	v_cndmask_b32_e32 v136, v136, v61, vcc
	v_cmp_eq_u32_e32 vcc, 28, v132
	v_cndmask_b32_e32 v136, v136, v62, vcc
	v_cmp_eq_u32_e32 vcc, 29, v132
	;; [unrolled: 2-line block ×4, first 2 shown]
	v_add_co_u32_e64 v132, s[2:3], 1, v132
	v_cndmask_b32_e32 v136, v136, v65, vcc
	v_add_u32_e32 v134, 4, v134
	v_addc_co_u32_e64 v135, s[2:3], 0, v135, s[2:3]
	s_waitcnt lgkmcnt(0)
	v_fmac_f32_e32 v131, v136, v137
	s_andn2_b64 exec, exec, s[10:11]
	s_cbranch_execnz .LBB95_285
; %bb.286:
	s_or_b64 exec, exec, s[10:11]
.LBB95_287:
	s_or_b64 exec, exec, s[8:9]
.LBB95_288:
	s_or_b64 exec, exec, s[6:7]
	v_mov_b32_e32 v46, 0
	ds_read_b32 v46, v46 offset:48
	s_waitcnt lgkmcnt(0)
	v_mul_f32_e32 v46, v131, v46
.LBB95_289:
	s_or_b64 exec, exec, s[4:5]
	v_cmp_lt_u32_e64 s[2:3], 11, v0
	ds_write_b32 v130, v45
	s_waitcnt lgkmcnt(0)
	; wave barrier
	s_and_saveexec_b64 s[4:5], s[2:3]
	s_cbranch_execz .LBB95_305
; %bb.290:
	s_andn2_b64 vcc, exec, s[66:67]
	s_cbranch_vccnz .LBB95_292
; %bb.291:
	v_cmp_eq_u32_e32 vcc, 1, v0
	v_cndmask_b32_e32 v131, v34, v35, vcc
	v_cmp_eq_u32_e32 vcc, 2, v0
	v_cndmask_b32_e32 v131, v131, v36, vcc
	;; [unrolled: 2-line block ×27, first 2 shown]
	v_cmp_eq_u32_e32 vcc, 28, v0
	ds_read_b32 v132, v130
	v_cndmask_b32_e32 v131, v131, v62, vcc
	v_cmp_eq_u32_e32 vcc, 29, v0
	v_cndmask_b32_e32 v131, v131, v63, vcc
	v_cmp_eq_u32_e32 vcc, 30, v0
	;; [unrolled: 2-line block ×3, first 2 shown]
	v_cndmask_b32_e32 v131, v131, v65, vcc
	s_waitcnt lgkmcnt(0)
	v_mul_f32_e32 v131, v131, v132
	s_cbranch_execz .LBB95_293
	s_branch .LBB95_294
.LBB95_292:
                                        ; implicit-def: $vgpr131
.LBB95_293:
	ds_read_b32 v131, v130
.LBB95_294:
	s_and_saveexec_b64 s[6:7], s[0:1]
	s_cbranch_execz .LBB95_304
; %bb.295:
	v_add_u32_e32 v132, -13, v0
	v_add_u32_e32 v133, -12, v0
	v_cmp_lt_u32_e32 vcc, 6, v132
	v_mov_b32_e32 v132, 12
	s_and_saveexec_b64 s[0:1], vcc
	s_cbranch_execz .LBB95_299
; %bb.296:
	v_and_b32_e32 v132, -8, v133
	v_sub_u32_e32 v134, 0, v132
	s_mov_b64 s[8:9], 19
	s_movk_i32 s12, 0xb0
	s_mov_b64 s[10:11], 0
.LBB95_297:                             ; =>This Inner Loop Header: Depth=1
	s_add_i32 s13, s8, -7
	v_mov_b32_e32 v132, s12
	s_add_i32 s14, s8, -6
	s_set_gpr_idx_on s13, gpr_idx(SRC0)
	v_mov_b32_e32 v143, v34
	s_set_gpr_idx_off
	s_add_i32 s15, s8, -5
	ds_read_b128 v[135:138], v132
	ds_read_b128 v[139:142], v132 offset:16
	s_set_gpr_idx_on s14, gpr_idx(SRC0)
	v_mov_b32_e32 v132, v34
	s_set_gpr_idx_off
	s_add_i32 s16, s8, -4
	s_set_gpr_idx_on s15, gpr_idx(SRC0)
	v_mov_b32_e32 v144, v34
	s_set_gpr_idx_off
	s_add_i32 s17, s8, -3
	s_set_gpr_idx_on s16, gpr_idx(SRC0)
	v_mov_b32_e32 v145, v34
	s_set_gpr_idx_off
	s_add_i32 s18, s8, -2
	s_set_gpr_idx_on s17, gpr_idx(SRC0)
	v_mov_b32_e32 v146, v34
	s_set_gpr_idx_off
	s_add_i32 s19, s8, -1
	s_waitcnt lgkmcnt(1)
	v_fmac_f32_e32 v131, v143, v135
	s_set_gpr_idx_on s18, gpr_idx(SRC0)
	v_mov_b32_e32 v135, v34
	s_set_gpr_idx_off
	v_fmac_f32_e32 v131, v132, v136
	s_set_gpr_idx_on s19, gpr_idx(SRC0)
	v_mov_b32_e32 v136, v34
	s_set_gpr_idx_off
	;; [unrolled: 4-line block ×3, first 2 shown]
	v_fmac_f32_e32 v131, v145, v138
	s_add_u32 s8, s8, 8
	s_waitcnt lgkmcnt(0)
	v_fmac_f32_e32 v131, v146, v139
	v_add_u32_e32 v132, s8, v134
	v_fmac_f32_e32 v131, v135, v140
	s_addc_u32 s9, s9, 0
	s_add_i32 s12, s12, 32
	s_add_i32 s13, s8, -7
	v_cmp_eq_u32_e32 vcc, 19, v132
	v_fmac_f32_e32 v131, v136, v141
	v_mov_b32_e32 v132, s13
	s_or_b64 s[10:11], vcc, s[10:11]
	v_fmac_f32_e32 v131, v137, v142
	s_andn2_b64 exec, exec, s[10:11]
	s_cbranch_execnz .LBB95_297
; %bb.298:
	s_or_b64 exec, exec, s[10:11]
.LBB95_299:
	s_or_b64 exec, exec, s[0:1]
	v_and_b32_e32 v133, 7, v133
	v_cmp_ne_u32_e32 vcc, 0, v133
	s_and_saveexec_b64 s[8:9], vcc
	s_cbranch_execz .LBB95_303
; %bb.300:
	v_mov_b32_e32 v134, 0x80
	v_lshl_add_u32 v134, v132, 2, v134
	v_mov_b32_e32 v135, 0
	s_mov_b64 s[10:11], 0
.LBB95_301:                             ; =>This Inner Loop Header: Depth=1
	v_cmp_eq_u32_e32 vcc, 1, v132
	v_cndmask_b32_e32 v136, v34, v35, vcc
	v_add_u32_e32 v133, -1, v133
	v_cmp_eq_u32_e32 vcc, 2, v132
	v_cndmask_b32_e32 v136, v136, v36, vcc
	v_cmp_eq_u32_e32 vcc, 0, v133
	v_cmp_eq_u32_e64 s[0:1], 3, v132
	v_cndmask_b32_e64 v136, v136, v37, s[0:1]
	s_or_b64 s[10:11], vcc, s[10:11]
	v_cmp_eq_u32_e32 vcc, 4, v132
	v_cndmask_b32_e32 v136, v136, v38, vcc
	v_cmp_eq_u32_e32 vcc, 5, v132
	v_cndmask_b32_e32 v136, v136, v39, vcc
	;; [unrolled: 2-line block ×23, first 2 shown]
	v_cmp_eq_u32_e32 vcc, 27, v132
	ds_read_b32 v137, v134
	v_cndmask_b32_e32 v136, v136, v61, vcc
	v_cmp_eq_u32_e32 vcc, 28, v132
	v_cndmask_b32_e32 v136, v136, v62, vcc
	v_cmp_eq_u32_e32 vcc, 29, v132
	;; [unrolled: 2-line block ×4, first 2 shown]
	v_add_co_u32_e64 v132, s[0:1], 1, v132
	v_cndmask_b32_e32 v136, v136, v65, vcc
	v_add_u32_e32 v134, 4, v134
	v_addc_co_u32_e64 v135, s[0:1], 0, v135, s[0:1]
	s_waitcnt lgkmcnt(0)
	v_fmac_f32_e32 v131, v136, v137
	s_andn2_b64 exec, exec, s[10:11]
	s_cbranch_execnz .LBB95_301
; %bb.302:
	s_or_b64 exec, exec, s[10:11]
.LBB95_303:
	s_or_b64 exec, exec, s[8:9]
.LBB95_304:
	s_or_b64 exec, exec, s[6:7]
	v_mov_b32_e32 v45, 0
	ds_read_b32 v45, v45 offset:44
	s_waitcnt lgkmcnt(0)
	v_mul_f32_e32 v45, v131, v45
.LBB95_305:
	s_or_b64 exec, exec, s[4:5]
	v_cmp_lt_u32_e64 s[0:1], 10, v0
	ds_write_b32 v130, v44
	s_waitcnt lgkmcnt(0)
	; wave barrier
	s_and_saveexec_b64 s[4:5], s[0:1]
	s_cbranch_execz .LBB95_321
; %bb.306:
	s_andn2_b64 vcc, exec, s[66:67]
	s_cbranch_vccnz .LBB95_308
; %bb.307:
	v_cmp_eq_u32_e32 vcc, 1, v0
	v_cndmask_b32_e32 v131, v34, v35, vcc
	v_cmp_eq_u32_e32 vcc, 2, v0
	v_cndmask_b32_e32 v131, v131, v36, vcc
	;; [unrolled: 2-line block ×27, first 2 shown]
	v_cmp_eq_u32_e32 vcc, 28, v0
	ds_read_b32 v132, v130
	v_cndmask_b32_e32 v131, v131, v62, vcc
	v_cmp_eq_u32_e32 vcc, 29, v0
	v_cndmask_b32_e32 v131, v131, v63, vcc
	v_cmp_eq_u32_e32 vcc, 30, v0
	;; [unrolled: 2-line block ×3, first 2 shown]
	v_cndmask_b32_e32 v131, v131, v65, vcc
	s_waitcnt lgkmcnt(0)
	v_mul_f32_e32 v131, v131, v132
	s_cbranch_execz .LBB95_309
	s_branch .LBB95_310
.LBB95_308:
                                        ; implicit-def: $vgpr131
.LBB95_309:
	ds_read_b32 v131, v130
.LBB95_310:
	s_and_saveexec_b64 s[6:7], s[2:3]
	s_cbranch_execz .LBB95_320
; %bb.311:
	v_add_u32_e32 v132, -12, v0
	v_add_u32_e32 v133, -11, v0
	v_cmp_lt_u32_e32 vcc, 6, v132
	v_mov_b32_e32 v132, 11
	s_and_saveexec_b64 s[2:3], vcc
	s_cbranch_execz .LBB95_315
; %bb.312:
	v_and_b32_e32 v132, -8, v133
	v_sub_u32_e32 v134, 0, v132
	s_mov_b64 s[8:9], 18
	s_movk_i32 s12, 0xac
	s_mov_b64 s[10:11], 0
.LBB95_313:                             ; =>This Inner Loop Header: Depth=1
	s_add_i32 s13, s8, -7
	v_mov_b32_e32 v132, s12
	s_add_i32 s14, s8, -6
	s_set_gpr_idx_on s13, gpr_idx(SRC0)
	v_mov_b32_e32 v141, v34
	s_set_gpr_idx_off
	ds_read2_b32 v[135:136], v132 offset1:1
	s_add_i32 s15, s8, -5
	s_set_gpr_idx_on s14, gpr_idx(SRC0)
	v_mov_b32_e32 v142, v34
	s_set_gpr_idx_off
	s_add_i32 s16, s8, -4
	s_set_gpr_idx_on s15, gpr_idx(SRC0)
	v_mov_b32_e32 v143, v34
	s_set_gpr_idx_off
	ds_read2_b32 v[137:138], v132 offset0:2 offset1:3
	s_add_i32 s17, s8, -3
	s_set_gpr_idx_on s16, gpr_idx(SRC0)
	v_mov_b32_e32 v144, v34
	s_set_gpr_idx_off
	s_add_i32 s18, s8, -2
	s_set_gpr_idx_on s17, gpr_idx(SRC0)
	v_mov_b32_e32 v145, v34
	s_set_gpr_idx_off
	ds_read2_b32 v[139:140], v132 offset0:4 offset1:5
	s_add_i32 s19, s8, -1
	s_waitcnt lgkmcnt(2)
	v_fmac_f32_e32 v131, v141, v135
	s_set_gpr_idx_on s18, gpr_idx(SRC0)
	v_mov_b32_e32 v141, v34
	s_set_gpr_idx_off
	v_fmac_f32_e32 v131, v142, v136
	s_set_gpr_idx_on s19, gpr_idx(SRC0)
	v_mov_b32_e32 v142, v34
	s_set_gpr_idx_off
	ds_read2_b32 v[135:136], v132 offset0:6 offset1:7
	s_waitcnt lgkmcnt(2)
	v_fmac_f32_e32 v131, v143, v137
	s_set_gpr_idx_on s8, gpr_idx(SRC0)
	v_mov_b32_e32 v137, v34
	s_set_gpr_idx_off
	v_fmac_f32_e32 v131, v144, v138
	s_add_u32 s8, s8, 8
	s_waitcnt lgkmcnt(1)
	v_fmac_f32_e32 v131, v145, v139
	v_add_u32_e32 v132, s8, v134
	v_fmac_f32_e32 v131, v141, v140
	s_addc_u32 s9, s9, 0
	s_add_i32 s12, s12, 32
	s_add_i32 s13, s8, -7
	v_cmp_eq_u32_e32 vcc, 18, v132
	s_waitcnt lgkmcnt(0)
	v_fmac_f32_e32 v131, v142, v135
	v_mov_b32_e32 v132, s13
	s_or_b64 s[10:11], vcc, s[10:11]
	v_fmac_f32_e32 v131, v137, v136
	s_andn2_b64 exec, exec, s[10:11]
	s_cbranch_execnz .LBB95_313
; %bb.314:
	s_or_b64 exec, exec, s[10:11]
.LBB95_315:
	s_or_b64 exec, exec, s[2:3]
	v_and_b32_e32 v133, 7, v133
	v_cmp_ne_u32_e32 vcc, 0, v133
	s_and_saveexec_b64 s[8:9], vcc
	s_cbranch_execz .LBB95_319
; %bb.316:
	v_mov_b32_e32 v134, 0x80
	v_lshl_add_u32 v134, v132, 2, v134
	v_mov_b32_e32 v135, 0
	s_mov_b64 s[10:11], 0
.LBB95_317:                             ; =>This Inner Loop Header: Depth=1
	v_cmp_eq_u32_e32 vcc, 1, v132
	v_cndmask_b32_e32 v136, v34, v35, vcc
	v_add_u32_e32 v133, -1, v133
	v_cmp_eq_u32_e32 vcc, 2, v132
	v_cndmask_b32_e32 v136, v136, v36, vcc
	v_cmp_eq_u32_e32 vcc, 0, v133
	v_cmp_eq_u32_e64 s[2:3], 3, v132
	v_cndmask_b32_e64 v136, v136, v37, s[2:3]
	s_or_b64 s[10:11], vcc, s[10:11]
	v_cmp_eq_u32_e32 vcc, 4, v132
	v_cndmask_b32_e32 v136, v136, v38, vcc
	v_cmp_eq_u32_e32 vcc, 5, v132
	v_cndmask_b32_e32 v136, v136, v39, vcc
	;; [unrolled: 2-line block ×23, first 2 shown]
	v_cmp_eq_u32_e32 vcc, 27, v132
	ds_read_b32 v137, v134
	v_cndmask_b32_e32 v136, v136, v61, vcc
	v_cmp_eq_u32_e32 vcc, 28, v132
	v_cndmask_b32_e32 v136, v136, v62, vcc
	v_cmp_eq_u32_e32 vcc, 29, v132
	v_cndmask_b32_e32 v136, v136, v63, vcc
	v_cmp_eq_u32_e32 vcc, 30, v132
	v_cndmask_b32_e32 v136, v136, v64, vcc
	v_cmp_eq_u32_e32 vcc, 31, v132
	v_add_co_u32_e64 v132, s[2:3], 1, v132
	v_cndmask_b32_e32 v136, v136, v65, vcc
	v_add_u32_e32 v134, 4, v134
	v_addc_co_u32_e64 v135, s[2:3], 0, v135, s[2:3]
	s_waitcnt lgkmcnt(0)
	v_fmac_f32_e32 v131, v136, v137
	s_andn2_b64 exec, exec, s[10:11]
	s_cbranch_execnz .LBB95_317
; %bb.318:
	s_or_b64 exec, exec, s[10:11]
.LBB95_319:
	s_or_b64 exec, exec, s[8:9]
.LBB95_320:
	s_or_b64 exec, exec, s[6:7]
	v_mov_b32_e32 v44, 0
	ds_read_b32 v44, v44 offset:40
	s_waitcnt lgkmcnt(0)
	v_mul_f32_e32 v44, v131, v44
.LBB95_321:
	s_or_b64 exec, exec, s[4:5]
	v_cmp_lt_u32_e64 s[2:3], 9, v0
	ds_write_b32 v130, v43
	s_waitcnt lgkmcnt(0)
	; wave barrier
	s_and_saveexec_b64 s[4:5], s[2:3]
	s_cbranch_execz .LBB95_337
; %bb.322:
	s_andn2_b64 vcc, exec, s[66:67]
	s_cbranch_vccnz .LBB95_324
; %bb.323:
	v_cmp_eq_u32_e32 vcc, 1, v0
	v_cndmask_b32_e32 v131, v34, v35, vcc
	v_cmp_eq_u32_e32 vcc, 2, v0
	v_cndmask_b32_e32 v131, v131, v36, vcc
	;; [unrolled: 2-line block ×27, first 2 shown]
	v_cmp_eq_u32_e32 vcc, 28, v0
	ds_read_b32 v132, v130
	v_cndmask_b32_e32 v131, v131, v62, vcc
	v_cmp_eq_u32_e32 vcc, 29, v0
	v_cndmask_b32_e32 v131, v131, v63, vcc
	v_cmp_eq_u32_e32 vcc, 30, v0
	;; [unrolled: 2-line block ×3, first 2 shown]
	v_cndmask_b32_e32 v131, v131, v65, vcc
	s_waitcnt lgkmcnt(0)
	v_mul_f32_e32 v131, v131, v132
	s_cbranch_execz .LBB95_325
	s_branch .LBB95_326
.LBB95_324:
                                        ; implicit-def: $vgpr131
.LBB95_325:
	ds_read_b32 v131, v130
.LBB95_326:
	s_and_saveexec_b64 s[6:7], s[0:1]
	s_cbranch_execz .LBB95_336
; %bb.327:
	v_add_u32_e32 v132, -11, v0
	v_add_u32_e32 v133, -10, v0
	v_cmp_lt_u32_e32 vcc, 6, v132
	v_mov_b32_e32 v132, 10
	s_and_saveexec_b64 s[0:1], vcc
	s_cbranch_execz .LBB95_331
; %bb.328:
	v_and_b32_e32 v132, -8, v133
	v_sub_u32_e32 v134, 0, v132
	s_mov_b64 s[8:9], 17
	s_movk_i32 s12, 0xa8
	s_mov_b64 s[10:11], 0
.LBB95_329:                             ; =>This Inner Loop Header: Depth=1
	s_add_i32 s13, s8, -7
	v_mov_b32_e32 v132, s12
	s_add_i32 s14, s8, -6
	s_set_gpr_idx_on s13, gpr_idx(SRC0)
	v_mov_b32_e32 v143, v34
	s_set_gpr_idx_off
	ds_read2_b64 v[135:138], v132 offset1:1
	s_add_i32 s15, s8, -5
	s_set_gpr_idx_on s14, gpr_idx(SRC0)
	v_mov_b32_e32 v144, v34
	s_set_gpr_idx_off
	s_add_i32 s16, s8, -4
	s_set_gpr_idx_on s15, gpr_idx(SRC0)
	v_mov_b32_e32 v145, v34
	s_set_gpr_idx_off
	;; [unrolled: 4-line block ×4, first 2 shown]
	ds_read2_b64 v[139:142], v132 offset0:2 offset1:3
	s_add_i32 s19, s8, -1
	s_waitcnt lgkmcnt(1)
	v_fmac_f32_e32 v131, v143, v135
	s_set_gpr_idx_on s18, gpr_idx(SRC0)
	v_mov_b32_e32 v135, v34
	s_set_gpr_idx_off
	v_fmac_f32_e32 v131, v144, v136
	s_set_gpr_idx_on s19, gpr_idx(SRC0)
	v_mov_b32_e32 v136, v34
	s_set_gpr_idx_off
	;; [unrolled: 4-line block ×3, first 2 shown]
	v_fmac_f32_e32 v131, v146, v138
	s_add_u32 s8, s8, 8
	s_waitcnt lgkmcnt(0)
	v_fmac_f32_e32 v131, v147, v139
	v_add_u32_e32 v132, s8, v134
	v_fmac_f32_e32 v131, v135, v140
	s_addc_u32 s9, s9, 0
	s_add_i32 s12, s12, 32
	s_add_i32 s13, s8, -7
	v_cmp_eq_u32_e32 vcc, 17, v132
	v_fmac_f32_e32 v131, v136, v141
	v_mov_b32_e32 v132, s13
	s_or_b64 s[10:11], vcc, s[10:11]
	v_fmac_f32_e32 v131, v137, v142
	s_andn2_b64 exec, exec, s[10:11]
	s_cbranch_execnz .LBB95_329
; %bb.330:
	s_or_b64 exec, exec, s[10:11]
.LBB95_331:
	s_or_b64 exec, exec, s[0:1]
	v_and_b32_e32 v133, 7, v133
	v_cmp_ne_u32_e32 vcc, 0, v133
	s_and_saveexec_b64 s[8:9], vcc
	s_cbranch_execz .LBB95_335
; %bb.332:
	v_mov_b32_e32 v134, 0x80
	v_lshl_add_u32 v134, v132, 2, v134
	v_mov_b32_e32 v135, 0
	s_mov_b64 s[10:11], 0
.LBB95_333:                             ; =>This Inner Loop Header: Depth=1
	v_cmp_eq_u32_e32 vcc, 1, v132
	v_cndmask_b32_e32 v136, v34, v35, vcc
	v_add_u32_e32 v133, -1, v133
	v_cmp_eq_u32_e32 vcc, 2, v132
	v_cndmask_b32_e32 v136, v136, v36, vcc
	v_cmp_eq_u32_e32 vcc, 0, v133
	v_cmp_eq_u32_e64 s[0:1], 3, v132
	v_cndmask_b32_e64 v136, v136, v37, s[0:1]
	s_or_b64 s[10:11], vcc, s[10:11]
	v_cmp_eq_u32_e32 vcc, 4, v132
	v_cndmask_b32_e32 v136, v136, v38, vcc
	v_cmp_eq_u32_e32 vcc, 5, v132
	v_cndmask_b32_e32 v136, v136, v39, vcc
	;; [unrolled: 2-line block ×23, first 2 shown]
	v_cmp_eq_u32_e32 vcc, 27, v132
	ds_read_b32 v137, v134
	v_cndmask_b32_e32 v136, v136, v61, vcc
	v_cmp_eq_u32_e32 vcc, 28, v132
	v_cndmask_b32_e32 v136, v136, v62, vcc
	v_cmp_eq_u32_e32 vcc, 29, v132
	;; [unrolled: 2-line block ×4, first 2 shown]
	v_add_co_u32_e64 v132, s[0:1], 1, v132
	v_cndmask_b32_e32 v136, v136, v65, vcc
	v_add_u32_e32 v134, 4, v134
	v_addc_co_u32_e64 v135, s[0:1], 0, v135, s[0:1]
	s_waitcnt lgkmcnt(0)
	v_fmac_f32_e32 v131, v136, v137
	s_andn2_b64 exec, exec, s[10:11]
	s_cbranch_execnz .LBB95_333
; %bb.334:
	s_or_b64 exec, exec, s[10:11]
.LBB95_335:
	s_or_b64 exec, exec, s[8:9]
.LBB95_336:
	s_or_b64 exec, exec, s[6:7]
	v_mov_b32_e32 v43, 0
	ds_read_b32 v43, v43 offset:36
	s_waitcnt lgkmcnt(0)
	v_mul_f32_e32 v43, v131, v43
.LBB95_337:
	s_or_b64 exec, exec, s[4:5]
	v_cmp_lt_u32_e64 s[0:1], 8, v0
	ds_write_b32 v130, v42
	s_waitcnt lgkmcnt(0)
	; wave barrier
	s_and_saveexec_b64 s[4:5], s[0:1]
	s_cbranch_execz .LBB95_353
; %bb.338:
	s_andn2_b64 vcc, exec, s[66:67]
	s_cbranch_vccnz .LBB95_340
; %bb.339:
	v_cmp_eq_u32_e32 vcc, 1, v0
	v_cndmask_b32_e32 v131, v34, v35, vcc
	v_cmp_eq_u32_e32 vcc, 2, v0
	v_cndmask_b32_e32 v131, v131, v36, vcc
	;; [unrolled: 2-line block ×27, first 2 shown]
	v_cmp_eq_u32_e32 vcc, 28, v0
	ds_read_b32 v132, v130
	v_cndmask_b32_e32 v131, v131, v62, vcc
	v_cmp_eq_u32_e32 vcc, 29, v0
	v_cndmask_b32_e32 v131, v131, v63, vcc
	v_cmp_eq_u32_e32 vcc, 30, v0
	;; [unrolled: 2-line block ×3, first 2 shown]
	v_cndmask_b32_e32 v131, v131, v65, vcc
	s_waitcnt lgkmcnt(0)
	v_mul_f32_e32 v131, v131, v132
	s_cbranch_execz .LBB95_341
	s_branch .LBB95_342
.LBB95_340:
                                        ; implicit-def: $vgpr131
.LBB95_341:
	ds_read_b32 v131, v130
.LBB95_342:
	s_and_saveexec_b64 s[6:7], s[2:3]
	s_cbranch_execz .LBB95_352
; %bb.343:
	v_add_u32_e32 v132, -10, v0
	v_add_u32_e32 v133, -9, v0
	v_cmp_lt_u32_e32 vcc, 6, v132
	v_mov_b32_e32 v132, 9
	s_and_saveexec_b64 s[2:3], vcc
	s_cbranch_execz .LBB95_347
; %bb.344:
	v_and_b32_e32 v132, -8, v133
	v_sub_u32_e32 v134, 0, v132
	s_mov_b64 s[8:9], 16
	s_movk_i32 s12, 0xa4
	s_mov_b64 s[10:11], 0
.LBB95_345:                             ; =>This Inner Loop Header: Depth=1
	s_add_i32 s13, s8, -7
	v_mov_b32_e32 v132, s12
	s_add_i32 s14, s8, -6
	s_set_gpr_idx_on s13, gpr_idx(SRC0)
	v_mov_b32_e32 v141, v34
	s_set_gpr_idx_off
	ds_read2_b32 v[135:136], v132 offset1:1
	s_add_i32 s15, s8, -5
	s_set_gpr_idx_on s14, gpr_idx(SRC0)
	v_mov_b32_e32 v142, v34
	s_set_gpr_idx_off
	s_add_i32 s16, s8, -4
	s_set_gpr_idx_on s15, gpr_idx(SRC0)
	v_mov_b32_e32 v143, v34
	s_set_gpr_idx_off
	ds_read2_b32 v[137:138], v132 offset0:2 offset1:3
	s_add_i32 s17, s8, -3
	s_set_gpr_idx_on s16, gpr_idx(SRC0)
	v_mov_b32_e32 v144, v34
	s_set_gpr_idx_off
	s_add_i32 s18, s8, -2
	s_set_gpr_idx_on s17, gpr_idx(SRC0)
	v_mov_b32_e32 v145, v34
	s_set_gpr_idx_off
	ds_read2_b32 v[139:140], v132 offset0:4 offset1:5
	s_add_i32 s19, s8, -1
	s_waitcnt lgkmcnt(2)
	v_fmac_f32_e32 v131, v141, v135
	s_set_gpr_idx_on s18, gpr_idx(SRC0)
	v_mov_b32_e32 v141, v34
	s_set_gpr_idx_off
	v_fmac_f32_e32 v131, v142, v136
	s_set_gpr_idx_on s19, gpr_idx(SRC0)
	v_mov_b32_e32 v142, v34
	s_set_gpr_idx_off
	ds_read2_b32 v[135:136], v132 offset0:6 offset1:7
	s_waitcnt lgkmcnt(2)
	v_fmac_f32_e32 v131, v143, v137
	s_set_gpr_idx_on s8, gpr_idx(SRC0)
	v_mov_b32_e32 v137, v34
	s_set_gpr_idx_off
	v_fmac_f32_e32 v131, v144, v138
	s_add_u32 s8, s8, 8
	s_waitcnt lgkmcnt(1)
	v_fmac_f32_e32 v131, v145, v139
	v_add_u32_e32 v132, s8, v134
	v_fmac_f32_e32 v131, v141, v140
	s_addc_u32 s9, s9, 0
	s_add_i32 s12, s12, 32
	s_add_i32 s13, s8, -7
	v_cmp_eq_u32_e32 vcc, 16, v132
	s_waitcnt lgkmcnt(0)
	v_fmac_f32_e32 v131, v142, v135
	v_mov_b32_e32 v132, s13
	s_or_b64 s[10:11], vcc, s[10:11]
	v_fmac_f32_e32 v131, v137, v136
	s_andn2_b64 exec, exec, s[10:11]
	s_cbranch_execnz .LBB95_345
; %bb.346:
	s_or_b64 exec, exec, s[10:11]
.LBB95_347:
	s_or_b64 exec, exec, s[2:3]
	v_and_b32_e32 v133, 7, v133
	v_cmp_ne_u32_e32 vcc, 0, v133
	s_and_saveexec_b64 s[8:9], vcc
	s_cbranch_execz .LBB95_351
; %bb.348:
	v_mov_b32_e32 v134, 0x80
	v_lshl_add_u32 v134, v132, 2, v134
	v_mov_b32_e32 v135, 0
	s_mov_b64 s[10:11], 0
.LBB95_349:                             ; =>This Inner Loop Header: Depth=1
	v_cmp_eq_u32_e32 vcc, 1, v132
	v_cndmask_b32_e32 v136, v34, v35, vcc
	v_add_u32_e32 v133, -1, v133
	v_cmp_eq_u32_e32 vcc, 2, v132
	v_cndmask_b32_e32 v136, v136, v36, vcc
	v_cmp_eq_u32_e32 vcc, 0, v133
	v_cmp_eq_u32_e64 s[2:3], 3, v132
	v_cndmask_b32_e64 v136, v136, v37, s[2:3]
	s_or_b64 s[10:11], vcc, s[10:11]
	v_cmp_eq_u32_e32 vcc, 4, v132
	v_cndmask_b32_e32 v136, v136, v38, vcc
	v_cmp_eq_u32_e32 vcc, 5, v132
	v_cndmask_b32_e32 v136, v136, v39, vcc
	;; [unrolled: 2-line block ×23, first 2 shown]
	v_cmp_eq_u32_e32 vcc, 27, v132
	ds_read_b32 v137, v134
	v_cndmask_b32_e32 v136, v136, v61, vcc
	v_cmp_eq_u32_e32 vcc, 28, v132
	v_cndmask_b32_e32 v136, v136, v62, vcc
	v_cmp_eq_u32_e32 vcc, 29, v132
	;; [unrolled: 2-line block ×4, first 2 shown]
	v_add_co_u32_e64 v132, s[2:3], 1, v132
	v_cndmask_b32_e32 v136, v136, v65, vcc
	v_add_u32_e32 v134, 4, v134
	v_addc_co_u32_e64 v135, s[2:3], 0, v135, s[2:3]
	s_waitcnt lgkmcnt(0)
	v_fmac_f32_e32 v131, v136, v137
	s_andn2_b64 exec, exec, s[10:11]
	s_cbranch_execnz .LBB95_349
; %bb.350:
	s_or_b64 exec, exec, s[10:11]
.LBB95_351:
	s_or_b64 exec, exec, s[8:9]
.LBB95_352:
	s_or_b64 exec, exec, s[6:7]
	v_mov_b32_e32 v42, 0
	ds_read_b32 v42, v42 offset:32
	s_waitcnt lgkmcnt(0)
	v_mul_f32_e32 v42, v131, v42
.LBB95_353:
	s_or_b64 exec, exec, s[4:5]
	v_cmp_lt_u32_e64 s[2:3], 7, v0
	ds_write_b32 v130, v41
	s_waitcnt lgkmcnt(0)
	; wave barrier
	s_and_saveexec_b64 s[4:5], s[2:3]
	s_cbranch_execz .LBB95_369
; %bb.354:
	s_andn2_b64 vcc, exec, s[66:67]
	s_cbranch_vccnz .LBB95_356
; %bb.355:
	v_cmp_eq_u32_e32 vcc, 1, v0
	v_cndmask_b32_e32 v131, v34, v35, vcc
	v_cmp_eq_u32_e32 vcc, 2, v0
	v_cndmask_b32_e32 v131, v131, v36, vcc
	;; [unrolled: 2-line block ×27, first 2 shown]
	v_cmp_eq_u32_e32 vcc, 28, v0
	ds_read_b32 v132, v130
	v_cndmask_b32_e32 v131, v131, v62, vcc
	v_cmp_eq_u32_e32 vcc, 29, v0
	v_cndmask_b32_e32 v131, v131, v63, vcc
	v_cmp_eq_u32_e32 vcc, 30, v0
	;; [unrolled: 2-line block ×3, first 2 shown]
	v_cndmask_b32_e32 v131, v131, v65, vcc
	s_waitcnt lgkmcnt(0)
	v_mul_f32_e32 v131, v131, v132
	s_cbranch_execz .LBB95_357
	s_branch .LBB95_358
.LBB95_356:
                                        ; implicit-def: $vgpr131
.LBB95_357:
	ds_read_b32 v131, v130
.LBB95_358:
	s_and_saveexec_b64 s[6:7], s[0:1]
	s_cbranch_execz .LBB95_368
; %bb.359:
	v_add_u32_e32 v132, -9, v0
	v_cmp_lt_u32_e32 vcc, 6, v132
	v_mov_b32_e32 v132, 8
	s_and_saveexec_b64 s[0:1], vcc
	s_cbranch_execz .LBB95_363
; %bb.360:
	v_and_b32_e32 v132, 24, v0
	v_sub_u32_e32 v133, 0, v132
	s_mov_b64 s[8:9], 15
	s_movk_i32 s12, 0xa0
	s_mov_b64 s[10:11], 0
.LBB95_361:                             ; =>This Inner Loop Header: Depth=1
	s_add_i32 s13, s8, -7
	v_mov_b32_e32 v132, s12
	s_add_i32 s14, s8, -6
	s_set_gpr_idx_on s13, gpr_idx(SRC0)
	v_mov_b32_e32 v142, v34
	s_set_gpr_idx_off
	s_add_i32 s15, s8, -5
	ds_read_b128 v[134:137], v132
	ds_read_b128 v[138:141], v132 offset:16
	s_set_gpr_idx_on s14, gpr_idx(SRC0)
	v_mov_b32_e32 v132, v34
	s_set_gpr_idx_off
	s_add_i32 s16, s8, -4
	s_set_gpr_idx_on s15, gpr_idx(SRC0)
	v_mov_b32_e32 v143, v34
	s_set_gpr_idx_off
	s_add_i32 s17, s8, -3
	;; [unrolled: 4-line block ×4, first 2 shown]
	s_waitcnt lgkmcnt(1)
	v_fmac_f32_e32 v131, v142, v134
	s_set_gpr_idx_on s18, gpr_idx(SRC0)
	v_mov_b32_e32 v134, v34
	s_set_gpr_idx_off
	v_fmac_f32_e32 v131, v132, v135
	s_set_gpr_idx_on s19, gpr_idx(SRC0)
	v_mov_b32_e32 v135, v34
	s_set_gpr_idx_off
	;; [unrolled: 4-line block ×3, first 2 shown]
	v_fmac_f32_e32 v131, v144, v137
	s_add_u32 s8, s8, 8
	s_waitcnt lgkmcnt(0)
	v_fmac_f32_e32 v131, v145, v138
	v_add_u32_e32 v132, s8, v133
	v_fmac_f32_e32 v131, v134, v139
	s_addc_u32 s9, s9, 0
	s_add_i32 s12, s12, 32
	s_add_i32 s13, s8, -7
	v_cmp_eq_u32_e32 vcc, 7, v132
	v_fmac_f32_e32 v131, v135, v140
	v_mov_b32_e32 v132, s13
	s_or_b64 s[10:11], vcc, s[10:11]
	v_fmac_f32_e32 v131, v136, v141
	s_andn2_b64 exec, exec, s[10:11]
	s_cbranch_execnz .LBB95_361
; %bb.362:
	s_or_b64 exec, exec, s[10:11]
.LBB95_363:
	s_or_b64 exec, exec, s[0:1]
	v_and_b32_e32 v133, 7, v0
	v_cmp_ne_u32_e32 vcc, 0, v133
	s_and_saveexec_b64 s[8:9], vcc
	s_cbranch_execz .LBB95_367
; %bb.364:
	v_mov_b32_e32 v134, 0x80
	v_lshl_add_u32 v134, v132, 2, v134
	v_mov_b32_e32 v135, 0
	s_mov_b64 s[10:11], 0
.LBB95_365:                             ; =>This Inner Loop Header: Depth=1
	v_cmp_eq_u32_e32 vcc, 1, v132
	v_cndmask_b32_e32 v136, v34, v35, vcc
	v_add_u32_e32 v133, -1, v133
	v_cmp_eq_u32_e32 vcc, 2, v132
	v_cndmask_b32_e32 v136, v136, v36, vcc
	v_cmp_eq_u32_e32 vcc, 0, v133
	v_cmp_eq_u32_e64 s[0:1], 3, v132
	v_cndmask_b32_e64 v136, v136, v37, s[0:1]
	s_or_b64 s[10:11], vcc, s[10:11]
	v_cmp_eq_u32_e32 vcc, 4, v132
	v_cndmask_b32_e32 v136, v136, v38, vcc
	v_cmp_eq_u32_e32 vcc, 5, v132
	v_cndmask_b32_e32 v136, v136, v39, vcc
	;; [unrolled: 2-line block ×23, first 2 shown]
	v_cmp_eq_u32_e32 vcc, 27, v132
	ds_read_b32 v137, v134
	v_cndmask_b32_e32 v136, v136, v61, vcc
	v_cmp_eq_u32_e32 vcc, 28, v132
	v_cndmask_b32_e32 v136, v136, v62, vcc
	v_cmp_eq_u32_e32 vcc, 29, v132
	;; [unrolled: 2-line block ×4, first 2 shown]
	v_add_co_u32_e64 v132, s[0:1], 1, v132
	v_cndmask_b32_e32 v136, v136, v65, vcc
	v_add_u32_e32 v134, 4, v134
	v_addc_co_u32_e64 v135, s[0:1], 0, v135, s[0:1]
	s_waitcnt lgkmcnt(0)
	v_fmac_f32_e32 v131, v136, v137
	s_andn2_b64 exec, exec, s[10:11]
	s_cbranch_execnz .LBB95_365
; %bb.366:
	s_or_b64 exec, exec, s[10:11]
.LBB95_367:
	s_or_b64 exec, exec, s[8:9]
.LBB95_368:
	s_or_b64 exec, exec, s[6:7]
	v_mov_b32_e32 v41, 0
	ds_read_b32 v41, v41 offset:28
	s_waitcnt lgkmcnt(0)
	v_mul_f32_e32 v41, v131, v41
.LBB95_369:
	s_or_b64 exec, exec, s[4:5]
	v_cmp_lt_u32_e64 s[0:1], 6, v0
	ds_write_b32 v130, v40
	s_waitcnt lgkmcnt(0)
	; wave barrier
	s_and_saveexec_b64 s[4:5], s[0:1]
	s_cbranch_execz .LBB95_385
; %bb.370:
	s_andn2_b64 vcc, exec, s[66:67]
	s_cbranch_vccnz .LBB95_372
; %bb.371:
	v_cmp_eq_u32_e32 vcc, 1, v0
	v_cndmask_b32_e32 v131, v34, v35, vcc
	v_cmp_eq_u32_e32 vcc, 2, v0
	v_cndmask_b32_e32 v131, v131, v36, vcc
	;; [unrolled: 2-line block ×27, first 2 shown]
	v_cmp_eq_u32_e32 vcc, 28, v0
	ds_read_b32 v132, v130
	v_cndmask_b32_e32 v131, v131, v62, vcc
	v_cmp_eq_u32_e32 vcc, 29, v0
	v_cndmask_b32_e32 v131, v131, v63, vcc
	v_cmp_eq_u32_e32 vcc, 30, v0
	;; [unrolled: 2-line block ×3, first 2 shown]
	v_cndmask_b32_e32 v131, v131, v65, vcc
	s_waitcnt lgkmcnt(0)
	v_mul_f32_e32 v131, v131, v132
	s_cbranch_execz .LBB95_373
	s_branch .LBB95_374
.LBB95_372:
                                        ; implicit-def: $vgpr131
.LBB95_373:
	ds_read_b32 v131, v130
.LBB95_374:
	s_and_saveexec_b64 s[6:7], s[2:3]
	s_cbranch_execz .LBB95_384
; %bb.375:
	v_add_u32_e32 v132, -8, v0
	v_add_u32_e32 v133, -7, v0
	v_cmp_lt_u32_e32 vcc, 6, v132
	v_mov_b32_e32 v132, 7
	s_and_saveexec_b64 s[2:3], vcc
	s_cbranch_execz .LBB95_379
; %bb.376:
	v_and_b32_e32 v132, -8, v133
	v_sub_u32_e32 v134, 0, v132
	s_mov_b64 s[8:9], 14
	s_movk_i32 s12, 0x9c
	s_mov_b64 s[10:11], 0
.LBB95_377:                             ; =>This Inner Loop Header: Depth=1
	s_add_i32 s13, s8, -7
	v_mov_b32_e32 v132, s12
	s_add_i32 s14, s8, -6
	s_set_gpr_idx_on s13, gpr_idx(SRC0)
	v_mov_b32_e32 v141, v34
	s_set_gpr_idx_off
	ds_read2_b32 v[135:136], v132 offset1:1
	s_add_i32 s15, s8, -5
	s_set_gpr_idx_on s14, gpr_idx(SRC0)
	v_mov_b32_e32 v142, v34
	s_set_gpr_idx_off
	s_add_i32 s16, s8, -4
	s_set_gpr_idx_on s15, gpr_idx(SRC0)
	v_mov_b32_e32 v143, v34
	s_set_gpr_idx_off
	ds_read2_b32 v[137:138], v132 offset0:2 offset1:3
	s_add_i32 s17, s8, -3
	s_set_gpr_idx_on s16, gpr_idx(SRC0)
	v_mov_b32_e32 v144, v34
	s_set_gpr_idx_off
	s_add_i32 s18, s8, -2
	s_set_gpr_idx_on s17, gpr_idx(SRC0)
	v_mov_b32_e32 v145, v34
	s_set_gpr_idx_off
	ds_read2_b32 v[139:140], v132 offset0:4 offset1:5
	s_add_i32 s19, s8, -1
	s_waitcnt lgkmcnt(2)
	v_fmac_f32_e32 v131, v141, v135
	s_set_gpr_idx_on s18, gpr_idx(SRC0)
	v_mov_b32_e32 v141, v34
	s_set_gpr_idx_off
	v_fmac_f32_e32 v131, v142, v136
	s_set_gpr_idx_on s19, gpr_idx(SRC0)
	v_mov_b32_e32 v142, v34
	s_set_gpr_idx_off
	ds_read2_b32 v[135:136], v132 offset0:6 offset1:7
	s_waitcnt lgkmcnt(2)
	v_fmac_f32_e32 v131, v143, v137
	s_set_gpr_idx_on s8, gpr_idx(SRC0)
	v_mov_b32_e32 v137, v34
	s_set_gpr_idx_off
	v_fmac_f32_e32 v131, v144, v138
	s_add_u32 s8, s8, 8
	s_waitcnt lgkmcnt(1)
	v_fmac_f32_e32 v131, v145, v139
	v_add_u32_e32 v132, s8, v134
	v_fmac_f32_e32 v131, v141, v140
	s_addc_u32 s9, s9, 0
	s_add_i32 s12, s12, 32
	s_add_i32 s13, s8, -7
	v_cmp_eq_u32_e32 vcc, 14, v132
	s_waitcnt lgkmcnt(0)
	v_fmac_f32_e32 v131, v142, v135
	v_mov_b32_e32 v132, s13
	s_or_b64 s[10:11], vcc, s[10:11]
	v_fmac_f32_e32 v131, v137, v136
	s_andn2_b64 exec, exec, s[10:11]
	s_cbranch_execnz .LBB95_377
; %bb.378:
	s_or_b64 exec, exec, s[10:11]
.LBB95_379:
	s_or_b64 exec, exec, s[2:3]
	v_and_b32_e32 v133, 7, v133
	v_cmp_ne_u32_e32 vcc, 0, v133
	s_and_saveexec_b64 s[8:9], vcc
	s_cbranch_execz .LBB95_383
; %bb.380:
	v_mov_b32_e32 v134, 0x80
	v_lshl_add_u32 v134, v132, 2, v134
	v_mov_b32_e32 v135, 0
	s_mov_b64 s[10:11], 0
.LBB95_381:                             ; =>This Inner Loop Header: Depth=1
	v_cmp_eq_u32_e32 vcc, 1, v132
	v_cndmask_b32_e32 v136, v34, v35, vcc
	v_add_u32_e32 v133, -1, v133
	v_cmp_eq_u32_e32 vcc, 2, v132
	v_cndmask_b32_e32 v136, v136, v36, vcc
	v_cmp_eq_u32_e32 vcc, 0, v133
	v_cmp_eq_u32_e64 s[2:3], 3, v132
	v_cndmask_b32_e64 v136, v136, v37, s[2:3]
	s_or_b64 s[10:11], vcc, s[10:11]
	v_cmp_eq_u32_e32 vcc, 4, v132
	v_cndmask_b32_e32 v136, v136, v38, vcc
	v_cmp_eq_u32_e32 vcc, 5, v132
	v_cndmask_b32_e32 v136, v136, v39, vcc
	;; [unrolled: 2-line block ×23, first 2 shown]
	v_cmp_eq_u32_e32 vcc, 27, v132
	ds_read_b32 v137, v134
	v_cndmask_b32_e32 v136, v136, v61, vcc
	v_cmp_eq_u32_e32 vcc, 28, v132
	v_cndmask_b32_e32 v136, v136, v62, vcc
	v_cmp_eq_u32_e32 vcc, 29, v132
	;; [unrolled: 2-line block ×4, first 2 shown]
	v_add_co_u32_e64 v132, s[2:3], 1, v132
	v_cndmask_b32_e32 v136, v136, v65, vcc
	v_add_u32_e32 v134, 4, v134
	v_addc_co_u32_e64 v135, s[2:3], 0, v135, s[2:3]
	s_waitcnt lgkmcnt(0)
	v_fmac_f32_e32 v131, v136, v137
	s_andn2_b64 exec, exec, s[10:11]
	s_cbranch_execnz .LBB95_381
; %bb.382:
	s_or_b64 exec, exec, s[10:11]
.LBB95_383:
	s_or_b64 exec, exec, s[8:9]
.LBB95_384:
	s_or_b64 exec, exec, s[6:7]
	v_mov_b32_e32 v40, 0
	ds_read_b32 v40, v40 offset:24
	s_waitcnt lgkmcnt(0)
	v_mul_f32_e32 v40, v131, v40
.LBB95_385:
	s_or_b64 exec, exec, s[4:5]
	v_cmp_lt_u32_e64 s[2:3], 5, v0
	ds_write_b32 v130, v39
	s_waitcnt lgkmcnt(0)
	; wave barrier
	s_and_saveexec_b64 s[4:5], s[2:3]
	s_cbranch_execz .LBB95_401
; %bb.386:
	s_andn2_b64 vcc, exec, s[66:67]
	s_cbranch_vccnz .LBB95_388
; %bb.387:
	v_cmp_eq_u32_e32 vcc, 1, v0
	v_cndmask_b32_e32 v131, v34, v35, vcc
	v_cmp_eq_u32_e32 vcc, 2, v0
	v_cndmask_b32_e32 v131, v131, v36, vcc
	;; [unrolled: 2-line block ×27, first 2 shown]
	v_cmp_eq_u32_e32 vcc, 28, v0
	ds_read_b32 v132, v130
	v_cndmask_b32_e32 v131, v131, v62, vcc
	v_cmp_eq_u32_e32 vcc, 29, v0
	v_cndmask_b32_e32 v131, v131, v63, vcc
	v_cmp_eq_u32_e32 vcc, 30, v0
	;; [unrolled: 2-line block ×3, first 2 shown]
	v_cndmask_b32_e32 v131, v131, v65, vcc
	s_waitcnt lgkmcnt(0)
	v_mul_f32_e32 v131, v131, v132
	s_cbranch_execz .LBB95_389
	s_branch .LBB95_390
.LBB95_388:
                                        ; implicit-def: $vgpr131
.LBB95_389:
	ds_read_b32 v131, v130
.LBB95_390:
	s_and_saveexec_b64 s[6:7], s[0:1]
	s_cbranch_execz .LBB95_400
; %bb.391:
	v_add_u32_e32 v134, -7, v0
	v_add_u32_e32 v133, -6, v0
	v_mov_b32_e32 v132, 6
	v_cmp_lt_u32_e32 vcc, 6, v134
	s_and_saveexec_b64 s[0:1], vcc
	s_cbranch_execz .LBB95_395
; %bb.392:
	v_and_b32_e32 v132, -8, v133
	v_sub_u32_e32 v134, 0, v132
	s_mov_b64 s[8:9], 13
	s_movk_i32 s12, 0x98
	s_mov_b64 s[10:11], 0
.LBB95_393:                             ; =>This Inner Loop Header: Depth=1
	s_add_i32 s13, s8, -7
	v_mov_b32_e32 v132, s12
	s_add_i32 s14, s8, -6
	s_set_gpr_idx_on s13, gpr_idx(SRC0)
	v_mov_b32_e32 v143, v34
	s_set_gpr_idx_off
	ds_read2_b64 v[135:138], v132 offset1:1
	s_add_i32 s15, s8, -5
	s_set_gpr_idx_on s14, gpr_idx(SRC0)
	v_mov_b32_e32 v144, v34
	s_set_gpr_idx_off
	s_add_i32 s16, s8, -4
	s_set_gpr_idx_on s15, gpr_idx(SRC0)
	v_mov_b32_e32 v145, v34
	s_set_gpr_idx_off
	;; [unrolled: 4-line block ×4, first 2 shown]
	ds_read2_b64 v[139:142], v132 offset0:2 offset1:3
	s_add_i32 s19, s8, -1
	s_waitcnt lgkmcnt(1)
	v_fmac_f32_e32 v131, v143, v135
	s_set_gpr_idx_on s18, gpr_idx(SRC0)
	v_mov_b32_e32 v135, v34
	s_set_gpr_idx_off
	v_fmac_f32_e32 v131, v144, v136
	s_set_gpr_idx_on s19, gpr_idx(SRC0)
	v_mov_b32_e32 v136, v34
	s_set_gpr_idx_off
	;; [unrolled: 4-line block ×3, first 2 shown]
	v_fmac_f32_e32 v131, v146, v138
	s_add_u32 s8, s8, 8
	s_waitcnt lgkmcnt(0)
	v_fmac_f32_e32 v131, v147, v139
	v_add_u32_e32 v132, s8, v134
	v_fmac_f32_e32 v131, v135, v140
	s_addc_u32 s9, s9, 0
	s_add_i32 s12, s12, 32
	s_add_i32 s13, s8, -7
	v_cmp_eq_u32_e32 vcc, 13, v132
	v_fmac_f32_e32 v131, v136, v141
	v_mov_b32_e32 v132, s13
	s_or_b64 s[10:11], vcc, s[10:11]
	v_fmac_f32_e32 v131, v137, v142
	s_andn2_b64 exec, exec, s[10:11]
	s_cbranch_execnz .LBB95_393
; %bb.394:
	s_or_b64 exec, exec, s[10:11]
.LBB95_395:
	s_or_b64 exec, exec, s[0:1]
	v_and_b32_e32 v133, 7, v133
	v_cmp_ne_u32_e32 vcc, 0, v133
	s_and_saveexec_b64 s[8:9], vcc
	s_cbranch_execz .LBB95_399
; %bb.396:
	v_mov_b32_e32 v134, 0x80
	v_lshl_add_u32 v134, v132, 2, v134
	v_mov_b32_e32 v135, 0
	s_mov_b64 s[10:11], 0
.LBB95_397:                             ; =>This Inner Loop Header: Depth=1
	v_cmp_eq_u32_e32 vcc, 1, v132
	v_cndmask_b32_e32 v136, v34, v35, vcc
	v_add_u32_e32 v133, -1, v133
	v_cmp_eq_u32_e32 vcc, 2, v132
	v_cndmask_b32_e32 v136, v136, v36, vcc
	v_cmp_eq_u32_e32 vcc, 0, v133
	v_cmp_eq_u32_e64 s[0:1], 3, v132
	v_cndmask_b32_e64 v136, v136, v37, s[0:1]
	s_or_b64 s[10:11], vcc, s[10:11]
	v_cmp_eq_u32_e32 vcc, 4, v132
	v_cndmask_b32_e32 v136, v136, v38, vcc
	v_cmp_eq_u32_e32 vcc, 5, v132
	v_cndmask_b32_e32 v136, v136, v39, vcc
	;; [unrolled: 2-line block ×23, first 2 shown]
	v_cmp_eq_u32_e32 vcc, 27, v132
	ds_read_b32 v137, v134
	v_cndmask_b32_e32 v136, v136, v61, vcc
	v_cmp_eq_u32_e32 vcc, 28, v132
	v_cndmask_b32_e32 v136, v136, v62, vcc
	v_cmp_eq_u32_e32 vcc, 29, v132
	;; [unrolled: 2-line block ×4, first 2 shown]
	v_add_co_u32_e64 v132, s[0:1], 1, v132
	v_cndmask_b32_e32 v136, v136, v65, vcc
	v_add_u32_e32 v134, 4, v134
	v_addc_co_u32_e64 v135, s[0:1], 0, v135, s[0:1]
	s_waitcnt lgkmcnt(0)
	v_fmac_f32_e32 v131, v136, v137
	s_andn2_b64 exec, exec, s[10:11]
	s_cbranch_execnz .LBB95_397
; %bb.398:
	s_or_b64 exec, exec, s[10:11]
.LBB95_399:
	s_or_b64 exec, exec, s[8:9]
.LBB95_400:
	s_or_b64 exec, exec, s[6:7]
	v_mov_b32_e32 v39, 0
	ds_read_b32 v39, v39 offset:20
	s_waitcnt lgkmcnt(0)
	v_mul_f32_e32 v39, v131, v39
.LBB95_401:
	s_or_b64 exec, exec, s[4:5]
	v_cmp_lt_u32_e64 s[0:1], 4, v0
	ds_write_b32 v130, v38
	s_waitcnt lgkmcnt(0)
	; wave barrier
	s_and_saveexec_b64 s[4:5], s[0:1]
	s_cbranch_execz .LBB95_417
; %bb.402:
	s_andn2_b64 vcc, exec, s[66:67]
	s_cbranch_vccnz .LBB95_404
; %bb.403:
	v_cmp_eq_u32_e32 vcc, 1, v0
	v_cndmask_b32_e32 v131, v34, v35, vcc
	v_cmp_eq_u32_e32 vcc, 2, v0
	v_cndmask_b32_e32 v131, v131, v36, vcc
	;; [unrolled: 2-line block ×27, first 2 shown]
	v_cmp_eq_u32_e32 vcc, 28, v0
	ds_read_b32 v132, v130
	v_cndmask_b32_e32 v131, v131, v62, vcc
	v_cmp_eq_u32_e32 vcc, 29, v0
	v_cndmask_b32_e32 v131, v131, v63, vcc
	v_cmp_eq_u32_e32 vcc, 30, v0
	v_cndmask_b32_e32 v131, v131, v64, vcc
	v_cmp_eq_u32_e32 vcc, 31, v0
	v_cndmask_b32_e32 v131, v131, v65, vcc
	s_waitcnt lgkmcnt(0)
	v_mul_f32_e32 v131, v131, v132
	s_cbranch_execz .LBB95_405
	s_branch .LBB95_406
.LBB95_404:
                                        ; implicit-def: $vgpr131
.LBB95_405:
	ds_read_b32 v131, v130
.LBB95_406:
	s_and_saveexec_b64 s[6:7], s[2:3]
	s_cbranch_execz .LBB95_416
; %bb.407:
	v_add_u32_e32 v132, -6, v0
	v_add_u32_e32 v133, -5, v0
	v_cmp_lt_u32_e32 vcc, 6, v132
	v_mov_b32_e32 v132, 5
	s_and_saveexec_b64 s[2:3], vcc
	s_cbranch_execz .LBB95_411
; %bb.408:
	v_and_b32_e32 v132, -8, v133
	v_sub_u32_e32 v134, 0, v132
	s_mov_b64 s[8:9], 12
	s_movk_i32 s12, 0x94
	s_mov_b64 s[10:11], 0
.LBB95_409:                             ; =>This Inner Loop Header: Depth=1
	s_add_i32 s13, s8, -7
	v_mov_b32_e32 v132, s12
	s_add_i32 s14, s8, -6
	s_set_gpr_idx_on s13, gpr_idx(SRC0)
	v_mov_b32_e32 v141, v34
	s_set_gpr_idx_off
	ds_read2_b32 v[135:136], v132 offset1:1
	s_add_i32 s15, s8, -5
	s_set_gpr_idx_on s14, gpr_idx(SRC0)
	v_mov_b32_e32 v142, v34
	s_set_gpr_idx_off
	s_add_i32 s16, s8, -4
	s_set_gpr_idx_on s15, gpr_idx(SRC0)
	v_mov_b32_e32 v143, v34
	s_set_gpr_idx_off
	ds_read2_b32 v[137:138], v132 offset0:2 offset1:3
	s_add_i32 s17, s8, -3
	s_set_gpr_idx_on s16, gpr_idx(SRC0)
	v_mov_b32_e32 v144, v34
	s_set_gpr_idx_off
	s_add_i32 s18, s8, -2
	s_set_gpr_idx_on s17, gpr_idx(SRC0)
	v_mov_b32_e32 v145, v34
	s_set_gpr_idx_off
	ds_read2_b32 v[139:140], v132 offset0:4 offset1:5
	s_add_i32 s19, s8, -1
	s_waitcnt lgkmcnt(2)
	v_fmac_f32_e32 v131, v141, v135
	s_set_gpr_idx_on s18, gpr_idx(SRC0)
	v_mov_b32_e32 v141, v34
	s_set_gpr_idx_off
	v_fmac_f32_e32 v131, v142, v136
	s_set_gpr_idx_on s19, gpr_idx(SRC0)
	v_mov_b32_e32 v142, v34
	s_set_gpr_idx_off
	ds_read2_b32 v[135:136], v132 offset0:6 offset1:7
	s_waitcnt lgkmcnt(2)
	v_fmac_f32_e32 v131, v143, v137
	s_set_gpr_idx_on s8, gpr_idx(SRC0)
	v_mov_b32_e32 v137, v34
	s_set_gpr_idx_off
	v_fmac_f32_e32 v131, v144, v138
	s_add_u32 s8, s8, 8
	s_waitcnt lgkmcnt(1)
	v_fmac_f32_e32 v131, v145, v139
	v_add_u32_e32 v132, s8, v134
	v_fmac_f32_e32 v131, v141, v140
	s_addc_u32 s9, s9, 0
	s_add_i32 s12, s12, 32
	s_add_i32 s13, s8, -7
	v_cmp_eq_u32_e32 vcc, 12, v132
	s_waitcnt lgkmcnt(0)
	v_fmac_f32_e32 v131, v142, v135
	v_mov_b32_e32 v132, s13
	s_or_b64 s[10:11], vcc, s[10:11]
	v_fmac_f32_e32 v131, v137, v136
	s_andn2_b64 exec, exec, s[10:11]
	s_cbranch_execnz .LBB95_409
; %bb.410:
	s_or_b64 exec, exec, s[10:11]
.LBB95_411:
	s_or_b64 exec, exec, s[2:3]
	v_and_b32_e32 v133, 7, v133
	v_cmp_ne_u32_e32 vcc, 0, v133
	s_and_saveexec_b64 s[8:9], vcc
	s_cbranch_execz .LBB95_415
; %bb.412:
	v_mov_b32_e32 v134, 0x80
	v_lshl_add_u32 v134, v132, 2, v134
	v_mov_b32_e32 v135, 0
	s_mov_b64 s[10:11], 0
.LBB95_413:                             ; =>This Inner Loop Header: Depth=1
	v_cmp_eq_u32_e32 vcc, 1, v132
	v_cndmask_b32_e32 v136, v34, v35, vcc
	v_add_u32_e32 v133, -1, v133
	v_cmp_eq_u32_e32 vcc, 2, v132
	v_cndmask_b32_e32 v136, v136, v36, vcc
	v_cmp_eq_u32_e32 vcc, 0, v133
	v_cmp_eq_u32_e64 s[2:3], 3, v132
	v_cndmask_b32_e64 v136, v136, v37, s[2:3]
	s_or_b64 s[10:11], vcc, s[10:11]
	v_cmp_eq_u32_e32 vcc, 4, v132
	v_cndmask_b32_e32 v136, v136, v38, vcc
	v_cmp_eq_u32_e32 vcc, 5, v132
	v_cndmask_b32_e32 v136, v136, v39, vcc
	;; [unrolled: 2-line block ×23, first 2 shown]
	v_cmp_eq_u32_e32 vcc, 27, v132
	ds_read_b32 v137, v134
	v_cndmask_b32_e32 v136, v136, v61, vcc
	v_cmp_eq_u32_e32 vcc, 28, v132
	v_cndmask_b32_e32 v136, v136, v62, vcc
	v_cmp_eq_u32_e32 vcc, 29, v132
	;; [unrolled: 2-line block ×4, first 2 shown]
	v_add_co_u32_e64 v132, s[2:3], 1, v132
	v_cndmask_b32_e32 v136, v136, v65, vcc
	v_add_u32_e32 v134, 4, v134
	v_addc_co_u32_e64 v135, s[2:3], 0, v135, s[2:3]
	s_waitcnt lgkmcnt(0)
	v_fmac_f32_e32 v131, v136, v137
	s_andn2_b64 exec, exec, s[10:11]
	s_cbranch_execnz .LBB95_413
; %bb.414:
	s_or_b64 exec, exec, s[10:11]
.LBB95_415:
	s_or_b64 exec, exec, s[8:9]
.LBB95_416:
	s_or_b64 exec, exec, s[6:7]
	v_mov_b32_e32 v38, 0
	ds_read_b32 v38, v38 offset:16
	s_waitcnt lgkmcnt(0)
	v_mul_f32_e32 v38, v131, v38
.LBB95_417:
	s_or_b64 exec, exec, s[4:5]
	v_cmp_lt_u32_e64 s[2:3], 3, v0
	ds_write_b32 v130, v37
	s_waitcnt lgkmcnt(0)
	; wave barrier
	s_and_saveexec_b64 s[4:5], s[2:3]
	s_cbranch_execz .LBB95_433
; %bb.418:
	s_andn2_b64 vcc, exec, s[66:67]
	s_cbranch_vccnz .LBB95_420
; %bb.419:
	v_cmp_eq_u32_e32 vcc, 1, v0
	v_cndmask_b32_e32 v131, v34, v35, vcc
	v_cmp_eq_u32_e32 vcc, 2, v0
	v_cndmask_b32_e32 v131, v131, v36, vcc
	;; [unrolled: 2-line block ×27, first 2 shown]
	v_cmp_eq_u32_e32 vcc, 28, v0
	ds_read_b32 v132, v130
	v_cndmask_b32_e32 v131, v131, v62, vcc
	v_cmp_eq_u32_e32 vcc, 29, v0
	v_cndmask_b32_e32 v131, v131, v63, vcc
	v_cmp_eq_u32_e32 vcc, 30, v0
	;; [unrolled: 2-line block ×3, first 2 shown]
	v_cndmask_b32_e32 v131, v131, v65, vcc
	s_waitcnt lgkmcnt(0)
	v_mul_f32_e32 v131, v131, v132
	s_cbranch_execz .LBB95_421
	s_branch .LBB95_422
.LBB95_420:
                                        ; implicit-def: $vgpr131
.LBB95_421:
	ds_read_b32 v131, v130
.LBB95_422:
	s_and_saveexec_b64 s[6:7], s[0:1]
	s_cbranch_execz .LBB95_432
; %bb.423:
	v_add_u32_e32 v132, -5, v0
	v_add_u32_e32 v133, -4, v0
	v_cmp_lt_u32_e32 vcc, 6, v132
	v_mov_b32_e32 v132, 4
	s_and_saveexec_b64 s[0:1], vcc
	s_cbranch_execz .LBB95_427
; %bb.424:
	v_and_b32_e32 v132, -8, v133
	v_sub_u32_e32 v134, 0, v132
	s_mov_b64 s[8:9], 5
	s_movk_i32 s12, 0x90
	s_mov_b64 s[10:11], 0
.LBB95_425:                             ; =>This Inner Loop Header: Depth=1
	s_add_i32 s13, s8, -1
	v_mov_b32_e32 v132, s12
	s_set_gpr_idx_on s13, gpr_idx(SRC0)
	v_mov_b32_e32 v143, v34
	s_set_gpr_idx_off
	s_add_i32 s14, s8, 1
	ds_read_b128 v[135:138], v132
	ds_read_b128 v[139:142], v132 offset:16
	s_set_gpr_idx_on s8, gpr_idx(SRC0)
	v_mov_b32_e32 v144, v34
	s_set_gpr_idx_off
	s_add_i32 s15, s8, 2
	s_set_gpr_idx_on s14, gpr_idx(SRC0)
	v_mov_b32_e32 v145, v34
	s_set_gpr_idx_off
	s_add_i32 s16, s8, 3
	;; [unrolled: 4-line block ×4, first 2 shown]
	s_waitcnt lgkmcnt(1)
	v_fmac_f32_e32 v131, v143, v135
	s_set_gpr_idx_on s17, gpr_idx(SRC0)
	v_mov_b32_e32 v135, v34
	s_set_gpr_idx_off
	s_add_i32 s19, s8, 6
	v_fmac_f32_e32 v131, v144, v136
	s_set_gpr_idx_on s18, gpr_idx(SRC0)
	v_mov_b32_e32 v136, v34
	s_set_gpr_idx_off
	v_fmac_f32_e32 v131, v145, v137
	s_set_gpr_idx_on s19, gpr_idx(SRC0)
	v_mov_b32_e32 v137, v34
	s_set_gpr_idx_off
	v_fmac_f32_e32 v131, v146, v138
	s_add_u32 s8, s8, 8
	s_waitcnt lgkmcnt(0)
	v_fmac_f32_e32 v131, v147, v139
	v_add_u32_e32 v132, s8, v134
	v_fmac_f32_e32 v131, v135, v140
	s_addc_u32 s9, s9, 0
	s_add_i32 s12, s12, 32
	s_add_i32 s13, s8, -1
	v_cmp_eq_u32_e32 vcc, 5, v132
	v_fmac_f32_e32 v131, v136, v141
	v_mov_b32_e32 v132, s13
	s_or_b64 s[10:11], vcc, s[10:11]
	v_fmac_f32_e32 v131, v137, v142
	s_andn2_b64 exec, exec, s[10:11]
	s_cbranch_execnz .LBB95_425
; %bb.426:
	s_or_b64 exec, exec, s[10:11]
.LBB95_427:
	s_or_b64 exec, exec, s[0:1]
	v_and_b32_e32 v133, 7, v133
	v_cmp_ne_u32_e32 vcc, 0, v133
	s_and_saveexec_b64 s[8:9], vcc
	s_cbranch_execz .LBB95_431
; %bb.428:
	v_mov_b32_e32 v134, 0x80
	v_lshl_add_u32 v134, v132, 2, v134
	v_mov_b32_e32 v135, 0
	s_mov_b64 s[10:11], 0
.LBB95_429:                             ; =>This Inner Loop Header: Depth=1
	v_cmp_eq_u32_e32 vcc, 1, v132
	v_cndmask_b32_e32 v136, v34, v35, vcc
	v_add_u32_e32 v133, -1, v133
	v_cmp_eq_u32_e32 vcc, 2, v132
	v_cndmask_b32_e32 v136, v136, v36, vcc
	v_cmp_eq_u32_e32 vcc, 0, v133
	v_cmp_eq_u32_e64 s[0:1], 3, v132
	v_cndmask_b32_e64 v136, v136, v37, s[0:1]
	s_or_b64 s[10:11], vcc, s[10:11]
	v_cmp_eq_u32_e32 vcc, 4, v132
	v_cndmask_b32_e32 v136, v136, v38, vcc
	v_cmp_eq_u32_e32 vcc, 5, v132
	v_cndmask_b32_e32 v136, v136, v39, vcc
	;; [unrolled: 2-line block ×23, first 2 shown]
	v_cmp_eq_u32_e32 vcc, 27, v132
	ds_read_b32 v137, v134
	v_cndmask_b32_e32 v136, v136, v61, vcc
	v_cmp_eq_u32_e32 vcc, 28, v132
	v_cndmask_b32_e32 v136, v136, v62, vcc
	v_cmp_eq_u32_e32 vcc, 29, v132
	;; [unrolled: 2-line block ×4, first 2 shown]
	v_add_co_u32_e64 v132, s[0:1], 1, v132
	v_cndmask_b32_e32 v136, v136, v65, vcc
	v_add_u32_e32 v134, 4, v134
	v_addc_co_u32_e64 v135, s[0:1], 0, v135, s[0:1]
	s_waitcnt lgkmcnt(0)
	v_fmac_f32_e32 v131, v136, v137
	s_andn2_b64 exec, exec, s[10:11]
	s_cbranch_execnz .LBB95_429
; %bb.430:
	s_or_b64 exec, exec, s[10:11]
.LBB95_431:
	s_or_b64 exec, exec, s[8:9]
.LBB95_432:
	s_or_b64 exec, exec, s[6:7]
	v_mov_b32_e32 v37, 0
	ds_read_b32 v37, v37 offset:12
	s_waitcnt lgkmcnt(0)
	v_mul_f32_e32 v37, v131, v37
.LBB95_433:
	s_or_b64 exec, exec, s[4:5]
	v_cmp_lt_u32_e64 s[0:1], 2, v0
	ds_write_b32 v130, v36
	s_waitcnt lgkmcnt(0)
	; wave barrier
	s_and_saveexec_b64 s[4:5], s[0:1]
	s_cbranch_execz .LBB95_449
; %bb.434:
	s_andn2_b64 vcc, exec, s[66:67]
	s_cbranch_vccnz .LBB95_436
; %bb.435:
	v_cmp_eq_u32_e32 vcc, 1, v0
	v_cndmask_b32_e32 v131, v34, v35, vcc
	v_cmp_eq_u32_e32 vcc, 2, v0
	v_cndmask_b32_e32 v131, v131, v36, vcc
	;; [unrolled: 2-line block ×27, first 2 shown]
	v_cmp_eq_u32_e32 vcc, 28, v0
	ds_read_b32 v132, v130
	v_cndmask_b32_e32 v131, v131, v62, vcc
	v_cmp_eq_u32_e32 vcc, 29, v0
	v_cndmask_b32_e32 v131, v131, v63, vcc
	v_cmp_eq_u32_e32 vcc, 30, v0
	;; [unrolled: 2-line block ×3, first 2 shown]
	v_cndmask_b32_e32 v131, v131, v65, vcc
	s_waitcnt lgkmcnt(0)
	v_mul_f32_e32 v131, v131, v132
	s_cbranch_execz .LBB95_437
	s_branch .LBB95_438
.LBB95_436:
                                        ; implicit-def: $vgpr131
.LBB95_437:
	ds_read_b32 v131, v130
.LBB95_438:
	s_and_saveexec_b64 s[6:7], s[2:3]
	s_cbranch_execz .LBB95_448
; %bb.439:
	v_add_u32_e32 v132, -4, v0
	v_add_u32_e32 v133, -3, v0
	v_cmp_lt_u32_e32 vcc, 6, v132
	v_mov_b32_e32 v132, 3
	s_and_saveexec_b64 s[2:3], vcc
	s_cbranch_execz .LBB95_443
; %bb.440:
	v_and_b32_e32 v132, -8, v133
	v_sub_u32_e32 v134, 0, v132
	s_mov_b64 s[8:9], 10
	s_movk_i32 s12, 0x8c
	s_mov_b64 s[10:11], 0
.LBB95_441:                             ; =>This Inner Loop Header: Depth=1
	s_add_i32 s13, s8, -7
	v_mov_b32_e32 v132, s12
	s_add_i32 s14, s8, -6
	s_set_gpr_idx_on s13, gpr_idx(SRC0)
	v_mov_b32_e32 v141, v34
	s_set_gpr_idx_off
	ds_read2_b32 v[135:136], v132 offset1:1
	s_add_i32 s15, s8, -5
	s_set_gpr_idx_on s14, gpr_idx(SRC0)
	v_mov_b32_e32 v142, v34
	s_set_gpr_idx_off
	s_add_i32 s16, s8, -4
	s_set_gpr_idx_on s15, gpr_idx(SRC0)
	v_mov_b32_e32 v143, v34
	s_set_gpr_idx_off
	ds_read2_b32 v[137:138], v132 offset0:2 offset1:3
	s_add_i32 s17, s8, -3
	s_set_gpr_idx_on s16, gpr_idx(SRC0)
	v_mov_b32_e32 v144, v34
	s_set_gpr_idx_off
	s_add_i32 s18, s8, -2
	s_set_gpr_idx_on s17, gpr_idx(SRC0)
	v_mov_b32_e32 v145, v34
	s_set_gpr_idx_off
	ds_read2_b32 v[139:140], v132 offset0:4 offset1:5
	s_add_i32 s19, s8, -1
	s_waitcnt lgkmcnt(2)
	v_fmac_f32_e32 v131, v141, v135
	s_set_gpr_idx_on s18, gpr_idx(SRC0)
	v_mov_b32_e32 v141, v34
	s_set_gpr_idx_off
	v_fmac_f32_e32 v131, v142, v136
	s_set_gpr_idx_on s19, gpr_idx(SRC0)
	v_mov_b32_e32 v142, v34
	s_set_gpr_idx_off
	ds_read2_b32 v[135:136], v132 offset0:6 offset1:7
	s_waitcnt lgkmcnt(2)
	v_fmac_f32_e32 v131, v143, v137
	s_set_gpr_idx_on s8, gpr_idx(SRC0)
	v_mov_b32_e32 v137, v34
	s_set_gpr_idx_off
	v_fmac_f32_e32 v131, v144, v138
	s_add_u32 s8, s8, 8
	s_waitcnt lgkmcnt(1)
	v_fmac_f32_e32 v131, v145, v139
	v_add_u32_e32 v132, s8, v134
	v_fmac_f32_e32 v131, v141, v140
	s_addc_u32 s9, s9, 0
	s_add_i32 s12, s12, 32
	s_add_i32 s13, s8, -7
	v_cmp_eq_u32_e32 vcc, 10, v132
	s_waitcnt lgkmcnt(0)
	v_fmac_f32_e32 v131, v142, v135
	v_mov_b32_e32 v132, s13
	s_or_b64 s[10:11], vcc, s[10:11]
	v_fmac_f32_e32 v131, v137, v136
	s_andn2_b64 exec, exec, s[10:11]
	s_cbranch_execnz .LBB95_441
; %bb.442:
	s_or_b64 exec, exec, s[10:11]
.LBB95_443:
	s_or_b64 exec, exec, s[2:3]
	v_and_b32_e32 v133, 7, v133
	v_cmp_ne_u32_e32 vcc, 0, v133
	s_and_saveexec_b64 s[8:9], vcc
	s_cbranch_execz .LBB95_447
; %bb.444:
	v_mov_b32_e32 v134, 0x80
	v_lshl_add_u32 v134, v132, 2, v134
	v_mov_b32_e32 v135, 0
	s_mov_b64 s[10:11], 0
.LBB95_445:                             ; =>This Inner Loop Header: Depth=1
	v_cmp_eq_u32_e32 vcc, 1, v132
	v_cndmask_b32_e32 v136, v34, v35, vcc
	v_add_u32_e32 v133, -1, v133
	v_cmp_eq_u32_e32 vcc, 2, v132
	v_cndmask_b32_e32 v136, v136, v36, vcc
	v_cmp_eq_u32_e32 vcc, 0, v133
	v_cmp_eq_u32_e64 s[2:3], 3, v132
	v_cndmask_b32_e64 v136, v136, v37, s[2:3]
	s_or_b64 s[10:11], vcc, s[10:11]
	v_cmp_eq_u32_e32 vcc, 4, v132
	v_cndmask_b32_e32 v136, v136, v38, vcc
	v_cmp_eq_u32_e32 vcc, 5, v132
	v_cndmask_b32_e32 v136, v136, v39, vcc
	;; [unrolled: 2-line block ×23, first 2 shown]
	v_cmp_eq_u32_e32 vcc, 27, v132
	ds_read_b32 v137, v134
	v_cndmask_b32_e32 v136, v136, v61, vcc
	v_cmp_eq_u32_e32 vcc, 28, v132
	v_cndmask_b32_e32 v136, v136, v62, vcc
	v_cmp_eq_u32_e32 vcc, 29, v132
	;; [unrolled: 2-line block ×4, first 2 shown]
	v_add_co_u32_e64 v132, s[2:3], 1, v132
	v_cndmask_b32_e32 v136, v136, v65, vcc
	v_add_u32_e32 v134, 4, v134
	v_addc_co_u32_e64 v135, s[2:3], 0, v135, s[2:3]
	s_waitcnt lgkmcnt(0)
	v_fmac_f32_e32 v131, v136, v137
	s_andn2_b64 exec, exec, s[10:11]
	s_cbranch_execnz .LBB95_445
; %bb.446:
	s_or_b64 exec, exec, s[10:11]
.LBB95_447:
	s_or_b64 exec, exec, s[8:9]
.LBB95_448:
	s_or_b64 exec, exec, s[6:7]
	v_mov_b32_e32 v36, 0
	ds_read_b32 v36, v36 offset:8
	s_waitcnt lgkmcnt(0)
	v_mul_f32_e32 v36, v131, v36
.LBB95_449:
	s_or_b64 exec, exec, s[4:5]
	v_cmp_lt_u32_e64 s[2:3], 1, v0
	ds_write_b32 v130, v35
	s_waitcnt lgkmcnt(0)
	; wave barrier
	s_and_saveexec_b64 s[4:5], s[2:3]
	s_cbranch_execz .LBB95_465
; %bb.450:
	s_andn2_b64 vcc, exec, s[66:67]
	s_cbranch_vccnz .LBB95_452
; %bb.451:
	v_cmp_eq_u32_e32 vcc, 1, v0
	v_cndmask_b32_e32 v131, v34, v35, vcc
	v_cmp_eq_u32_e32 vcc, 2, v0
	v_cndmask_b32_e32 v131, v131, v36, vcc
	;; [unrolled: 2-line block ×27, first 2 shown]
	v_cmp_eq_u32_e32 vcc, 28, v0
	ds_read_b32 v132, v130
	v_cndmask_b32_e32 v131, v131, v62, vcc
	v_cmp_eq_u32_e32 vcc, 29, v0
	v_cndmask_b32_e32 v131, v131, v63, vcc
	v_cmp_eq_u32_e32 vcc, 30, v0
	;; [unrolled: 2-line block ×3, first 2 shown]
	v_cndmask_b32_e32 v131, v131, v65, vcc
	s_waitcnt lgkmcnt(0)
	v_mul_f32_e32 v131, v131, v132
	s_cbranch_execz .LBB95_453
	s_branch .LBB95_454
.LBB95_452:
                                        ; implicit-def: $vgpr131
.LBB95_453:
	ds_read_b32 v131, v130
.LBB95_454:
	s_and_saveexec_b64 s[6:7], s[0:1]
	s_cbranch_execz .LBB95_464
; %bb.455:
	v_add_u32_e32 v132, -3, v0
	v_add_u32_e32 v133, -2, v0
	v_cmp_lt_u32_e32 vcc, 6, v132
	v_mov_b32_e32 v132, 2
	s_and_saveexec_b64 s[0:1], vcc
	s_cbranch_execz .LBB95_459
; %bb.456:
	v_and_b32_e32 v132, -8, v133
	v_sub_u32_e32 v134, 0, v132
	s_mov_b64 s[8:9], 9
	s_movk_i32 s12, 0x88
	s_mov_b64 s[10:11], 0
.LBB95_457:                             ; =>This Inner Loop Header: Depth=1
	s_add_i32 s13, s8, -7
	v_mov_b32_e32 v132, s12
	s_add_i32 s14, s8, -6
	s_set_gpr_idx_on s13, gpr_idx(SRC0)
	v_mov_b32_e32 v143, v34
	s_set_gpr_idx_off
	ds_read2_b64 v[135:138], v132 offset1:1
	s_add_i32 s15, s8, -5
	s_set_gpr_idx_on s14, gpr_idx(SRC0)
	v_mov_b32_e32 v144, v34
	s_set_gpr_idx_off
	s_add_i32 s16, s8, -4
	s_set_gpr_idx_on s15, gpr_idx(SRC0)
	v_mov_b32_e32 v145, v34
	s_set_gpr_idx_off
	;; [unrolled: 4-line block ×4, first 2 shown]
	ds_read2_b64 v[139:142], v132 offset0:2 offset1:3
	s_add_i32 s19, s8, -1
	s_waitcnt lgkmcnt(1)
	v_fmac_f32_e32 v131, v143, v135
	s_set_gpr_idx_on s18, gpr_idx(SRC0)
	v_mov_b32_e32 v135, v34
	s_set_gpr_idx_off
	v_fmac_f32_e32 v131, v144, v136
	s_set_gpr_idx_on s19, gpr_idx(SRC0)
	v_mov_b32_e32 v136, v34
	s_set_gpr_idx_off
	v_fmac_f32_e32 v131, v145, v137
	s_set_gpr_idx_on s8, gpr_idx(SRC0)
	v_mov_b32_e32 v137, v34
	s_set_gpr_idx_off
	v_fmac_f32_e32 v131, v146, v138
	s_add_u32 s8, s8, 8
	s_waitcnt lgkmcnt(0)
	v_fmac_f32_e32 v131, v147, v139
	v_add_u32_e32 v132, s8, v134
	v_fmac_f32_e32 v131, v135, v140
	s_addc_u32 s9, s9, 0
	s_add_i32 s12, s12, 32
	s_add_i32 s13, s8, -7
	v_cmp_eq_u32_e32 vcc, 9, v132
	v_fmac_f32_e32 v131, v136, v141
	v_mov_b32_e32 v132, s13
	s_or_b64 s[10:11], vcc, s[10:11]
	v_fmac_f32_e32 v131, v137, v142
	s_andn2_b64 exec, exec, s[10:11]
	s_cbranch_execnz .LBB95_457
; %bb.458:
	s_or_b64 exec, exec, s[10:11]
.LBB95_459:
	s_or_b64 exec, exec, s[0:1]
	v_and_b32_e32 v133, 7, v133
	v_cmp_ne_u32_e32 vcc, 0, v133
	s_and_saveexec_b64 s[8:9], vcc
	s_cbranch_execz .LBB95_463
; %bb.460:
	v_mov_b32_e32 v134, 0x80
	v_lshl_add_u32 v134, v132, 2, v134
	v_mov_b32_e32 v135, 0
	s_mov_b64 s[10:11], 0
.LBB95_461:                             ; =>This Inner Loop Header: Depth=1
	v_cmp_eq_u32_e32 vcc, 1, v132
	v_cndmask_b32_e32 v136, v34, v35, vcc
	v_add_u32_e32 v133, -1, v133
	v_cmp_eq_u32_e32 vcc, 2, v132
	v_cndmask_b32_e32 v136, v136, v36, vcc
	v_cmp_eq_u32_e32 vcc, 0, v133
	v_cmp_eq_u32_e64 s[0:1], 3, v132
	v_cndmask_b32_e64 v136, v136, v37, s[0:1]
	s_or_b64 s[10:11], vcc, s[10:11]
	v_cmp_eq_u32_e32 vcc, 4, v132
	v_cndmask_b32_e32 v136, v136, v38, vcc
	v_cmp_eq_u32_e32 vcc, 5, v132
	v_cndmask_b32_e32 v136, v136, v39, vcc
	;; [unrolled: 2-line block ×23, first 2 shown]
	v_cmp_eq_u32_e32 vcc, 27, v132
	ds_read_b32 v137, v134
	v_cndmask_b32_e32 v136, v136, v61, vcc
	v_cmp_eq_u32_e32 vcc, 28, v132
	v_cndmask_b32_e32 v136, v136, v62, vcc
	v_cmp_eq_u32_e32 vcc, 29, v132
	;; [unrolled: 2-line block ×4, first 2 shown]
	v_add_co_u32_e64 v132, s[0:1], 1, v132
	v_cndmask_b32_e32 v136, v136, v65, vcc
	v_add_u32_e32 v134, 4, v134
	v_addc_co_u32_e64 v135, s[0:1], 0, v135, s[0:1]
	s_waitcnt lgkmcnt(0)
	v_fmac_f32_e32 v131, v136, v137
	s_andn2_b64 exec, exec, s[10:11]
	s_cbranch_execnz .LBB95_461
; %bb.462:
	s_or_b64 exec, exec, s[10:11]
.LBB95_463:
	s_or_b64 exec, exec, s[8:9]
.LBB95_464:
	s_or_b64 exec, exec, s[6:7]
	v_mov_b32_e32 v35, 0
	ds_read_b32 v35, v35 offset:4
	s_waitcnt lgkmcnt(0)
	v_mul_f32_e32 v35, v131, v35
.LBB95_465:
	s_or_b64 exec, exec, s[4:5]
	v_cmp_ne_u32_e32 vcc, 0, v0
	ds_write_b32 v130, v34
	s_waitcnt lgkmcnt(0)
	; wave barrier
	s_and_saveexec_b64 s[4:5], vcc
	s_cbranch_execz .LBB95_481
; %bb.466:
	s_andn2_b64 vcc, exec, s[66:67]
	s_cbranch_vccnz .LBB95_468
; %bb.467:
	v_cmp_eq_u32_e32 vcc, 1, v0
	v_cndmask_b32_e32 v131, v34, v35, vcc
	v_cmp_eq_u32_e32 vcc, 2, v0
	v_cndmask_b32_e32 v131, v131, v36, vcc
	;; [unrolled: 2-line block ×27, first 2 shown]
	v_cmp_eq_u32_e32 vcc, 28, v0
	ds_read_b32 v132, v130
	v_cndmask_b32_e32 v131, v131, v62, vcc
	v_cmp_eq_u32_e32 vcc, 29, v0
	v_cndmask_b32_e32 v131, v131, v63, vcc
	v_cmp_eq_u32_e32 vcc, 30, v0
	;; [unrolled: 2-line block ×3, first 2 shown]
	v_cndmask_b32_e32 v131, v131, v65, vcc
	s_waitcnt lgkmcnt(0)
	v_mul_f32_e32 v131, v131, v132
	s_cbranch_execz .LBB95_469
	s_branch .LBB95_470
.LBB95_468:
                                        ; implicit-def: $vgpr131
.LBB95_469:
	ds_read_b32 v131, v130
.LBB95_470:
	s_and_saveexec_b64 s[6:7], s[2:3]
	s_cbranch_execz .LBB95_480
; %bb.471:
	v_add_u32_e32 v132, -2, v0
	v_add_u32_e32 v133, -1, v0
	v_cmp_lt_u32_e32 vcc, 6, v132
	v_mov_b32_e32 v132, 1
	s_and_saveexec_b64 s[0:1], vcc
	s_cbranch_execz .LBB95_475
; %bb.472:
	v_and_b32_e32 v132, -8, v133
	v_sub_u32_e32 v134, 0, v132
	s_mov_b64 s[2:3], 8
	s_movk_i32 s10, 0x84
	s_mov_b64 s[8:9], 0
.LBB95_473:                             ; =>This Inner Loop Header: Depth=1
	s_add_i32 s11, s2, -7
	v_mov_b32_e32 v132, s10
	s_add_i32 s12, s2, -6
	s_set_gpr_idx_on s11, gpr_idx(SRC0)
	v_mov_b32_e32 v141, v34
	s_set_gpr_idx_off
	ds_read2_b32 v[135:136], v132 offset1:1
	s_add_i32 s13, s2, -5
	s_set_gpr_idx_on s12, gpr_idx(SRC0)
	v_mov_b32_e32 v142, v34
	s_set_gpr_idx_off
	s_add_i32 s14, s2, -4
	s_set_gpr_idx_on s13, gpr_idx(SRC0)
	v_mov_b32_e32 v143, v34
	s_set_gpr_idx_off
	ds_read2_b32 v[137:138], v132 offset0:2 offset1:3
	s_add_i32 s15, s2, -3
	s_set_gpr_idx_on s14, gpr_idx(SRC0)
	v_mov_b32_e32 v144, v34
	s_set_gpr_idx_off
	s_add_i32 s16, s2, -2
	s_set_gpr_idx_on s15, gpr_idx(SRC0)
	v_mov_b32_e32 v145, v34
	s_set_gpr_idx_off
	ds_read2_b32 v[139:140], v132 offset0:4 offset1:5
	s_add_i32 s17, s2, -1
	s_waitcnt lgkmcnt(2)
	v_fmac_f32_e32 v131, v141, v135
	s_set_gpr_idx_on s16, gpr_idx(SRC0)
	v_mov_b32_e32 v141, v34
	s_set_gpr_idx_off
	v_fmac_f32_e32 v131, v142, v136
	s_set_gpr_idx_on s17, gpr_idx(SRC0)
	v_mov_b32_e32 v142, v34
	s_set_gpr_idx_off
	ds_read2_b32 v[135:136], v132 offset0:6 offset1:7
	s_waitcnt lgkmcnt(2)
	v_fmac_f32_e32 v131, v143, v137
	s_set_gpr_idx_on s2, gpr_idx(SRC0)
	v_mov_b32_e32 v137, v34
	s_set_gpr_idx_off
	v_fmac_f32_e32 v131, v144, v138
	s_add_u32 s2, s2, 8
	s_waitcnt lgkmcnt(1)
	v_fmac_f32_e32 v131, v145, v139
	v_add_u32_e32 v132, s2, v134
	v_fmac_f32_e32 v131, v141, v140
	s_addc_u32 s3, s3, 0
	s_add_i32 s10, s10, 32
	s_add_i32 s11, s2, -7
	v_cmp_eq_u32_e32 vcc, 8, v132
	s_waitcnt lgkmcnt(0)
	v_fmac_f32_e32 v131, v142, v135
	v_mov_b32_e32 v132, s11
	s_or_b64 s[8:9], vcc, s[8:9]
	v_fmac_f32_e32 v131, v137, v136
	s_andn2_b64 exec, exec, s[8:9]
	s_cbranch_execnz .LBB95_473
; %bb.474:
	s_or_b64 exec, exec, s[8:9]
.LBB95_475:
	s_or_b64 exec, exec, s[0:1]
	v_and_b32_e32 v133, 7, v133
	v_cmp_ne_u32_e32 vcc, 0, v133
	s_and_saveexec_b64 s[2:3], vcc
	s_cbranch_execz .LBB95_479
; %bb.476:
	v_mov_b32_e32 v134, 0x80
	v_lshl_add_u32 v134, v132, 2, v134
	v_mov_b32_e32 v135, 0
	s_mov_b64 s[8:9], 0
.LBB95_477:                             ; =>This Inner Loop Header: Depth=1
	v_cmp_eq_u32_e32 vcc, 1, v132
	v_cndmask_b32_e32 v136, v34, v35, vcc
	v_add_u32_e32 v133, -1, v133
	v_cmp_eq_u32_e32 vcc, 2, v132
	v_cndmask_b32_e32 v136, v136, v36, vcc
	v_cmp_eq_u32_e32 vcc, 0, v133
	v_cmp_eq_u32_e64 s[0:1], 3, v132
	v_cndmask_b32_e64 v136, v136, v37, s[0:1]
	s_or_b64 s[8:9], vcc, s[8:9]
	v_cmp_eq_u32_e32 vcc, 4, v132
	v_cndmask_b32_e32 v136, v136, v38, vcc
	v_cmp_eq_u32_e32 vcc, 5, v132
	v_cndmask_b32_e32 v136, v136, v39, vcc
	;; [unrolled: 2-line block ×23, first 2 shown]
	v_cmp_eq_u32_e32 vcc, 27, v132
	ds_read_b32 v137, v134
	v_cndmask_b32_e32 v136, v136, v61, vcc
	v_cmp_eq_u32_e32 vcc, 28, v132
	v_cndmask_b32_e32 v136, v136, v62, vcc
	v_cmp_eq_u32_e32 vcc, 29, v132
	;; [unrolled: 2-line block ×4, first 2 shown]
	v_add_co_u32_e64 v132, s[0:1], 1, v132
	v_cndmask_b32_e32 v136, v136, v65, vcc
	v_add_u32_e32 v134, 4, v134
	v_addc_co_u32_e64 v135, s[0:1], 0, v135, s[0:1]
	s_waitcnt lgkmcnt(0)
	v_fmac_f32_e32 v131, v136, v137
	s_andn2_b64 exec, exec, s[8:9]
	s_cbranch_execnz .LBB95_477
; %bb.478:
	s_or_b64 exec, exec, s[8:9]
.LBB95_479:
	s_or_b64 exec, exec, s[2:3]
.LBB95_480:
	s_or_b64 exec, exec, s[6:7]
	v_mov_b32_e32 v34, 0
	ds_read_b32 v34, v34
	s_waitcnt lgkmcnt(0)
	v_mul_f32_e32 v34, v131, v34
.LBB95_481:
	s_or_b64 exec, exec, s[4:5]
	s_branch .LBB95_795
.LBB95_482:
	v_cmp_eq_u32_e64 s[2:3], 0, v0
	s_waitcnt vmcnt(0) lgkmcnt(0)
	ds_write_b32 v130, v3
	s_waitcnt lgkmcnt(0)
	; wave barrier
	s_and_saveexec_b64 s[0:1], s[2:3]
	s_cbranch_execz .LBB95_488
; %bb.483:
	s_and_b64 vcc, exec, s[66:67]
	s_cbranch_vccz .LBB95_485
; %bb.484:
	v_cmp_eq_u32_e32 vcc, 1, v0
	v_cndmask_b32_e32 v3, v2, v3, vcc
	v_cmp_eq_u32_e32 vcc, 2, v0
	v_cndmask_b32_e32 v3, v3, v4, vcc
	;; [unrolled: 2-line block ×27, first 2 shown]
	v_cmp_eq_u32_e32 vcc, 28, v0
	ds_read_b32 v34, v130
	v_cndmask_b32_e32 v3, v3, v30, vcc
	v_cmp_eq_u32_e32 vcc, 29, v0
	v_cndmask_b32_e32 v3, v3, v31, vcc
	v_cmp_eq_u32_e32 vcc, 30, v0
	;; [unrolled: 2-line block ×3, first 2 shown]
	v_cndmask_b32_e32 v3, v3, v33, vcc
	s_waitcnt lgkmcnt(0)
	v_mul_f32_e32 v3, v3, v34
	s_cbranch_execz .LBB95_486
	s_branch .LBB95_487
.LBB95_485:
                                        ; implicit-def: $vgpr3
.LBB95_486:
	ds_read_b32 v3, v130
.LBB95_487:
	v_mov_b32_e32 v34, 0
	ds_read_b32 v34, v34 offset:4
	s_waitcnt lgkmcnt(0)
	v_mul_f32_e32 v3, v3, v34
.LBB95_488:
	s_or_b64 exec, exec, s[0:1]
	v_cndmask_b32_e64 v34, 0, 1, s[66:67]
	v_cmp_gt_u32_e32 vcc, 2, v0
	v_cmp_ne_u32_e64 s[0:1], 1, v34
	ds_write_b32 v130, v4
	s_waitcnt lgkmcnt(0)
	; wave barrier
	s_and_saveexec_b64 s[4:5], vcc
	s_cbranch_execz .LBB95_494
; %bb.489:
	s_and_b64 vcc, exec, s[0:1]
	s_cbranch_vccnz .LBB95_491
; %bb.490:
	v_cmp_eq_u32_e32 vcc, 1, v0
	v_cndmask_b32_e32 v34, v2, v3, vcc
	v_cmp_eq_u32_e32 vcc, 2, v0
	v_cndmask_b32_e32 v4, v34, v4, vcc
	;; [unrolled: 2-line block ×27, first 2 shown]
	v_cmp_eq_u32_e32 vcc, 28, v0
	ds_read_b32 v34, v130
	v_cndmask_b32_e32 v4, v4, v30, vcc
	v_cmp_eq_u32_e32 vcc, 29, v0
	v_cndmask_b32_e32 v4, v4, v31, vcc
	v_cmp_eq_u32_e32 vcc, 30, v0
	;; [unrolled: 2-line block ×3, first 2 shown]
	v_cndmask_b32_e32 v4, v4, v33, vcc
	s_waitcnt lgkmcnt(0)
	v_mul_f32_e32 v4, v4, v34
	s_cbranch_execz .LBB95_492
	s_branch .LBB95_493
.LBB95_491:
                                        ; implicit-def: $vgpr4
.LBB95_492:
	ds_read_b32 v4, v130
.LBB95_493:
	v_mov_b32_e32 v34, 0
	ds_read2_b32 v[34:35], v34 offset0:2 offset1:33
	s_waitcnt lgkmcnt(0)
	v_fma_f32 v35, v3, v35, v4
	v_cndmask_b32_e64 v4, v4, v35, s[2:3]
	v_mul_f32_e32 v4, v4, v34
.LBB95_494:
	s_or_b64 exec, exec, s[4:5]
	v_add_u32_e32 v36, 1, v0
	v_cmp_gt_u32_e64 s[4:5], 3, v0
	ds_write_b32 v130, v5
	s_waitcnt lgkmcnt(0)
	; wave barrier
	s_and_saveexec_b64 s[6:7], s[4:5]
	s_cbranch_execz .LBB95_502
; %bb.495:
	s_and_b64 vcc, exec, s[0:1]
	s_cbranch_vccnz .LBB95_497
; %bb.496:
	v_cmp_eq_u32_e32 vcc, 1, v0
	v_cndmask_b32_e32 v34, v2, v3, vcc
	v_cmp_eq_u32_e32 vcc, 2, v0
	v_cndmask_b32_e32 v34, v34, v4, vcc
	;; [unrolled: 2-line block ×27, first 2 shown]
	v_cmp_eq_u32_e32 vcc, 28, v0
	ds_read_b32 v35, v130
	v_cndmask_b32_e32 v34, v34, v30, vcc
	v_cmp_eq_u32_e32 vcc, 29, v0
	v_cndmask_b32_e32 v34, v34, v31, vcc
	v_cmp_eq_u32_e32 vcc, 30, v0
	;; [unrolled: 2-line block ×3, first 2 shown]
	v_cndmask_b32_e32 v34, v34, v33, vcc
	s_waitcnt lgkmcnt(0)
	v_mul_f32_e32 v34, v34, v35
	s_cbranch_execz .LBB95_498
	s_branch .LBB95_499
.LBB95_497:
                                        ; implicit-def: $vgpr34
.LBB95_498:
	ds_read_b32 v34, v130
.LBB95_499:
	v_cmp_ne_u32_e32 vcc, 2, v0
	s_and_saveexec_b64 s[8:9], vcc
	s_cbranch_execz .LBB95_501
; %bb.500:
	v_cmp_eq_u32_e32 vcc, 1, v36
	v_cndmask_b32_e32 v35, v2, v3, vcc
	v_cmp_eq_u32_e32 vcc, 2, v36
	v_cndmask_b32_e32 v35, v35, v4, vcc
	;; [unrolled: 2-line block ×27, first 2 shown]
	v_cmp_eq_u32_e32 vcc, 28, v36
	v_mov_b32_e32 v35, 0
	v_cndmask_b32_e32 v5, v5, v30, vcc
	v_cmp_eq_u32_e32 vcc, 29, v36
	ds_read_b32 v37, v130 offset:4
	ds_read_b32 v35, v35 offset:136
	v_cndmask_b32_e32 v5, v5, v31, vcc
	v_cmp_eq_u32_e32 vcc, 30, v36
	v_cndmask_b32_e32 v5, v5, v32, vcc
	v_cmp_eq_u32_e32 vcc, 31, v36
	v_cndmask_b32_e32 v5, v5, v33, vcc
	s_waitcnt lgkmcnt(1)
	v_fmac_f32_e32 v34, v5, v37
	s_waitcnt lgkmcnt(0)
	v_fma_f32 v5, v4, v35, v34
	v_cndmask_b32_e64 v34, v34, v5, s[2:3]
.LBB95_501:
	s_or_b64 exec, exec, s[8:9]
	v_mov_b32_e32 v5, 0
	ds_read_b32 v5, v5 offset:12
	s_waitcnt lgkmcnt(0)
	v_mul_f32_e32 v5, v34, v5
.LBB95_502:
	s_or_b64 exec, exec, s[6:7]
	v_cmp_gt_u32_e32 vcc, 4, v0
	ds_write_b32 v130, v6
	s_waitcnt lgkmcnt(0)
	; wave barrier
	s_and_saveexec_b64 s[8:9], vcc
	s_cbranch_execz .LBB95_512
; %bb.503:
	s_and_b64 vcc, exec, s[0:1]
	s_cbranch_vccnz .LBB95_505
; %bb.504:
	v_cmp_eq_u32_e32 vcc, 1, v0
	v_cndmask_b32_e32 v34, v2, v3, vcc
	v_cmp_eq_u32_e32 vcc, 2, v0
	v_cndmask_b32_e32 v34, v34, v4, vcc
	;; [unrolled: 2-line block ×27, first 2 shown]
	v_cmp_eq_u32_e32 vcc, 28, v0
	ds_read_b32 v35, v130
	v_cndmask_b32_e32 v34, v34, v30, vcc
	v_cmp_eq_u32_e32 vcc, 29, v0
	v_cndmask_b32_e32 v34, v34, v31, vcc
	v_cmp_eq_u32_e32 vcc, 30, v0
	;; [unrolled: 2-line block ×3, first 2 shown]
	v_cndmask_b32_e32 v34, v34, v33, vcc
	s_waitcnt lgkmcnt(0)
	v_mul_f32_e32 v37, v34, v35
	s_cbranch_execz .LBB95_506
	s_branch .LBB95_507
.LBB95_505:
                                        ; implicit-def: $vgpr37
.LBB95_506:
	ds_read_b32 v37, v130
.LBB95_507:
	v_cmp_ne_u32_e32 vcc, 3, v0
	s_and_saveexec_b64 s[10:11], vcc
	s_cbranch_execz .LBB95_511
; %bb.508:
	v_mov_b32_e32 v34, 0x84
	v_lshl_add_u32 v38, v0, 2, v34
	v_mov_b32_e32 v35, v1
	s_mov_b64 s[12:13], 0
	v_mov_b32_e32 v34, v0
.LBB95_509:                             ; =>This Inner Loop Header: Depth=1
	v_add_co_u32_e32 v34, vcc, 1, v34
	v_addc_co_u32_e32 v35, vcc, 0, v35, vcc
	v_cmp_eq_u32_e32 vcc, 1, v34
	v_cndmask_b32_e32 v40, v2, v3, vcc
	v_cmp_lt_u32_e32 vcc, 2, v34
	v_cmp_eq_u32_e64 s[6:7], 2, v34
	v_cndmask_b32_e64 v40, v40, v4, s[6:7]
	s_or_b64 s[12:13], vcc, s[12:13]
	v_cmp_eq_u32_e32 vcc, 3, v34
	v_cndmask_b32_e32 v40, v40, v5, vcc
	v_cmp_eq_u32_e32 vcc, 4, v34
	v_cndmask_b32_e32 v40, v40, v6, vcc
	v_cmp_eq_u32_e32 vcc, 5, v34
	v_cndmask_b32_e32 v40, v40, v7, vcc
	v_cmp_eq_u32_e32 vcc, 6, v34
	v_cndmask_b32_e32 v40, v40, v8, vcc
	v_cmp_eq_u32_e32 vcc, 7, v34
	v_cndmask_b32_e32 v40, v40, v9, vcc
	v_cmp_eq_u32_e32 vcc, 8, v34
	v_cndmask_b32_e32 v40, v40, v10, vcc
	v_cmp_eq_u32_e32 vcc, 9, v34
	v_cndmask_b32_e32 v40, v40, v11, vcc
	v_cmp_eq_u32_e32 vcc, 10, v34
	v_cndmask_b32_e32 v40, v40, v12, vcc
	v_cmp_eq_u32_e32 vcc, 11, v34
	v_cndmask_b32_e32 v40, v40, v13, vcc
	v_cmp_eq_u32_e32 vcc, 12, v34
	v_cndmask_b32_e32 v40, v40, v14, vcc
	v_cmp_eq_u32_e32 vcc, 13, v34
	v_cndmask_b32_e32 v40, v40, v15, vcc
	v_cmp_eq_u32_e32 vcc, 14, v34
	v_cndmask_b32_e32 v40, v40, v16, vcc
	v_cmp_eq_u32_e32 vcc, 15, v34
	v_cndmask_b32_e32 v40, v40, v17, vcc
	v_cmp_eq_u32_e32 vcc, 16, v34
	v_cndmask_b32_e32 v40, v40, v18, vcc
	v_cmp_eq_u32_e32 vcc, 17, v34
	v_cndmask_b32_e32 v40, v40, v19, vcc
	v_cmp_eq_u32_e32 vcc, 18, v34
	v_cndmask_b32_e32 v40, v40, v20, vcc
	v_cmp_eq_u32_e32 vcc, 19, v34
	v_cndmask_b32_e32 v40, v40, v21, vcc
	v_cmp_eq_u32_e32 vcc, 20, v34
	v_cndmask_b32_e32 v40, v40, v22, vcc
	v_cmp_eq_u32_e32 vcc, 21, v34
	v_cndmask_b32_e32 v40, v40, v23, vcc
	v_cmp_eq_u32_e32 vcc, 22, v34
	v_cndmask_b32_e32 v40, v40, v24, vcc
	v_cmp_eq_u32_e32 vcc, 23, v34
	v_cndmask_b32_e32 v40, v40, v25, vcc
	v_cmp_eq_u32_e32 vcc, 24, v34
	v_cndmask_b32_e32 v40, v40, v26, vcc
	v_cmp_eq_u32_e32 vcc, 25, v34
	v_cndmask_b32_e32 v40, v40, v27, vcc
	v_cmp_eq_u32_e32 vcc, 26, v34
	v_cndmask_b32_e32 v40, v40, v28, vcc
	v_cmp_eq_u32_e32 vcc, 27, v34
	ds_read_b32 v39, v38
	v_cndmask_b32_e32 v40, v40, v29, vcc
	v_cmp_eq_u32_e32 vcc, 28, v34
	v_cndmask_b32_e32 v40, v40, v30, vcc
	v_cmp_eq_u32_e32 vcc, 29, v34
	v_cndmask_b32_e32 v40, v40, v31, vcc
	v_cmp_eq_u32_e32 vcc, 30, v34
	v_cndmask_b32_e32 v40, v40, v32, vcc
	v_cmp_eq_u32_e32 vcc, 31, v34
	v_cndmask_b32_e32 v40, v40, v33, vcc
	v_add_u32_e32 v38, 4, v38
	s_waitcnt lgkmcnt(0)
	v_fmac_f32_e32 v37, v40, v39
	s_andn2_b64 exec, exec, s[12:13]
	s_cbranch_execnz .LBB95_509
; %bb.510:
	s_or_b64 exec, exec, s[12:13]
.LBB95_511:
	s_or_b64 exec, exec, s[10:11]
	v_mov_b32_e32 v6, 0
	ds_read_b32 v6, v6 offset:16
	s_waitcnt lgkmcnt(0)
	v_mul_f32_e32 v6, v37, v6
.LBB95_512:
	s_or_b64 exec, exec, s[8:9]
	v_cmp_gt_u32_e64 s[6:7], 5, v0
	ds_write_b32 v130, v7
	s_waitcnt lgkmcnt(0)
	; wave barrier
	s_and_saveexec_b64 s[10:11], s[6:7]
	s_cbranch_execz .LBB95_522
; %bb.513:
	s_and_b64 vcc, exec, s[0:1]
	s_cbranch_vccnz .LBB95_515
; %bb.514:
	v_cmp_eq_u32_e32 vcc, 1, v0
	v_cndmask_b32_e32 v34, v2, v3, vcc
	v_cmp_eq_u32_e32 vcc, 2, v0
	v_cndmask_b32_e32 v34, v34, v4, vcc
	;; [unrolled: 2-line block ×27, first 2 shown]
	v_cmp_eq_u32_e32 vcc, 28, v0
	ds_read_b32 v35, v130
	v_cndmask_b32_e32 v34, v34, v30, vcc
	v_cmp_eq_u32_e32 vcc, 29, v0
	v_cndmask_b32_e32 v34, v34, v31, vcc
	v_cmp_eq_u32_e32 vcc, 30, v0
	;; [unrolled: 2-line block ×3, first 2 shown]
	v_cndmask_b32_e32 v34, v34, v33, vcc
	s_waitcnt lgkmcnt(0)
	v_mul_f32_e32 v37, v34, v35
	s_cbranch_execz .LBB95_516
	s_branch .LBB95_517
.LBB95_515:
                                        ; implicit-def: $vgpr37
.LBB95_516:
	ds_read_b32 v37, v130
.LBB95_517:
	v_cmp_ne_u32_e32 vcc, 4, v0
	s_and_saveexec_b64 s[12:13], vcc
	s_cbranch_execz .LBB95_521
; %bb.518:
	v_mov_b32_e32 v34, 0x84
	v_lshl_add_u32 v38, v0, 2, v34
	v_mov_b32_e32 v35, v1
	s_mov_b64 s[14:15], 0
	v_mov_b32_e32 v34, v0
.LBB95_519:                             ; =>This Inner Loop Header: Depth=1
	v_add_co_u32_e32 v34, vcc, 1, v34
	v_addc_co_u32_e32 v35, vcc, 0, v35, vcc
	v_cmp_eq_u32_e32 vcc, 1, v34
	v_cndmask_b32_e32 v40, v2, v3, vcc
	v_cmp_lt_u32_e32 vcc, 3, v34
	v_cmp_eq_u32_e64 s[8:9], 2, v34
	v_cndmask_b32_e64 v40, v40, v4, s[8:9]
	s_or_b64 s[14:15], vcc, s[14:15]
	v_cmp_eq_u32_e32 vcc, 3, v34
	v_cndmask_b32_e32 v40, v40, v5, vcc
	v_cmp_eq_u32_e32 vcc, 4, v34
	v_cndmask_b32_e32 v40, v40, v6, vcc
	;; [unrolled: 2-line block ×24, first 2 shown]
	v_cmp_eq_u32_e32 vcc, 27, v34
	ds_read_b32 v39, v38
	v_cndmask_b32_e32 v40, v40, v29, vcc
	v_cmp_eq_u32_e32 vcc, 28, v34
	v_cndmask_b32_e32 v40, v40, v30, vcc
	v_cmp_eq_u32_e32 vcc, 29, v34
	;; [unrolled: 2-line block ×4, first 2 shown]
	v_cndmask_b32_e32 v40, v40, v33, vcc
	v_add_u32_e32 v38, 4, v38
	s_waitcnt lgkmcnt(0)
	v_fmac_f32_e32 v37, v40, v39
	s_andn2_b64 exec, exec, s[14:15]
	s_cbranch_execnz .LBB95_519
; %bb.520:
	s_or_b64 exec, exec, s[14:15]
.LBB95_521:
	s_or_b64 exec, exec, s[12:13]
	v_mov_b32_e32 v7, 0
	ds_read_b32 v7, v7 offset:20
	s_waitcnt lgkmcnt(0)
	v_mul_f32_e32 v7, v37, v7
.LBB95_522:
	s_or_b64 exec, exec, s[10:11]
	v_cmp_gt_u32_e32 vcc, 6, v0
	ds_write_b32 v130, v8
	s_waitcnt lgkmcnt(0)
	; wave barrier
	s_and_saveexec_b64 s[10:11], vcc
	s_cbranch_execz .LBB95_532
; %bb.523:
	s_and_b64 vcc, exec, s[0:1]
	s_cbranch_vccnz .LBB95_525
; %bb.524:
	v_cmp_eq_u32_e32 vcc, 1, v0
	v_cndmask_b32_e32 v34, v2, v3, vcc
	v_cmp_eq_u32_e32 vcc, 2, v0
	v_cndmask_b32_e32 v34, v34, v4, vcc
	;; [unrolled: 2-line block ×27, first 2 shown]
	v_cmp_eq_u32_e32 vcc, 28, v0
	ds_read_b32 v35, v130
	v_cndmask_b32_e32 v34, v34, v30, vcc
	v_cmp_eq_u32_e32 vcc, 29, v0
	v_cndmask_b32_e32 v34, v34, v31, vcc
	v_cmp_eq_u32_e32 vcc, 30, v0
	;; [unrolled: 2-line block ×3, first 2 shown]
	v_cndmask_b32_e32 v34, v34, v33, vcc
	s_waitcnt lgkmcnt(0)
	v_mul_f32_e32 v37, v34, v35
	s_cbranch_execz .LBB95_526
	s_branch .LBB95_527
.LBB95_525:
                                        ; implicit-def: $vgpr37
.LBB95_526:
	ds_read_b32 v37, v130
.LBB95_527:
	v_cmp_ne_u32_e32 vcc, 5, v0
	s_and_saveexec_b64 s[12:13], vcc
	s_cbranch_execz .LBB95_531
; %bb.528:
	v_mov_b32_e32 v34, 0x84
	v_lshl_add_u32 v38, v0, 2, v34
	v_mov_b32_e32 v35, v1
	s_mov_b64 s[14:15], 0
	v_mov_b32_e32 v34, v0
.LBB95_529:                             ; =>This Inner Loop Header: Depth=1
	v_add_co_u32_e32 v34, vcc, 1, v34
	v_addc_co_u32_e32 v35, vcc, 0, v35, vcc
	v_cmp_eq_u32_e32 vcc, 1, v34
	v_cndmask_b32_e32 v40, v2, v3, vcc
	v_cmp_lt_u32_e32 vcc, 4, v34
	v_cmp_eq_u32_e64 s[8:9], 2, v34
	v_cndmask_b32_e64 v40, v40, v4, s[8:9]
	s_or_b64 s[14:15], vcc, s[14:15]
	v_cmp_eq_u32_e32 vcc, 3, v34
	v_cndmask_b32_e32 v40, v40, v5, vcc
	v_cmp_eq_u32_e32 vcc, 4, v34
	v_cndmask_b32_e32 v40, v40, v6, vcc
	v_cmp_eq_u32_e32 vcc, 5, v34
	v_cndmask_b32_e32 v40, v40, v7, vcc
	v_cmp_eq_u32_e32 vcc, 6, v34
	v_cndmask_b32_e32 v40, v40, v8, vcc
	v_cmp_eq_u32_e32 vcc, 7, v34
	v_cndmask_b32_e32 v40, v40, v9, vcc
	v_cmp_eq_u32_e32 vcc, 8, v34
	v_cndmask_b32_e32 v40, v40, v10, vcc
	v_cmp_eq_u32_e32 vcc, 9, v34
	v_cndmask_b32_e32 v40, v40, v11, vcc
	v_cmp_eq_u32_e32 vcc, 10, v34
	v_cndmask_b32_e32 v40, v40, v12, vcc
	v_cmp_eq_u32_e32 vcc, 11, v34
	v_cndmask_b32_e32 v40, v40, v13, vcc
	v_cmp_eq_u32_e32 vcc, 12, v34
	v_cndmask_b32_e32 v40, v40, v14, vcc
	v_cmp_eq_u32_e32 vcc, 13, v34
	v_cndmask_b32_e32 v40, v40, v15, vcc
	v_cmp_eq_u32_e32 vcc, 14, v34
	v_cndmask_b32_e32 v40, v40, v16, vcc
	v_cmp_eq_u32_e32 vcc, 15, v34
	v_cndmask_b32_e32 v40, v40, v17, vcc
	v_cmp_eq_u32_e32 vcc, 16, v34
	v_cndmask_b32_e32 v40, v40, v18, vcc
	v_cmp_eq_u32_e32 vcc, 17, v34
	v_cndmask_b32_e32 v40, v40, v19, vcc
	v_cmp_eq_u32_e32 vcc, 18, v34
	v_cndmask_b32_e32 v40, v40, v20, vcc
	v_cmp_eq_u32_e32 vcc, 19, v34
	v_cndmask_b32_e32 v40, v40, v21, vcc
	v_cmp_eq_u32_e32 vcc, 20, v34
	v_cndmask_b32_e32 v40, v40, v22, vcc
	v_cmp_eq_u32_e32 vcc, 21, v34
	v_cndmask_b32_e32 v40, v40, v23, vcc
	v_cmp_eq_u32_e32 vcc, 22, v34
	v_cndmask_b32_e32 v40, v40, v24, vcc
	v_cmp_eq_u32_e32 vcc, 23, v34
	v_cndmask_b32_e32 v40, v40, v25, vcc
	v_cmp_eq_u32_e32 vcc, 24, v34
	v_cndmask_b32_e32 v40, v40, v26, vcc
	v_cmp_eq_u32_e32 vcc, 25, v34
	v_cndmask_b32_e32 v40, v40, v27, vcc
	v_cmp_eq_u32_e32 vcc, 26, v34
	v_cndmask_b32_e32 v40, v40, v28, vcc
	v_cmp_eq_u32_e32 vcc, 27, v34
	ds_read_b32 v39, v38
	v_cndmask_b32_e32 v40, v40, v29, vcc
	v_cmp_eq_u32_e32 vcc, 28, v34
	v_cndmask_b32_e32 v40, v40, v30, vcc
	v_cmp_eq_u32_e32 vcc, 29, v34
	;; [unrolled: 2-line block ×4, first 2 shown]
	v_cndmask_b32_e32 v40, v40, v33, vcc
	v_add_u32_e32 v38, 4, v38
	s_waitcnt lgkmcnt(0)
	v_fmac_f32_e32 v37, v40, v39
	s_andn2_b64 exec, exec, s[14:15]
	s_cbranch_execnz .LBB95_529
; %bb.530:
	s_or_b64 exec, exec, s[14:15]
.LBB95_531:
	s_or_b64 exec, exec, s[12:13]
	v_mov_b32_e32 v8, 0
	ds_read_b32 v8, v8 offset:24
	s_waitcnt lgkmcnt(0)
	v_mul_f32_e32 v8, v37, v8
.LBB95_532:
	s_or_b64 exec, exec, s[10:11]
	v_cmp_gt_u32_e64 s[8:9], 7, v0
	ds_write_b32 v130, v9
	s_waitcnt lgkmcnt(0)
	; wave barrier
	s_and_saveexec_b64 s[12:13], s[8:9]
	s_cbranch_execz .LBB95_542
; %bb.533:
	s_and_b64 vcc, exec, s[0:1]
	s_cbranch_vccnz .LBB95_535
; %bb.534:
	v_cmp_eq_u32_e32 vcc, 1, v0
	v_cndmask_b32_e32 v34, v2, v3, vcc
	v_cmp_eq_u32_e32 vcc, 2, v0
	v_cndmask_b32_e32 v34, v34, v4, vcc
	;; [unrolled: 2-line block ×27, first 2 shown]
	v_cmp_eq_u32_e32 vcc, 28, v0
	ds_read_b32 v35, v130
	v_cndmask_b32_e32 v34, v34, v30, vcc
	v_cmp_eq_u32_e32 vcc, 29, v0
	v_cndmask_b32_e32 v34, v34, v31, vcc
	v_cmp_eq_u32_e32 vcc, 30, v0
	v_cndmask_b32_e32 v34, v34, v32, vcc
	v_cmp_eq_u32_e32 vcc, 31, v0
	v_cndmask_b32_e32 v34, v34, v33, vcc
	s_waitcnt lgkmcnt(0)
	v_mul_f32_e32 v37, v34, v35
	s_cbranch_execz .LBB95_536
	s_branch .LBB95_537
.LBB95_535:
                                        ; implicit-def: $vgpr37
.LBB95_536:
	ds_read_b32 v37, v130
.LBB95_537:
	v_cmp_ne_u32_e32 vcc, 6, v0
	s_and_saveexec_b64 s[14:15], vcc
	s_cbranch_execz .LBB95_541
; %bb.538:
	v_mov_b32_e32 v34, 0x84
	v_lshl_add_u32 v38, v0, 2, v34
	v_mov_b32_e32 v35, v1
	s_mov_b64 s[16:17], 0
	v_mov_b32_e32 v34, v0
.LBB95_539:                             ; =>This Inner Loop Header: Depth=1
	v_add_co_u32_e32 v34, vcc, 1, v34
	v_addc_co_u32_e32 v35, vcc, 0, v35, vcc
	v_cmp_eq_u32_e32 vcc, 1, v34
	v_cndmask_b32_e32 v40, v2, v3, vcc
	v_cmp_lt_u32_e32 vcc, 5, v34
	v_cmp_eq_u32_e64 s[10:11], 2, v34
	v_cndmask_b32_e64 v40, v40, v4, s[10:11]
	s_or_b64 s[16:17], vcc, s[16:17]
	v_cmp_eq_u32_e32 vcc, 3, v34
	v_cndmask_b32_e32 v40, v40, v5, vcc
	v_cmp_eq_u32_e32 vcc, 4, v34
	v_cndmask_b32_e32 v40, v40, v6, vcc
	;; [unrolled: 2-line block ×24, first 2 shown]
	v_cmp_eq_u32_e32 vcc, 27, v34
	ds_read_b32 v39, v38
	v_cndmask_b32_e32 v40, v40, v29, vcc
	v_cmp_eq_u32_e32 vcc, 28, v34
	v_cndmask_b32_e32 v40, v40, v30, vcc
	v_cmp_eq_u32_e32 vcc, 29, v34
	;; [unrolled: 2-line block ×4, first 2 shown]
	v_cndmask_b32_e32 v40, v40, v33, vcc
	v_add_u32_e32 v38, 4, v38
	s_waitcnt lgkmcnt(0)
	v_fmac_f32_e32 v37, v40, v39
	s_andn2_b64 exec, exec, s[16:17]
	s_cbranch_execnz .LBB95_539
; %bb.540:
	s_or_b64 exec, exec, s[16:17]
.LBB95_541:
	s_or_b64 exec, exec, s[14:15]
	v_mov_b32_e32 v9, 0
	ds_read_b32 v9, v9 offset:28
	s_waitcnt lgkmcnt(0)
	v_mul_f32_e32 v9, v37, v9
.LBB95_542:
	s_or_b64 exec, exec, s[12:13]
	v_cmp_gt_u32_e32 vcc, 8, v0
	ds_write_b32 v130, v10
	s_waitcnt lgkmcnt(0)
	; wave barrier
	s_and_saveexec_b64 s[12:13], vcc
	s_cbranch_execz .LBB95_552
; %bb.543:
	s_and_b64 vcc, exec, s[0:1]
	s_cbranch_vccnz .LBB95_545
; %bb.544:
	v_cmp_eq_u32_e32 vcc, 1, v0
	v_cndmask_b32_e32 v34, v2, v3, vcc
	v_cmp_eq_u32_e32 vcc, 2, v0
	v_cndmask_b32_e32 v34, v34, v4, vcc
	;; [unrolled: 2-line block ×27, first 2 shown]
	v_cmp_eq_u32_e32 vcc, 28, v0
	ds_read_b32 v35, v130
	v_cndmask_b32_e32 v34, v34, v30, vcc
	v_cmp_eq_u32_e32 vcc, 29, v0
	v_cndmask_b32_e32 v34, v34, v31, vcc
	v_cmp_eq_u32_e32 vcc, 30, v0
	;; [unrolled: 2-line block ×3, first 2 shown]
	v_cndmask_b32_e32 v34, v34, v33, vcc
	s_waitcnt lgkmcnt(0)
	v_mul_f32_e32 v37, v34, v35
	s_cbranch_execz .LBB95_546
	s_branch .LBB95_547
.LBB95_545:
                                        ; implicit-def: $vgpr37
.LBB95_546:
	ds_read_b32 v37, v130
.LBB95_547:
	v_cmp_ne_u32_e32 vcc, 7, v0
	s_and_saveexec_b64 s[14:15], vcc
	s_cbranch_execz .LBB95_551
; %bb.548:
	v_mov_b32_e32 v34, 0x84
	v_lshl_add_u32 v38, v0, 2, v34
	v_mov_b32_e32 v35, v1
	s_mov_b64 s[16:17], 0
	v_mov_b32_e32 v34, v0
.LBB95_549:                             ; =>This Inner Loop Header: Depth=1
	v_add_co_u32_e32 v34, vcc, 1, v34
	v_addc_co_u32_e32 v35, vcc, 0, v35, vcc
	v_cmp_eq_u32_e32 vcc, 1, v34
	v_cndmask_b32_e32 v40, v2, v3, vcc
	v_cmp_lt_u32_e32 vcc, 6, v34
	v_cmp_eq_u32_e64 s[10:11], 2, v34
	v_cndmask_b32_e64 v40, v40, v4, s[10:11]
	s_or_b64 s[16:17], vcc, s[16:17]
	v_cmp_eq_u32_e32 vcc, 3, v34
	v_cndmask_b32_e32 v40, v40, v5, vcc
	v_cmp_eq_u32_e32 vcc, 4, v34
	v_cndmask_b32_e32 v40, v40, v6, vcc
	;; [unrolled: 2-line block ×24, first 2 shown]
	v_cmp_eq_u32_e32 vcc, 27, v34
	ds_read_b32 v39, v38
	v_cndmask_b32_e32 v40, v40, v29, vcc
	v_cmp_eq_u32_e32 vcc, 28, v34
	v_cndmask_b32_e32 v40, v40, v30, vcc
	v_cmp_eq_u32_e32 vcc, 29, v34
	;; [unrolled: 2-line block ×4, first 2 shown]
	v_cndmask_b32_e32 v40, v40, v33, vcc
	v_add_u32_e32 v38, 4, v38
	s_waitcnt lgkmcnt(0)
	v_fmac_f32_e32 v37, v40, v39
	s_andn2_b64 exec, exec, s[16:17]
	s_cbranch_execnz .LBB95_549
; %bb.550:
	s_or_b64 exec, exec, s[16:17]
.LBB95_551:
	s_or_b64 exec, exec, s[14:15]
	v_mov_b32_e32 v10, 0
	ds_read_b32 v10, v10 offset:32
	s_waitcnt lgkmcnt(0)
	v_mul_f32_e32 v10, v37, v10
.LBB95_552:
	s_or_b64 exec, exec, s[12:13]
	v_cmp_gt_u32_e32 vcc, 9, v0
	ds_write_b32 v130, v11
	s_waitcnt lgkmcnt(0)
	; wave barrier
	s_and_saveexec_b64 s[10:11], vcc
	s_cbranch_execz .LBB95_574
; %bb.553:
	s_and_b64 vcc, exec, s[0:1]
	s_cbranch_vccnz .LBB95_555
; %bb.554:
	v_cmp_eq_u32_e32 vcc, 1, v0
	v_cndmask_b32_e32 v34, v2, v3, vcc
	v_cmp_eq_u32_e32 vcc, 2, v0
	v_cndmask_b32_e32 v34, v34, v4, vcc
	;; [unrolled: 2-line block ×27, first 2 shown]
	v_cmp_eq_u32_e32 vcc, 28, v0
	ds_read_b32 v35, v130
	v_cndmask_b32_e32 v34, v34, v30, vcc
	v_cmp_eq_u32_e32 vcc, 29, v0
	v_cndmask_b32_e32 v34, v34, v31, vcc
	v_cmp_eq_u32_e32 vcc, 30, v0
	;; [unrolled: 2-line block ×3, first 2 shown]
	v_cndmask_b32_e32 v34, v34, v33, vcc
	s_waitcnt lgkmcnt(0)
	v_mul_f32_e32 v34, v34, v35
	s_cbranch_execz .LBB95_556
	s_branch .LBB95_557
.LBB95_555:
                                        ; implicit-def: $vgpr34
.LBB95_556:
	ds_read_b32 v34, v130
.LBB95_557:
	v_cmp_ne_u32_e32 vcc, 8, v0
	s_and_saveexec_b64 s[12:13], vcc
	s_cbranch_execz .LBB95_573
; %bb.558:
	v_cmp_eq_u32_e32 vcc, 1, v36
	v_cndmask_b32_e32 v35, v2, v3, vcc
	v_cmp_eq_u32_e32 vcc, 2, v36
	v_cndmask_b32_e32 v35, v35, v4, vcc
	;; [unrolled: 2-line block ×27, first 2 shown]
	v_cmp_eq_u32_e32 vcc, 28, v36
	ds_read_b32 v37, v130 offset:4
	v_cndmask_b32_e32 v35, v35, v30, vcc
	v_cmp_eq_u32_e32 vcc, 29, v36
	v_cndmask_b32_e32 v35, v35, v31, vcc
	v_cmp_eq_u32_e32 vcc, 30, v36
	v_cndmask_b32_e32 v35, v35, v32, vcc
	v_cmp_eq_u32_e32 vcc, 31, v36
	v_cndmask_b32_e32 v35, v35, v33, vcc
	s_waitcnt lgkmcnt(0)
	v_fmac_f32_e32 v34, v35, v37
	s_and_saveexec_b64 s[14:15], s[8:9]
	s_cbranch_execz .LBB95_572
; %bb.559:
	v_add_u32_e32 v35, 2, v0
	v_cmp_eq_u32_e32 vcc, 1, v35
	v_cndmask_b32_e32 v36, v2, v3, vcc
	v_cmp_eq_u32_e32 vcc, 2, v35
	v_cndmask_b32_e32 v36, v36, v4, vcc
	;; [unrolled: 2-line block ×27, first 2 shown]
	v_cmp_eq_u32_e32 vcc, 28, v35
	ds_read_b32 v37, v130 offset:8
	v_cndmask_b32_e32 v36, v36, v30, vcc
	v_cmp_eq_u32_e32 vcc, 29, v35
	v_cndmask_b32_e32 v36, v36, v31, vcc
	v_cmp_eq_u32_e32 vcc, 30, v35
	;; [unrolled: 2-line block ×3, first 2 shown]
	v_cndmask_b32_e32 v35, v36, v33, vcc
	s_waitcnt lgkmcnt(0)
	v_fmac_f32_e32 v34, v35, v37
	v_cmp_ne_u32_e32 vcc, 6, v0
	s_and_saveexec_b64 s[8:9], vcc
	s_cbranch_execz .LBB95_571
; %bb.560:
	v_add_u32_e32 v35, 3, v0
	v_cmp_eq_u32_e32 vcc, 1, v35
	v_cndmask_b32_e32 v36, v2, v3, vcc
	v_cmp_eq_u32_e32 vcc, 2, v35
	v_cndmask_b32_e32 v36, v36, v4, vcc
	;; [unrolled: 2-line block ×27, first 2 shown]
	v_cmp_eq_u32_e32 vcc, 28, v35
	ds_read_b32 v37, v130 offset:12
	v_cndmask_b32_e32 v36, v36, v30, vcc
	v_cmp_eq_u32_e32 vcc, 29, v35
	v_cndmask_b32_e32 v36, v36, v31, vcc
	v_cmp_eq_u32_e32 vcc, 30, v35
	;; [unrolled: 2-line block ×3, first 2 shown]
	v_cndmask_b32_e32 v35, v36, v33, vcc
	s_waitcnt lgkmcnt(0)
	v_fmac_f32_e32 v34, v35, v37
	s_and_saveexec_b64 s[16:17], s[6:7]
	s_cbranch_execz .LBB95_570
; %bb.561:
	v_add_u32_e32 v35, 4, v0
	v_cmp_eq_u32_e32 vcc, 1, v35
	v_cndmask_b32_e32 v36, v2, v3, vcc
	v_cmp_eq_u32_e32 vcc, 2, v35
	v_cndmask_b32_e32 v36, v36, v4, vcc
	;; [unrolled: 2-line block ×27, first 2 shown]
	v_cmp_eq_u32_e32 vcc, 28, v35
	ds_read_b32 v37, v130 offset:16
	v_cndmask_b32_e32 v36, v36, v30, vcc
	v_cmp_eq_u32_e32 vcc, 29, v35
	v_cndmask_b32_e32 v36, v36, v31, vcc
	v_cmp_eq_u32_e32 vcc, 30, v35
	;; [unrolled: 2-line block ×3, first 2 shown]
	v_cndmask_b32_e32 v35, v36, v33, vcc
	s_waitcnt lgkmcnt(0)
	v_fmac_f32_e32 v34, v35, v37
	v_cmp_ne_u32_e32 vcc, 4, v0
	s_and_saveexec_b64 s[6:7], vcc
	s_cbranch_execz .LBB95_569
; %bb.562:
	v_add_u32_e32 v35, 5, v0
	v_cmp_eq_u32_e32 vcc, 1, v35
	v_cndmask_b32_e32 v36, v2, v3, vcc
	v_cmp_eq_u32_e32 vcc, 2, v35
	v_cndmask_b32_e32 v36, v36, v4, vcc
	;; [unrolled: 2-line block ×27, first 2 shown]
	v_cmp_eq_u32_e32 vcc, 28, v35
	ds_read_b32 v37, v130 offset:20
	v_cndmask_b32_e32 v36, v36, v30, vcc
	v_cmp_eq_u32_e32 vcc, 29, v35
	v_cndmask_b32_e32 v36, v36, v31, vcc
	v_cmp_eq_u32_e32 vcc, 30, v35
	;; [unrolled: 2-line block ×3, first 2 shown]
	v_cndmask_b32_e32 v35, v36, v33, vcc
	s_waitcnt lgkmcnt(0)
	v_fmac_f32_e32 v34, v35, v37
	s_and_saveexec_b64 s[18:19], s[4:5]
	s_cbranch_execz .LBB95_568
; %bb.563:
	v_add_u32_e32 v35, 6, v0
	v_cmp_eq_u32_e32 vcc, 1, v35
	v_cndmask_b32_e32 v36, v2, v3, vcc
	v_cmp_eq_u32_e32 vcc, 2, v35
	v_cndmask_b32_e32 v36, v36, v4, vcc
	;; [unrolled: 2-line block ×27, first 2 shown]
	v_cmp_eq_u32_e32 vcc, 28, v35
	ds_read_b32 v37, v130 offset:24
	v_cndmask_b32_e32 v36, v36, v30, vcc
	v_cmp_eq_u32_e32 vcc, 29, v35
	v_cndmask_b32_e32 v36, v36, v31, vcc
	v_cmp_eq_u32_e32 vcc, 30, v35
	;; [unrolled: 2-line block ×3, first 2 shown]
	v_cndmask_b32_e32 v35, v36, v33, vcc
	s_waitcnt lgkmcnt(0)
	v_fmac_f32_e32 v34, v35, v37
	v_cmp_ne_u32_e32 vcc, 2, v0
	s_and_saveexec_b64 s[4:5], vcc
	s_cbranch_execz .LBB95_567
; %bb.564:
	v_add_u32_e32 v35, 7, v0
	v_cmp_eq_u32_e32 vcc, 1, v35
	v_cndmask_b32_e32 v36, v2, v3, vcc
	v_cmp_eq_u32_e32 vcc, 2, v35
	v_cndmask_b32_e32 v36, v36, v4, vcc
	;; [unrolled: 2-line block ×27, first 2 shown]
	v_cmp_eq_u32_e32 vcc, 28, v35
	ds_read_b32 v36, v130 offset:28
	v_cndmask_b32_e32 v11, v11, v30, vcc
	v_cmp_eq_u32_e32 vcc, 29, v35
	v_cndmask_b32_e32 v11, v11, v31, vcc
	v_cmp_eq_u32_e32 vcc, 30, v35
	;; [unrolled: 2-line block ×3, first 2 shown]
	v_cndmask_b32_e32 v11, v11, v33, vcc
	s_waitcnt lgkmcnt(0)
	v_fmac_f32_e32 v34, v11, v36
	s_and_saveexec_b64 s[20:21], s[2:3]
	s_cbranch_execz .LBB95_566
; %bb.565:
	ds_read_b32 v11, v130 offset:32
	s_waitcnt lgkmcnt(0)
	v_fmac_f32_e32 v34, v10, v11
.LBB95_566:
	s_or_b64 exec, exec, s[20:21]
.LBB95_567:
	s_or_b64 exec, exec, s[4:5]
.LBB95_568:
	s_or_b64 exec, exec, s[18:19]
.LBB95_569:
	s_or_b64 exec, exec, s[6:7]
.LBB95_570:
	s_or_b64 exec, exec, s[16:17]
.LBB95_571:
	s_or_b64 exec, exec, s[8:9]
.LBB95_572:
	s_or_b64 exec, exec, s[14:15]
.LBB95_573:
	s_or_b64 exec, exec, s[12:13]
	v_mov_b32_e32 v11, 0
	ds_read_b32 v11, v11 offset:36
	s_waitcnt lgkmcnt(0)
	v_mul_f32_e32 v11, v34, v11
.LBB95_574:
	s_or_b64 exec, exec, s[10:11]
	v_cmp_gt_u32_e32 vcc, 10, v0
	ds_write_b32 v130, v12
	s_waitcnt lgkmcnt(0)
	; wave barrier
	s_and_saveexec_b64 s[4:5], vcc
	s_cbranch_execz .LBB95_584
; %bb.575:
	s_and_b64 vcc, exec, s[0:1]
	s_cbranch_vccnz .LBB95_577
; %bb.576:
	v_cmp_eq_u32_e32 vcc, 1, v0
	v_cndmask_b32_e32 v34, v2, v3, vcc
	v_cmp_eq_u32_e32 vcc, 2, v0
	v_cndmask_b32_e32 v34, v34, v4, vcc
	;; [unrolled: 2-line block ×27, first 2 shown]
	v_cmp_eq_u32_e32 vcc, 28, v0
	ds_read_b32 v35, v130
	v_cndmask_b32_e32 v34, v34, v30, vcc
	v_cmp_eq_u32_e32 vcc, 29, v0
	v_cndmask_b32_e32 v34, v34, v31, vcc
	v_cmp_eq_u32_e32 vcc, 30, v0
	;; [unrolled: 2-line block ×3, first 2 shown]
	v_cndmask_b32_e32 v34, v34, v33, vcc
	s_waitcnt lgkmcnt(0)
	v_mul_f32_e32 v36, v34, v35
	s_cbranch_execz .LBB95_578
	s_branch .LBB95_579
.LBB95_577:
                                        ; implicit-def: $vgpr36
.LBB95_578:
	ds_read_b32 v36, v130
.LBB95_579:
	v_cmp_ne_u32_e32 vcc, 9, v0
	s_and_saveexec_b64 s[6:7], vcc
	s_cbranch_execz .LBB95_583
; %bb.580:
	v_mov_b32_e32 v34, 0x84
	v_lshl_add_u32 v37, v0, 2, v34
	v_mov_b32_e32 v35, v1
	s_mov_b64 s[8:9], 0
	v_mov_b32_e32 v34, v0
.LBB95_581:                             ; =>This Inner Loop Header: Depth=1
	v_add_co_u32_e32 v34, vcc, 1, v34
	v_addc_co_u32_e32 v35, vcc, 0, v35, vcc
	v_cmp_eq_u32_e32 vcc, 1, v34
	v_cndmask_b32_e32 v39, v2, v3, vcc
	v_cmp_lt_u32_e32 vcc, 8, v34
	v_cmp_eq_u32_e64 s[2:3], 2, v34
	v_cndmask_b32_e64 v39, v39, v4, s[2:3]
	s_or_b64 s[8:9], vcc, s[8:9]
	v_cmp_eq_u32_e32 vcc, 3, v34
	v_cndmask_b32_e32 v39, v39, v5, vcc
	v_cmp_eq_u32_e32 vcc, 4, v34
	v_cndmask_b32_e32 v39, v39, v6, vcc
	;; [unrolled: 2-line block ×24, first 2 shown]
	v_cmp_eq_u32_e32 vcc, 27, v34
	ds_read_b32 v38, v37
	v_cndmask_b32_e32 v39, v39, v29, vcc
	v_cmp_eq_u32_e32 vcc, 28, v34
	v_cndmask_b32_e32 v39, v39, v30, vcc
	v_cmp_eq_u32_e32 vcc, 29, v34
	;; [unrolled: 2-line block ×4, first 2 shown]
	v_cndmask_b32_e32 v39, v39, v33, vcc
	v_add_u32_e32 v37, 4, v37
	s_waitcnt lgkmcnt(0)
	v_fmac_f32_e32 v36, v39, v38
	s_andn2_b64 exec, exec, s[8:9]
	s_cbranch_execnz .LBB95_581
; %bb.582:
	s_or_b64 exec, exec, s[8:9]
.LBB95_583:
	s_or_b64 exec, exec, s[6:7]
	v_mov_b32_e32 v12, 0
	ds_read_b32 v12, v12 offset:40
	s_waitcnt lgkmcnt(0)
	v_mul_f32_e32 v12, v36, v12
.LBB95_584:
	s_or_b64 exec, exec, s[4:5]
	v_cmp_gt_u32_e32 vcc, 11, v0
	ds_write_b32 v130, v13
	s_waitcnt lgkmcnt(0)
	; wave barrier
	s_and_saveexec_b64 s[4:5], vcc
	s_cbranch_execz .LBB95_594
; %bb.585:
	s_and_b64 vcc, exec, s[0:1]
	s_cbranch_vccnz .LBB95_587
; %bb.586:
	v_cmp_eq_u32_e32 vcc, 1, v0
	v_cndmask_b32_e32 v34, v2, v3, vcc
	v_cmp_eq_u32_e32 vcc, 2, v0
	v_cndmask_b32_e32 v34, v34, v4, vcc
	;; [unrolled: 2-line block ×27, first 2 shown]
	v_cmp_eq_u32_e32 vcc, 28, v0
	ds_read_b32 v35, v130
	v_cndmask_b32_e32 v34, v34, v30, vcc
	v_cmp_eq_u32_e32 vcc, 29, v0
	v_cndmask_b32_e32 v34, v34, v31, vcc
	v_cmp_eq_u32_e32 vcc, 30, v0
	;; [unrolled: 2-line block ×3, first 2 shown]
	v_cndmask_b32_e32 v34, v34, v33, vcc
	s_waitcnt lgkmcnt(0)
	v_mul_f32_e32 v36, v34, v35
	s_cbranch_execz .LBB95_588
	s_branch .LBB95_589
.LBB95_587:
                                        ; implicit-def: $vgpr36
.LBB95_588:
	ds_read_b32 v36, v130
.LBB95_589:
	v_cmp_ne_u32_e32 vcc, 10, v0
	s_and_saveexec_b64 s[6:7], vcc
	s_cbranch_execz .LBB95_593
; %bb.590:
	v_mov_b32_e32 v34, 0x84
	v_lshl_add_u32 v37, v0, 2, v34
	v_mov_b32_e32 v35, v1
	s_mov_b64 s[8:9], 0
	v_mov_b32_e32 v34, v0
.LBB95_591:                             ; =>This Inner Loop Header: Depth=1
	v_add_co_u32_e32 v34, vcc, 1, v34
	v_addc_co_u32_e32 v35, vcc, 0, v35, vcc
	v_cmp_eq_u32_e32 vcc, 1, v34
	v_cndmask_b32_e32 v39, v2, v3, vcc
	v_cmp_lt_u32_e32 vcc, 9, v34
	v_cmp_eq_u32_e64 s[2:3], 2, v34
	v_cndmask_b32_e64 v39, v39, v4, s[2:3]
	s_or_b64 s[8:9], vcc, s[8:9]
	v_cmp_eq_u32_e32 vcc, 3, v34
	v_cndmask_b32_e32 v39, v39, v5, vcc
	v_cmp_eq_u32_e32 vcc, 4, v34
	v_cndmask_b32_e32 v39, v39, v6, vcc
	;; [unrolled: 2-line block ×24, first 2 shown]
	v_cmp_eq_u32_e32 vcc, 27, v34
	ds_read_b32 v38, v37
	v_cndmask_b32_e32 v39, v39, v29, vcc
	v_cmp_eq_u32_e32 vcc, 28, v34
	v_cndmask_b32_e32 v39, v39, v30, vcc
	v_cmp_eq_u32_e32 vcc, 29, v34
	;; [unrolled: 2-line block ×4, first 2 shown]
	v_cndmask_b32_e32 v39, v39, v33, vcc
	v_add_u32_e32 v37, 4, v37
	s_waitcnt lgkmcnt(0)
	v_fmac_f32_e32 v36, v39, v38
	s_andn2_b64 exec, exec, s[8:9]
	s_cbranch_execnz .LBB95_591
; %bb.592:
	s_or_b64 exec, exec, s[8:9]
.LBB95_593:
	s_or_b64 exec, exec, s[6:7]
	v_mov_b32_e32 v13, 0
	ds_read_b32 v13, v13 offset:44
	s_waitcnt lgkmcnt(0)
	v_mul_f32_e32 v13, v36, v13
.LBB95_594:
	s_or_b64 exec, exec, s[4:5]
	v_cmp_gt_u32_e32 vcc, 12, v0
	ds_write_b32 v130, v14
	s_waitcnt lgkmcnt(0)
	; wave barrier
	s_and_saveexec_b64 s[4:5], vcc
	s_cbranch_execz .LBB95_604
; %bb.595:
	s_and_b64 vcc, exec, s[0:1]
	s_cbranch_vccnz .LBB95_597
; %bb.596:
	v_cmp_eq_u32_e32 vcc, 1, v0
	v_cndmask_b32_e32 v34, v2, v3, vcc
	v_cmp_eq_u32_e32 vcc, 2, v0
	v_cndmask_b32_e32 v34, v34, v4, vcc
	v_cmp_eq_u32_e32 vcc, 3, v0
	v_cndmask_b32_e32 v34, v34, v5, vcc
	v_cmp_eq_u32_e32 vcc, 4, v0
	v_cndmask_b32_e32 v34, v34, v6, vcc
	v_cmp_eq_u32_e32 vcc, 5, v0
	v_cndmask_b32_e32 v34, v34, v7, vcc
	v_cmp_eq_u32_e32 vcc, 6, v0
	v_cndmask_b32_e32 v34, v34, v8, vcc
	v_cmp_eq_u32_e32 vcc, 7, v0
	v_cndmask_b32_e32 v34, v34, v9, vcc
	v_cmp_eq_u32_e32 vcc, 8, v0
	v_cndmask_b32_e32 v34, v34, v10, vcc
	v_cmp_eq_u32_e32 vcc, 9, v0
	v_cndmask_b32_e32 v34, v34, v11, vcc
	v_cmp_eq_u32_e32 vcc, 10, v0
	v_cndmask_b32_e32 v34, v34, v12, vcc
	v_cmp_eq_u32_e32 vcc, 11, v0
	v_cndmask_b32_e32 v34, v34, v13, vcc
	v_cmp_eq_u32_e32 vcc, 12, v0
	v_cndmask_b32_e32 v34, v34, v14, vcc
	v_cmp_eq_u32_e32 vcc, 13, v0
	v_cndmask_b32_e32 v34, v34, v15, vcc
	v_cmp_eq_u32_e32 vcc, 14, v0
	v_cndmask_b32_e32 v34, v34, v16, vcc
	v_cmp_eq_u32_e32 vcc, 15, v0
	v_cndmask_b32_e32 v34, v34, v17, vcc
	v_cmp_eq_u32_e32 vcc, 16, v0
	v_cndmask_b32_e32 v34, v34, v18, vcc
	v_cmp_eq_u32_e32 vcc, 17, v0
	v_cndmask_b32_e32 v34, v34, v19, vcc
	v_cmp_eq_u32_e32 vcc, 18, v0
	v_cndmask_b32_e32 v34, v34, v20, vcc
	v_cmp_eq_u32_e32 vcc, 19, v0
	v_cndmask_b32_e32 v34, v34, v21, vcc
	v_cmp_eq_u32_e32 vcc, 20, v0
	v_cndmask_b32_e32 v34, v34, v22, vcc
	v_cmp_eq_u32_e32 vcc, 21, v0
	v_cndmask_b32_e32 v34, v34, v23, vcc
	v_cmp_eq_u32_e32 vcc, 22, v0
	v_cndmask_b32_e32 v34, v34, v24, vcc
	v_cmp_eq_u32_e32 vcc, 23, v0
	v_cndmask_b32_e32 v34, v34, v25, vcc
	v_cmp_eq_u32_e32 vcc, 24, v0
	v_cndmask_b32_e32 v34, v34, v26, vcc
	v_cmp_eq_u32_e32 vcc, 25, v0
	v_cndmask_b32_e32 v34, v34, v27, vcc
	v_cmp_eq_u32_e32 vcc, 26, v0
	v_cndmask_b32_e32 v34, v34, v28, vcc
	v_cmp_eq_u32_e32 vcc, 27, v0
	v_cndmask_b32_e32 v34, v34, v29, vcc
	v_cmp_eq_u32_e32 vcc, 28, v0
	ds_read_b32 v35, v130
	v_cndmask_b32_e32 v34, v34, v30, vcc
	v_cmp_eq_u32_e32 vcc, 29, v0
	v_cndmask_b32_e32 v34, v34, v31, vcc
	v_cmp_eq_u32_e32 vcc, 30, v0
	;; [unrolled: 2-line block ×3, first 2 shown]
	v_cndmask_b32_e32 v34, v34, v33, vcc
	s_waitcnt lgkmcnt(0)
	v_mul_f32_e32 v36, v34, v35
	s_cbranch_execz .LBB95_598
	s_branch .LBB95_599
.LBB95_597:
                                        ; implicit-def: $vgpr36
.LBB95_598:
	ds_read_b32 v36, v130
.LBB95_599:
	v_cmp_ne_u32_e32 vcc, 11, v0
	s_and_saveexec_b64 s[6:7], vcc
	s_cbranch_execz .LBB95_603
; %bb.600:
	v_mov_b32_e32 v34, 0x84
	v_lshl_add_u32 v37, v0, 2, v34
	v_mov_b32_e32 v35, v1
	s_mov_b64 s[8:9], 0
	v_mov_b32_e32 v34, v0
.LBB95_601:                             ; =>This Inner Loop Header: Depth=1
	v_add_co_u32_e32 v34, vcc, 1, v34
	v_addc_co_u32_e32 v35, vcc, 0, v35, vcc
	v_cmp_eq_u32_e32 vcc, 1, v34
	v_cndmask_b32_e32 v39, v2, v3, vcc
	v_cmp_lt_u32_e32 vcc, 10, v34
	v_cmp_eq_u32_e64 s[2:3], 2, v34
	v_cndmask_b32_e64 v39, v39, v4, s[2:3]
	s_or_b64 s[8:9], vcc, s[8:9]
	v_cmp_eq_u32_e32 vcc, 3, v34
	v_cndmask_b32_e32 v39, v39, v5, vcc
	v_cmp_eq_u32_e32 vcc, 4, v34
	v_cndmask_b32_e32 v39, v39, v6, vcc
	;; [unrolled: 2-line block ×24, first 2 shown]
	v_cmp_eq_u32_e32 vcc, 27, v34
	ds_read_b32 v38, v37
	v_cndmask_b32_e32 v39, v39, v29, vcc
	v_cmp_eq_u32_e32 vcc, 28, v34
	v_cndmask_b32_e32 v39, v39, v30, vcc
	v_cmp_eq_u32_e32 vcc, 29, v34
	;; [unrolled: 2-line block ×4, first 2 shown]
	v_cndmask_b32_e32 v39, v39, v33, vcc
	v_add_u32_e32 v37, 4, v37
	s_waitcnt lgkmcnt(0)
	v_fmac_f32_e32 v36, v39, v38
	s_andn2_b64 exec, exec, s[8:9]
	s_cbranch_execnz .LBB95_601
; %bb.602:
	s_or_b64 exec, exec, s[8:9]
.LBB95_603:
	s_or_b64 exec, exec, s[6:7]
	v_mov_b32_e32 v14, 0
	ds_read_b32 v14, v14 offset:48
	s_waitcnt lgkmcnt(0)
	v_mul_f32_e32 v14, v36, v14
.LBB95_604:
	s_or_b64 exec, exec, s[4:5]
	v_cmp_gt_u32_e32 vcc, 13, v0
	ds_write_b32 v130, v15
	s_waitcnt lgkmcnt(0)
	; wave barrier
	s_and_saveexec_b64 s[4:5], vcc
	s_cbranch_execz .LBB95_614
; %bb.605:
	s_and_b64 vcc, exec, s[0:1]
	s_cbranch_vccnz .LBB95_607
; %bb.606:
	v_cmp_eq_u32_e32 vcc, 1, v0
	v_cndmask_b32_e32 v34, v2, v3, vcc
	v_cmp_eq_u32_e32 vcc, 2, v0
	v_cndmask_b32_e32 v34, v34, v4, vcc
	;; [unrolled: 2-line block ×27, first 2 shown]
	v_cmp_eq_u32_e32 vcc, 28, v0
	ds_read_b32 v35, v130
	v_cndmask_b32_e32 v34, v34, v30, vcc
	v_cmp_eq_u32_e32 vcc, 29, v0
	v_cndmask_b32_e32 v34, v34, v31, vcc
	v_cmp_eq_u32_e32 vcc, 30, v0
	v_cndmask_b32_e32 v34, v34, v32, vcc
	v_cmp_eq_u32_e32 vcc, 31, v0
	v_cndmask_b32_e32 v34, v34, v33, vcc
	s_waitcnt lgkmcnt(0)
	v_mul_f32_e32 v36, v34, v35
	s_cbranch_execz .LBB95_608
	s_branch .LBB95_609
.LBB95_607:
                                        ; implicit-def: $vgpr36
.LBB95_608:
	ds_read_b32 v36, v130
.LBB95_609:
	v_cmp_ne_u32_e32 vcc, 12, v0
	s_and_saveexec_b64 s[6:7], vcc
	s_cbranch_execz .LBB95_613
; %bb.610:
	v_mov_b32_e32 v34, 0x84
	v_lshl_add_u32 v37, v0, 2, v34
	v_mov_b32_e32 v35, v1
	s_mov_b64 s[8:9], 0
	v_mov_b32_e32 v34, v0
.LBB95_611:                             ; =>This Inner Loop Header: Depth=1
	v_add_co_u32_e32 v34, vcc, 1, v34
	v_addc_co_u32_e32 v35, vcc, 0, v35, vcc
	v_cmp_eq_u32_e32 vcc, 1, v34
	v_cndmask_b32_e32 v39, v2, v3, vcc
	v_cmp_lt_u32_e32 vcc, 11, v34
	v_cmp_eq_u32_e64 s[2:3], 2, v34
	v_cndmask_b32_e64 v39, v39, v4, s[2:3]
	s_or_b64 s[8:9], vcc, s[8:9]
	v_cmp_eq_u32_e32 vcc, 3, v34
	v_cndmask_b32_e32 v39, v39, v5, vcc
	v_cmp_eq_u32_e32 vcc, 4, v34
	v_cndmask_b32_e32 v39, v39, v6, vcc
	;; [unrolled: 2-line block ×24, first 2 shown]
	v_cmp_eq_u32_e32 vcc, 27, v34
	ds_read_b32 v38, v37
	v_cndmask_b32_e32 v39, v39, v29, vcc
	v_cmp_eq_u32_e32 vcc, 28, v34
	v_cndmask_b32_e32 v39, v39, v30, vcc
	v_cmp_eq_u32_e32 vcc, 29, v34
	;; [unrolled: 2-line block ×4, first 2 shown]
	v_cndmask_b32_e32 v39, v39, v33, vcc
	v_add_u32_e32 v37, 4, v37
	s_waitcnt lgkmcnt(0)
	v_fmac_f32_e32 v36, v39, v38
	s_andn2_b64 exec, exec, s[8:9]
	s_cbranch_execnz .LBB95_611
; %bb.612:
	s_or_b64 exec, exec, s[8:9]
.LBB95_613:
	s_or_b64 exec, exec, s[6:7]
	v_mov_b32_e32 v15, 0
	ds_read_b32 v15, v15 offset:52
	s_waitcnt lgkmcnt(0)
	v_mul_f32_e32 v15, v36, v15
.LBB95_614:
	s_or_b64 exec, exec, s[4:5]
	v_cmp_gt_u32_e32 vcc, 14, v0
	ds_write_b32 v130, v16
	s_waitcnt lgkmcnt(0)
	; wave barrier
	s_and_saveexec_b64 s[4:5], vcc
	s_cbranch_execz .LBB95_624
; %bb.615:
	s_and_b64 vcc, exec, s[0:1]
	s_cbranch_vccnz .LBB95_617
; %bb.616:
	v_cmp_eq_u32_e32 vcc, 1, v0
	v_cndmask_b32_e32 v34, v2, v3, vcc
	v_cmp_eq_u32_e32 vcc, 2, v0
	v_cndmask_b32_e32 v34, v34, v4, vcc
	;; [unrolled: 2-line block ×27, first 2 shown]
	v_cmp_eq_u32_e32 vcc, 28, v0
	ds_read_b32 v35, v130
	v_cndmask_b32_e32 v34, v34, v30, vcc
	v_cmp_eq_u32_e32 vcc, 29, v0
	v_cndmask_b32_e32 v34, v34, v31, vcc
	v_cmp_eq_u32_e32 vcc, 30, v0
	;; [unrolled: 2-line block ×3, first 2 shown]
	v_cndmask_b32_e32 v34, v34, v33, vcc
	s_waitcnt lgkmcnt(0)
	v_mul_f32_e32 v36, v34, v35
	s_cbranch_execz .LBB95_618
	s_branch .LBB95_619
.LBB95_617:
                                        ; implicit-def: $vgpr36
.LBB95_618:
	ds_read_b32 v36, v130
.LBB95_619:
	v_cmp_ne_u32_e32 vcc, 13, v0
	s_and_saveexec_b64 s[6:7], vcc
	s_cbranch_execz .LBB95_623
; %bb.620:
	v_mov_b32_e32 v34, 0x84
	v_lshl_add_u32 v37, v0, 2, v34
	v_mov_b32_e32 v35, v1
	s_mov_b64 s[8:9], 0
	v_mov_b32_e32 v34, v0
.LBB95_621:                             ; =>This Inner Loop Header: Depth=1
	v_add_co_u32_e32 v34, vcc, 1, v34
	v_addc_co_u32_e32 v35, vcc, 0, v35, vcc
	v_cmp_eq_u32_e32 vcc, 1, v34
	v_cndmask_b32_e32 v39, v2, v3, vcc
	v_cmp_lt_u32_e32 vcc, 12, v34
	v_cmp_eq_u32_e64 s[2:3], 2, v34
	v_cndmask_b32_e64 v39, v39, v4, s[2:3]
	s_or_b64 s[8:9], vcc, s[8:9]
	v_cmp_eq_u32_e32 vcc, 3, v34
	v_cndmask_b32_e32 v39, v39, v5, vcc
	v_cmp_eq_u32_e32 vcc, 4, v34
	v_cndmask_b32_e32 v39, v39, v6, vcc
	;; [unrolled: 2-line block ×24, first 2 shown]
	v_cmp_eq_u32_e32 vcc, 27, v34
	ds_read_b32 v38, v37
	v_cndmask_b32_e32 v39, v39, v29, vcc
	v_cmp_eq_u32_e32 vcc, 28, v34
	v_cndmask_b32_e32 v39, v39, v30, vcc
	v_cmp_eq_u32_e32 vcc, 29, v34
	v_cndmask_b32_e32 v39, v39, v31, vcc
	v_cmp_eq_u32_e32 vcc, 30, v34
	v_cndmask_b32_e32 v39, v39, v32, vcc
	v_cmp_eq_u32_e32 vcc, 31, v34
	v_cndmask_b32_e32 v39, v39, v33, vcc
	v_add_u32_e32 v37, 4, v37
	s_waitcnt lgkmcnt(0)
	v_fmac_f32_e32 v36, v39, v38
	s_andn2_b64 exec, exec, s[8:9]
	s_cbranch_execnz .LBB95_621
; %bb.622:
	s_or_b64 exec, exec, s[8:9]
.LBB95_623:
	s_or_b64 exec, exec, s[6:7]
	v_mov_b32_e32 v16, 0
	ds_read_b32 v16, v16 offset:56
	s_waitcnt lgkmcnt(0)
	v_mul_f32_e32 v16, v36, v16
.LBB95_624:
	s_or_b64 exec, exec, s[4:5]
	v_cmp_gt_u32_e32 vcc, 15, v0
	ds_write_b32 v130, v17
	s_waitcnt lgkmcnt(0)
	; wave barrier
	s_and_saveexec_b64 s[4:5], vcc
	s_cbranch_execz .LBB95_634
; %bb.625:
	s_and_b64 vcc, exec, s[0:1]
	s_cbranch_vccnz .LBB95_627
; %bb.626:
	v_cmp_eq_u32_e32 vcc, 1, v0
	v_cndmask_b32_e32 v34, v2, v3, vcc
	v_cmp_eq_u32_e32 vcc, 2, v0
	v_cndmask_b32_e32 v34, v34, v4, vcc
	;; [unrolled: 2-line block ×27, first 2 shown]
	v_cmp_eq_u32_e32 vcc, 28, v0
	ds_read_b32 v35, v130
	v_cndmask_b32_e32 v34, v34, v30, vcc
	v_cmp_eq_u32_e32 vcc, 29, v0
	v_cndmask_b32_e32 v34, v34, v31, vcc
	v_cmp_eq_u32_e32 vcc, 30, v0
	;; [unrolled: 2-line block ×3, first 2 shown]
	v_cndmask_b32_e32 v34, v34, v33, vcc
	s_waitcnt lgkmcnt(0)
	v_mul_f32_e32 v36, v34, v35
	s_cbranch_execz .LBB95_628
	s_branch .LBB95_629
.LBB95_627:
                                        ; implicit-def: $vgpr36
.LBB95_628:
	ds_read_b32 v36, v130
.LBB95_629:
	v_cmp_ne_u32_e32 vcc, 14, v0
	s_and_saveexec_b64 s[6:7], vcc
	s_cbranch_execz .LBB95_633
; %bb.630:
	v_mov_b32_e32 v34, 0x84
	v_lshl_add_u32 v37, v0, 2, v34
	v_mov_b32_e32 v35, v1
	s_mov_b64 s[8:9], 0
	v_mov_b32_e32 v34, v0
.LBB95_631:                             ; =>This Inner Loop Header: Depth=1
	v_add_co_u32_e32 v34, vcc, 1, v34
	v_addc_co_u32_e32 v35, vcc, 0, v35, vcc
	v_cmp_eq_u32_e32 vcc, 1, v34
	v_cndmask_b32_e32 v39, v2, v3, vcc
	v_cmp_lt_u32_e32 vcc, 13, v34
	v_cmp_eq_u32_e64 s[2:3], 2, v34
	v_cndmask_b32_e64 v39, v39, v4, s[2:3]
	s_or_b64 s[8:9], vcc, s[8:9]
	v_cmp_eq_u32_e32 vcc, 3, v34
	v_cndmask_b32_e32 v39, v39, v5, vcc
	v_cmp_eq_u32_e32 vcc, 4, v34
	v_cndmask_b32_e32 v39, v39, v6, vcc
	;; [unrolled: 2-line block ×24, first 2 shown]
	v_cmp_eq_u32_e32 vcc, 27, v34
	ds_read_b32 v38, v37
	v_cndmask_b32_e32 v39, v39, v29, vcc
	v_cmp_eq_u32_e32 vcc, 28, v34
	v_cndmask_b32_e32 v39, v39, v30, vcc
	v_cmp_eq_u32_e32 vcc, 29, v34
	;; [unrolled: 2-line block ×4, first 2 shown]
	v_cndmask_b32_e32 v39, v39, v33, vcc
	v_add_u32_e32 v37, 4, v37
	s_waitcnt lgkmcnt(0)
	v_fmac_f32_e32 v36, v39, v38
	s_andn2_b64 exec, exec, s[8:9]
	s_cbranch_execnz .LBB95_631
; %bb.632:
	s_or_b64 exec, exec, s[8:9]
.LBB95_633:
	s_or_b64 exec, exec, s[6:7]
	v_mov_b32_e32 v17, 0
	ds_read_b32 v17, v17 offset:60
	s_waitcnt lgkmcnt(0)
	v_mul_f32_e32 v17, v36, v17
.LBB95_634:
	s_or_b64 exec, exec, s[4:5]
	v_cmp_gt_u32_e32 vcc, 16, v0
	ds_write_b32 v130, v18
	s_waitcnt lgkmcnt(0)
	; wave barrier
	s_and_saveexec_b64 s[4:5], vcc
	s_cbranch_execz .LBB95_644
; %bb.635:
	s_and_b64 vcc, exec, s[0:1]
	s_cbranch_vccnz .LBB95_637
; %bb.636:
	v_cmp_eq_u32_e32 vcc, 1, v0
	v_cndmask_b32_e32 v34, v2, v3, vcc
	v_cmp_eq_u32_e32 vcc, 2, v0
	v_cndmask_b32_e32 v34, v34, v4, vcc
	;; [unrolled: 2-line block ×27, first 2 shown]
	v_cmp_eq_u32_e32 vcc, 28, v0
	ds_read_b32 v35, v130
	v_cndmask_b32_e32 v34, v34, v30, vcc
	v_cmp_eq_u32_e32 vcc, 29, v0
	v_cndmask_b32_e32 v34, v34, v31, vcc
	v_cmp_eq_u32_e32 vcc, 30, v0
	;; [unrolled: 2-line block ×3, first 2 shown]
	v_cndmask_b32_e32 v34, v34, v33, vcc
	s_waitcnt lgkmcnt(0)
	v_mul_f32_e32 v36, v34, v35
	s_cbranch_execz .LBB95_638
	s_branch .LBB95_639
.LBB95_637:
                                        ; implicit-def: $vgpr36
.LBB95_638:
	ds_read_b32 v36, v130
.LBB95_639:
	v_cmp_ne_u32_e32 vcc, 15, v0
	s_and_saveexec_b64 s[6:7], vcc
	s_cbranch_execz .LBB95_643
; %bb.640:
	v_mov_b32_e32 v34, 0x84
	v_lshl_add_u32 v37, v0, 2, v34
	v_mov_b32_e32 v35, v1
	s_mov_b64 s[8:9], 0
	v_mov_b32_e32 v34, v0
.LBB95_641:                             ; =>This Inner Loop Header: Depth=1
	v_add_co_u32_e32 v34, vcc, 1, v34
	v_addc_co_u32_e32 v35, vcc, 0, v35, vcc
	v_cmp_eq_u32_e32 vcc, 1, v34
	v_cndmask_b32_e32 v39, v2, v3, vcc
	v_cmp_lt_u32_e32 vcc, 14, v34
	v_cmp_eq_u32_e64 s[2:3], 2, v34
	v_cndmask_b32_e64 v39, v39, v4, s[2:3]
	s_or_b64 s[8:9], vcc, s[8:9]
	v_cmp_eq_u32_e32 vcc, 3, v34
	v_cndmask_b32_e32 v39, v39, v5, vcc
	v_cmp_eq_u32_e32 vcc, 4, v34
	v_cndmask_b32_e32 v39, v39, v6, vcc
	;; [unrolled: 2-line block ×24, first 2 shown]
	v_cmp_eq_u32_e32 vcc, 27, v34
	ds_read_b32 v38, v37
	v_cndmask_b32_e32 v39, v39, v29, vcc
	v_cmp_eq_u32_e32 vcc, 28, v34
	v_cndmask_b32_e32 v39, v39, v30, vcc
	v_cmp_eq_u32_e32 vcc, 29, v34
	v_cndmask_b32_e32 v39, v39, v31, vcc
	v_cmp_eq_u32_e32 vcc, 30, v34
	v_cndmask_b32_e32 v39, v39, v32, vcc
	v_cmp_eq_u32_e32 vcc, 31, v34
	v_cndmask_b32_e32 v39, v39, v33, vcc
	v_add_u32_e32 v37, 4, v37
	s_waitcnt lgkmcnt(0)
	v_fmac_f32_e32 v36, v39, v38
	s_andn2_b64 exec, exec, s[8:9]
	s_cbranch_execnz .LBB95_641
; %bb.642:
	s_or_b64 exec, exec, s[8:9]
.LBB95_643:
	s_or_b64 exec, exec, s[6:7]
	v_mov_b32_e32 v18, 0
	ds_read_b32 v18, v18 offset:64
	s_waitcnt lgkmcnt(0)
	v_mul_f32_e32 v18, v36, v18
.LBB95_644:
	s_or_b64 exec, exec, s[4:5]
	v_cmp_gt_u32_e32 vcc, 17, v0
	ds_write_b32 v130, v19
	s_waitcnt lgkmcnt(0)
	; wave barrier
	s_and_saveexec_b64 s[4:5], vcc
	s_cbranch_execz .LBB95_654
; %bb.645:
	s_and_b64 vcc, exec, s[0:1]
	s_cbranch_vccnz .LBB95_647
; %bb.646:
	v_cmp_eq_u32_e32 vcc, 1, v0
	v_cndmask_b32_e32 v34, v2, v3, vcc
	v_cmp_eq_u32_e32 vcc, 2, v0
	v_cndmask_b32_e32 v34, v34, v4, vcc
	;; [unrolled: 2-line block ×27, first 2 shown]
	v_cmp_eq_u32_e32 vcc, 28, v0
	ds_read_b32 v35, v130
	v_cndmask_b32_e32 v34, v34, v30, vcc
	v_cmp_eq_u32_e32 vcc, 29, v0
	v_cndmask_b32_e32 v34, v34, v31, vcc
	v_cmp_eq_u32_e32 vcc, 30, v0
	;; [unrolled: 2-line block ×3, first 2 shown]
	v_cndmask_b32_e32 v34, v34, v33, vcc
	s_waitcnt lgkmcnt(0)
	v_mul_f32_e32 v36, v34, v35
	s_cbranch_execz .LBB95_648
	s_branch .LBB95_649
.LBB95_647:
                                        ; implicit-def: $vgpr36
.LBB95_648:
	ds_read_b32 v36, v130
.LBB95_649:
	v_cmp_ne_u32_e32 vcc, 16, v0
	s_and_saveexec_b64 s[6:7], vcc
	s_cbranch_execz .LBB95_653
; %bb.650:
	v_mov_b32_e32 v34, 0x84
	v_lshl_add_u32 v37, v0, 2, v34
	v_mov_b32_e32 v35, v1
	s_mov_b64 s[8:9], 0
	v_mov_b32_e32 v34, v0
.LBB95_651:                             ; =>This Inner Loop Header: Depth=1
	v_add_co_u32_e32 v34, vcc, 1, v34
	v_addc_co_u32_e32 v35, vcc, 0, v35, vcc
	v_cmp_eq_u32_e32 vcc, 1, v34
	v_cndmask_b32_e32 v39, v2, v3, vcc
	v_cmp_lt_u32_e32 vcc, 15, v34
	v_cmp_eq_u32_e64 s[2:3], 2, v34
	v_cndmask_b32_e64 v39, v39, v4, s[2:3]
	s_or_b64 s[8:9], vcc, s[8:9]
	v_cmp_eq_u32_e32 vcc, 3, v34
	v_cndmask_b32_e32 v39, v39, v5, vcc
	v_cmp_eq_u32_e32 vcc, 4, v34
	v_cndmask_b32_e32 v39, v39, v6, vcc
	;; [unrolled: 2-line block ×24, first 2 shown]
	v_cmp_eq_u32_e32 vcc, 27, v34
	ds_read_b32 v38, v37
	v_cndmask_b32_e32 v39, v39, v29, vcc
	v_cmp_eq_u32_e32 vcc, 28, v34
	v_cndmask_b32_e32 v39, v39, v30, vcc
	v_cmp_eq_u32_e32 vcc, 29, v34
	;; [unrolled: 2-line block ×4, first 2 shown]
	v_cndmask_b32_e32 v39, v39, v33, vcc
	v_add_u32_e32 v37, 4, v37
	s_waitcnt lgkmcnt(0)
	v_fmac_f32_e32 v36, v39, v38
	s_andn2_b64 exec, exec, s[8:9]
	s_cbranch_execnz .LBB95_651
; %bb.652:
	s_or_b64 exec, exec, s[8:9]
.LBB95_653:
	s_or_b64 exec, exec, s[6:7]
	v_mov_b32_e32 v19, 0
	ds_read_b32 v19, v19 offset:68
	s_waitcnt lgkmcnt(0)
	v_mul_f32_e32 v19, v36, v19
.LBB95_654:
	s_or_b64 exec, exec, s[4:5]
	v_cmp_gt_u32_e32 vcc, 18, v0
	ds_write_b32 v130, v20
	s_waitcnt lgkmcnt(0)
	; wave barrier
	s_and_saveexec_b64 s[4:5], vcc
	s_cbranch_execz .LBB95_664
; %bb.655:
	s_and_b64 vcc, exec, s[0:1]
	s_cbranch_vccnz .LBB95_657
; %bb.656:
	v_cmp_eq_u32_e32 vcc, 1, v0
	v_cndmask_b32_e32 v34, v2, v3, vcc
	v_cmp_eq_u32_e32 vcc, 2, v0
	v_cndmask_b32_e32 v34, v34, v4, vcc
	;; [unrolled: 2-line block ×27, first 2 shown]
	v_cmp_eq_u32_e32 vcc, 28, v0
	ds_read_b32 v35, v130
	v_cndmask_b32_e32 v34, v34, v30, vcc
	v_cmp_eq_u32_e32 vcc, 29, v0
	v_cndmask_b32_e32 v34, v34, v31, vcc
	v_cmp_eq_u32_e32 vcc, 30, v0
	;; [unrolled: 2-line block ×3, first 2 shown]
	v_cndmask_b32_e32 v34, v34, v33, vcc
	s_waitcnt lgkmcnt(0)
	v_mul_f32_e32 v36, v34, v35
	s_cbranch_execz .LBB95_658
	s_branch .LBB95_659
.LBB95_657:
                                        ; implicit-def: $vgpr36
.LBB95_658:
	ds_read_b32 v36, v130
.LBB95_659:
	v_cmp_ne_u32_e32 vcc, 17, v0
	s_and_saveexec_b64 s[6:7], vcc
	s_cbranch_execz .LBB95_663
; %bb.660:
	v_mov_b32_e32 v34, 0x84
	v_lshl_add_u32 v37, v0, 2, v34
	v_mov_b32_e32 v35, v1
	s_mov_b64 s[8:9], 0
	v_mov_b32_e32 v34, v0
.LBB95_661:                             ; =>This Inner Loop Header: Depth=1
	v_add_co_u32_e32 v34, vcc, 1, v34
	v_addc_co_u32_e32 v35, vcc, 0, v35, vcc
	v_cmp_eq_u32_e32 vcc, 1, v34
	v_cndmask_b32_e32 v39, v2, v3, vcc
	v_cmp_lt_u32_e32 vcc, 16, v34
	v_cmp_eq_u32_e64 s[2:3], 2, v34
	v_cndmask_b32_e64 v39, v39, v4, s[2:3]
	s_or_b64 s[8:9], vcc, s[8:9]
	v_cmp_eq_u32_e32 vcc, 3, v34
	v_cndmask_b32_e32 v39, v39, v5, vcc
	v_cmp_eq_u32_e32 vcc, 4, v34
	v_cndmask_b32_e32 v39, v39, v6, vcc
	;; [unrolled: 2-line block ×24, first 2 shown]
	v_cmp_eq_u32_e32 vcc, 27, v34
	ds_read_b32 v38, v37
	v_cndmask_b32_e32 v39, v39, v29, vcc
	v_cmp_eq_u32_e32 vcc, 28, v34
	v_cndmask_b32_e32 v39, v39, v30, vcc
	v_cmp_eq_u32_e32 vcc, 29, v34
	;; [unrolled: 2-line block ×4, first 2 shown]
	v_cndmask_b32_e32 v39, v39, v33, vcc
	v_add_u32_e32 v37, 4, v37
	s_waitcnt lgkmcnt(0)
	v_fmac_f32_e32 v36, v39, v38
	s_andn2_b64 exec, exec, s[8:9]
	s_cbranch_execnz .LBB95_661
; %bb.662:
	s_or_b64 exec, exec, s[8:9]
.LBB95_663:
	s_or_b64 exec, exec, s[6:7]
	v_mov_b32_e32 v20, 0
	ds_read_b32 v20, v20 offset:72
	s_waitcnt lgkmcnt(0)
	v_mul_f32_e32 v20, v36, v20
.LBB95_664:
	s_or_b64 exec, exec, s[4:5]
	v_cmp_gt_u32_e32 vcc, 19, v0
	ds_write_b32 v130, v21
	s_waitcnt lgkmcnt(0)
	; wave barrier
	s_and_saveexec_b64 s[4:5], vcc
	s_cbranch_execz .LBB95_674
; %bb.665:
	s_and_b64 vcc, exec, s[0:1]
	s_cbranch_vccnz .LBB95_667
; %bb.666:
	v_cmp_eq_u32_e32 vcc, 1, v0
	v_cndmask_b32_e32 v34, v2, v3, vcc
	v_cmp_eq_u32_e32 vcc, 2, v0
	v_cndmask_b32_e32 v34, v34, v4, vcc
	;; [unrolled: 2-line block ×27, first 2 shown]
	v_cmp_eq_u32_e32 vcc, 28, v0
	ds_read_b32 v35, v130
	v_cndmask_b32_e32 v34, v34, v30, vcc
	v_cmp_eq_u32_e32 vcc, 29, v0
	v_cndmask_b32_e32 v34, v34, v31, vcc
	v_cmp_eq_u32_e32 vcc, 30, v0
	;; [unrolled: 2-line block ×3, first 2 shown]
	v_cndmask_b32_e32 v34, v34, v33, vcc
	s_waitcnt lgkmcnt(0)
	v_mul_f32_e32 v36, v34, v35
	s_cbranch_execz .LBB95_668
	s_branch .LBB95_669
.LBB95_667:
                                        ; implicit-def: $vgpr36
.LBB95_668:
	ds_read_b32 v36, v130
.LBB95_669:
	v_cmp_ne_u32_e32 vcc, 18, v0
	s_and_saveexec_b64 s[6:7], vcc
	s_cbranch_execz .LBB95_673
; %bb.670:
	v_mov_b32_e32 v34, 0x84
	v_lshl_add_u32 v37, v0, 2, v34
	v_mov_b32_e32 v35, v1
	s_mov_b64 s[8:9], 0
	v_mov_b32_e32 v34, v0
.LBB95_671:                             ; =>This Inner Loop Header: Depth=1
	v_add_co_u32_e32 v34, vcc, 1, v34
	v_addc_co_u32_e32 v35, vcc, 0, v35, vcc
	v_cmp_eq_u32_e32 vcc, 1, v34
	v_cndmask_b32_e32 v39, v2, v3, vcc
	v_cmp_lt_u32_e32 vcc, 17, v34
	v_cmp_eq_u32_e64 s[2:3], 2, v34
	v_cndmask_b32_e64 v39, v39, v4, s[2:3]
	s_or_b64 s[8:9], vcc, s[8:9]
	v_cmp_eq_u32_e32 vcc, 3, v34
	v_cndmask_b32_e32 v39, v39, v5, vcc
	v_cmp_eq_u32_e32 vcc, 4, v34
	v_cndmask_b32_e32 v39, v39, v6, vcc
	;; [unrolled: 2-line block ×24, first 2 shown]
	v_cmp_eq_u32_e32 vcc, 27, v34
	ds_read_b32 v38, v37
	v_cndmask_b32_e32 v39, v39, v29, vcc
	v_cmp_eq_u32_e32 vcc, 28, v34
	v_cndmask_b32_e32 v39, v39, v30, vcc
	v_cmp_eq_u32_e32 vcc, 29, v34
	;; [unrolled: 2-line block ×4, first 2 shown]
	v_cndmask_b32_e32 v39, v39, v33, vcc
	v_add_u32_e32 v37, 4, v37
	s_waitcnt lgkmcnt(0)
	v_fmac_f32_e32 v36, v39, v38
	s_andn2_b64 exec, exec, s[8:9]
	s_cbranch_execnz .LBB95_671
; %bb.672:
	s_or_b64 exec, exec, s[8:9]
.LBB95_673:
	s_or_b64 exec, exec, s[6:7]
	v_mov_b32_e32 v21, 0
	ds_read_b32 v21, v21 offset:76
	s_waitcnt lgkmcnt(0)
	v_mul_f32_e32 v21, v36, v21
.LBB95_674:
	s_or_b64 exec, exec, s[4:5]
	v_cmp_gt_u32_e32 vcc, 20, v0
	ds_write_b32 v130, v22
	s_waitcnt lgkmcnt(0)
	; wave barrier
	s_and_saveexec_b64 s[4:5], vcc
	s_cbranch_execz .LBB95_684
; %bb.675:
	s_and_b64 vcc, exec, s[0:1]
	s_cbranch_vccnz .LBB95_677
; %bb.676:
	v_cmp_eq_u32_e32 vcc, 1, v0
	v_cndmask_b32_e32 v34, v2, v3, vcc
	v_cmp_eq_u32_e32 vcc, 2, v0
	v_cndmask_b32_e32 v34, v34, v4, vcc
	v_cmp_eq_u32_e32 vcc, 3, v0
	v_cndmask_b32_e32 v34, v34, v5, vcc
	v_cmp_eq_u32_e32 vcc, 4, v0
	v_cndmask_b32_e32 v34, v34, v6, vcc
	v_cmp_eq_u32_e32 vcc, 5, v0
	v_cndmask_b32_e32 v34, v34, v7, vcc
	v_cmp_eq_u32_e32 vcc, 6, v0
	v_cndmask_b32_e32 v34, v34, v8, vcc
	v_cmp_eq_u32_e32 vcc, 7, v0
	v_cndmask_b32_e32 v34, v34, v9, vcc
	v_cmp_eq_u32_e32 vcc, 8, v0
	v_cndmask_b32_e32 v34, v34, v10, vcc
	v_cmp_eq_u32_e32 vcc, 9, v0
	v_cndmask_b32_e32 v34, v34, v11, vcc
	v_cmp_eq_u32_e32 vcc, 10, v0
	v_cndmask_b32_e32 v34, v34, v12, vcc
	v_cmp_eq_u32_e32 vcc, 11, v0
	v_cndmask_b32_e32 v34, v34, v13, vcc
	v_cmp_eq_u32_e32 vcc, 12, v0
	v_cndmask_b32_e32 v34, v34, v14, vcc
	v_cmp_eq_u32_e32 vcc, 13, v0
	v_cndmask_b32_e32 v34, v34, v15, vcc
	v_cmp_eq_u32_e32 vcc, 14, v0
	v_cndmask_b32_e32 v34, v34, v16, vcc
	v_cmp_eq_u32_e32 vcc, 15, v0
	v_cndmask_b32_e32 v34, v34, v17, vcc
	v_cmp_eq_u32_e32 vcc, 16, v0
	v_cndmask_b32_e32 v34, v34, v18, vcc
	v_cmp_eq_u32_e32 vcc, 17, v0
	v_cndmask_b32_e32 v34, v34, v19, vcc
	v_cmp_eq_u32_e32 vcc, 18, v0
	v_cndmask_b32_e32 v34, v34, v20, vcc
	v_cmp_eq_u32_e32 vcc, 19, v0
	v_cndmask_b32_e32 v34, v34, v21, vcc
	v_cmp_eq_u32_e32 vcc, 20, v0
	v_cndmask_b32_e32 v34, v34, v22, vcc
	v_cmp_eq_u32_e32 vcc, 21, v0
	v_cndmask_b32_e32 v34, v34, v23, vcc
	v_cmp_eq_u32_e32 vcc, 22, v0
	v_cndmask_b32_e32 v34, v34, v24, vcc
	v_cmp_eq_u32_e32 vcc, 23, v0
	v_cndmask_b32_e32 v34, v34, v25, vcc
	v_cmp_eq_u32_e32 vcc, 24, v0
	v_cndmask_b32_e32 v34, v34, v26, vcc
	v_cmp_eq_u32_e32 vcc, 25, v0
	v_cndmask_b32_e32 v34, v34, v27, vcc
	v_cmp_eq_u32_e32 vcc, 26, v0
	v_cndmask_b32_e32 v34, v34, v28, vcc
	v_cmp_eq_u32_e32 vcc, 27, v0
	v_cndmask_b32_e32 v34, v34, v29, vcc
	v_cmp_eq_u32_e32 vcc, 28, v0
	ds_read_b32 v35, v130
	v_cndmask_b32_e32 v34, v34, v30, vcc
	v_cmp_eq_u32_e32 vcc, 29, v0
	v_cndmask_b32_e32 v34, v34, v31, vcc
	v_cmp_eq_u32_e32 vcc, 30, v0
	;; [unrolled: 2-line block ×3, first 2 shown]
	v_cndmask_b32_e32 v34, v34, v33, vcc
	s_waitcnt lgkmcnt(0)
	v_mul_f32_e32 v36, v34, v35
	s_cbranch_execz .LBB95_678
	s_branch .LBB95_679
.LBB95_677:
                                        ; implicit-def: $vgpr36
.LBB95_678:
	ds_read_b32 v36, v130
.LBB95_679:
	v_cmp_ne_u32_e32 vcc, 19, v0
	s_and_saveexec_b64 s[6:7], vcc
	s_cbranch_execz .LBB95_683
; %bb.680:
	v_mov_b32_e32 v34, 0x84
	v_lshl_add_u32 v37, v0, 2, v34
	v_mov_b32_e32 v35, v1
	s_mov_b64 s[8:9], 0
	v_mov_b32_e32 v34, v0
.LBB95_681:                             ; =>This Inner Loop Header: Depth=1
	v_add_co_u32_e32 v34, vcc, 1, v34
	v_addc_co_u32_e32 v35, vcc, 0, v35, vcc
	v_cmp_eq_u32_e32 vcc, 1, v34
	v_cndmask_b32_e32 v39, v2, v3, vcc
	v_cmp_lt_u32_e32 vcc, 18, v34
	v_cmp_eq_u32_e64 s[2:3], 2, v34
	v_cndmask_b32_e64 v39, v39, v4, s[2:3]
	s_or_b64 s[8:9], vcc, s[8:9]
	v_cmp_eq_u32_e32 vcc, 3, v34
	v_cndmask_b32_e32 v39, v39, v5, vcc
	v_cmp_eq_u32_e32 vcc, 4, v34
	v_cndmask_b32_e32 v39, v39, v6, vcc
	;; [unrolled: 2-line block ×24, first 2 shown]
	v_cmp_eq_u32_e32 vcc, 27, v34
	ds_read_b32 v38, v37
	v_cndmask_b32_e32 v39, v39, v29, vcc
	v_cmp_eq_u32_e32 vcc, 28, v34
	v_cndmask_b32_e32 v39, v39, v30, vcc
	v_cmp_eq_u32_e32 vcc, 29, v34
	;; [unrolled: 2-line block ×4, first 2 shown]
	v_cndmask_b32_e32 v39, v39, v33, vcc
	v_add_u32_e32 v37, 4, v37
	s_waitcnt lgkmcnt(0)
	v_fmac_f32_e32 v36, v39, v38
	s_andn2_b64 exec, exec, s[8:9]
	s_cbranch_execnz .LBB95_681
; %bb.682:
	s_or_b64 exec, exec, s[8:9]
.LBB95_683:
	s_or_b64 exec, exec, s[6:7]
	v_mov_b32_e32 v22, 0
	ds_read_b32 v22, v22 offset:80
	s_waitcnt lgkmcnt(0)
	v_mul_f32_e32 v22, v36, v22
.LBB95_684:
	s_or_b64 exec, exec, s[4:5]
	v_cmp_gt_u32_e32 vcc, 21, v0
	ds_write_b32 v130, v23
	s_waitcnt lgkmcnt(0)
	; wave barrier
	s_and_saveexec_b64 s[4:5], vcc
	s_cbranch_execz .LBB95_694
; %bb.685:
	s_and_b64 vcc, exec, s[0:1]
	s_cbranch_vccnz .LBB95_687
; %bb.686:
	v_cmp_eq_u32_e32 vcc, 1, v0
	v_cndmask_b32_e32 v34, v2, v3, vcc
	v_cmp_eq_u32_e32 vcc, 2, v0
	v_cndmask_b32_e32 v34, v34, v4, vcc
	;; [unrolled: 2-line block ×27, first 2 shown]
	v_cmp_eq_u32_e32 vcc, 28, v0
	ds_read_b32 v35, v130
	v_cndmask_b32_e32 v34, v34, v30, vcc
	v_cmp_eq_u32_e32 vcc, 29, v0
	v_cndmask_b32_e32 v34, v34, v31, vcc
	v_cmp_eq_u32_e32 vcc, 30, v0
	;; [unrolled: 2-line block ×3, first 2 shown]
	v_cndmask_b32_e32 v34, v34, v33, vcc
	s_waitcnt lgkmcnt(0)
	v_mul_f32_e32 v36, v34, v35
	s_cbranch_execz .LBB95_688
	s_branch .LBB95_689
.LBB95_687:
                                        ; implicit-def: $vgpr36
.LBB95_688:
	ds_read_b32 v36, v130
.LBB95_689:
	v_cmp_ne_u32_e32 vcc, 20, v0
	s_and_saveexec_b64 s[6:7], vcc
	s_cbranch_execz .LBB95_693
; %bb.690:
	v_mov_b32_e32 v34, 0x84
	v_lshl_add_u32 v37, v0, 2, v34
	v_mov_b32_e32 v35, v1
	s_mov_b64 s[8:9], 0
	v_mov_b32_e32 v34, v0
.LBB95_691:                             ; =>This Inner Loop Header: Depth=1
	v_add_co_u32_e32 v34, vcc, 1, v34
	v_addc_co_u32_e32 v35, vcc, 0, v35, vcc
	v_cmp_eq_u32_e32 vcc, 1, v34
	v_cndmask_b32_e32 v39, v2, v3, vcc
	v_cmp_lt_u32_e32 vcc, 19, v34
	v_cmp_eq_u32_e64 s[2:3], 2, v34
	v_cndmask_b32_e64 v39, v39, v4, s[2:3]
	s_or_b64 s[8:9], vcc, s[8:9]
	v_cmp_eq_u32_e32 vcc, 3, v34
	v_cndmask_b32_e32 v39, v39, v5, vcc
	v_cmp_eq_u32_e32 vcc, 4, v34
	v_cndmask_b32_e32 v39, v39, v6, vcc
	v_cmp_eq_u32_e32 vcc, 5, v34
	v_cndmask_b32_e32 v39, v39, v7, vcc
	v_cmp_eq_u32_e32 vcc, 6, v34
	v_cndmask_b32_e32 v39, v39, v8, vcc
	v_cmp_eq_u32_e32 vcc, 7, v34
	v_cndmask_b32_e32 v39, v39, v9, vcc
	v_cmp_eq_u32_e32 vcc, 8, v34
	v_cndmask_b32_e32 v39, v39, v10, vcc
	v_cmp_eq_u32_e32 vcc, 9, v34
	v_cndmask_b32_e32 v39, v39, v11, vcc
	v_cmp_eq_u32_e32 vcc, 10, v34
	v_cndmask_b32_e32 v39, v39, v12, vcc
	v_cmp_eq_u32_e32 vcc, 11, v34
	v_cndmask_b32_e32 v39, v39, v13, vcc
	v_cmp_eq_u32_e32 vcc, 12, v34
	v_cndmask_b32_e32 v39, v39, v14, vcc
	v_cmp_eq_u32_e32 vcc, 13, v34
	v_cndmask_b32_e32 v39, v39, v15, vcc
	v_cmp_eq_u32_e32 vcc, 14, v34
	v_cndmask_b32_e32 v39, v39, v16, vcc
	v_cmp_eq_u32_e32 vcc, 15, v34
	v_cndmask_b32_e32 v39, v39, v17, vcc
	v_cmp_eq_u32_e32 vcc, 16, v34
	v_cndmask_b32_e32 v39, v39, v18, vcc
	v_cmp_eq_u32_e32 vcc, 17, v34
	v_cndmask_b32_e32 v39, v39, v19, vcc
	v_cmp_eq_u32_e32 vcc, 18, v34
	v_cndmask_b32_e32 v39, v39, v20, vcc
	v_cmp_eq_u32_e32 vcc, 19, v34
	v_cndmask_b32_e32 v39, v39, v21, vcc
	v_cmp_eq_u32_e32 vcc, 20, v34
	v_cndmask_b32_e32 v39, v39, v22, vcc
	v_cmp_eq_u32_e32 vcc, 21, v34
	v_cndmask_b32_e32 v39, v39, v23, vcc
	v_cmp_eq_u32_e32 vcc, 22, v34
	v_cndmask_b32_e32 v39, v39, v24, vcc
	v_cmp_eq_u32_e32 vcc, 23, v34
	v_cndmask_b32_e32 v39, v39, v25, vcc
	v_cmp_eq_u32_e32 vcc, 24, v34
	v_cndmask_b32_e32 v39, v39, v26, vcc
	v_cmp_eq_u32_e32 vcc, 25, v34
	v_cndmask_b32_e32 v39, v39, v27, vcc
	v_cmp_eq_u32_e32 vcc, 26, v34
	v_cndmask_b32_e32 v39, v39, v28, vcc
	v_cmp_eq_u32_e32 vcc, 27, v34
	ds_read_b32 v38, v37
	v_cndmask_b32_e32 v39, v39, v29, vcc
	v_cmp_eq_u32_e32 vcc, 28, v34
	v_cndmask_b32_e32 v39, v39, v30, vcc
	v_cmp_eq_u32_e32 vcc, 29, v34
	;; [unrolled: 2-line block ×4, first 2 shown]
	v_cndmask_b32_e32 v39, v39, v33, vcc
	v_add_u32_e32 v37, 4, v37
	s_waitcnt lgkmcnt(0)
	v_fmac_f32_e32 v36, v39, v38
	s_andn2_b64 exec, exec, s[8:9]
	s_cbranch_execnz .LBB95_691
; %bb.692:
	s_or_b64 exec, exec, s[8:9]
.LBB95_693:
	s_or_b64 exec, exec, s[6:7]
	v_mov_b32_e32 v23, 0
	ds_read_b32 v23, v23 offset:84
	s_waitcnt lgkmcnt(0)
	v_mul_f32_e32 v23, v36, v23
.LBB95_694:
	s_or_b64 exec, exec, s[4:5]
	v_cmp_gt_u32_e32 vcc, 22, v0
	ds_write_b32 v130, v24
	s_waitcnt lgkmcnt(0)
	; wave barrier
	s_and_saveexec_b64 s[4:5], vcc
	s_cbranch_execz .LBB95_704
; %bb.695:
	s_and_b64 vcc, exec, s[0:1]
	s_cbranch_vccnz .LBB95_697
; %bb.696:
	v_cmp_eq_u32_e32 vcc, 1, v0
	v_cndmask_b32_e32 v34, v2, v3, vcc
	v_cmp_eq_u32_e32 vcc, 2, v0
	v_cndmask_b32_e32 v34, v34, v4, vcc
	;; [unrolled: 2-line block ×27, first 2 shown]
	v_cmp_eq_u32_e32 vcc, 28, v0
	ds_read_b32 v35, v130
	v_cndmask_b32_e32 v34, v34, v30, vcc
	v_cmp_eq_u32_e32 vcc, 29, v0
	v_cndmask_b32_e32 v34, v34, v31, vcc
	v_cmp_eq_u32_e32 vcc, 30, v0
	;; [unrolled: 2-line block ×3, first 2 shown]
	v_cndmask_b32_e32 v34, v34, v33, vcc
	s_waitcnt lgkmcnt(0)
	v_mul_f32_e32 v36, v34, v35
	s_cbranch_execz .LBB95_698
	s_branch .LBB95_699
.LBB95_697:
                                        ; implicit-def: $vgpr36
.LBB95_698:
	ds_read_b32 v36, v130
.LBB95_699:
	v_cmp_ne_u32_e32 vcc, 21, v0
	s_and_saveexec_b64 s[6:7], vcc
	s_cbranch_execz .LBB95_703
; %bb.700:
	v_mov_b32_e32 v34, 0x84
	v_lshl_add_u32 v37, v0, 2, v34
	v_mov_b32_e32 v35, v1
	s_mov_b64 s[8:9], 0
	v_mov_b32_e32 v34, v0
.LBB95_701:                             ; =>This Inner Loop Header: Depth=1
	v_add_co_u32_e32 v34, vcc, 1, v34
	v_addc_co_u32_e32 v35, vcc, 0, v35, vcc
	v_cmp_eq_u32_e32 vcc, 1, v34
	v_cndmask_b32_e32 v39, v2, v3, vcc
	v_cmp_lt_u32_e32 vcc, 20, v34
	v_cmp_eq_u32_e64 s[2:3], 2, v34
	v_cndmask_b32_e64 v39, v39, v4, s[2:3]
	s_or_b64 s[8:9], vcc, s[8:9]
	v_cmp_eq_u32_e32 vcc, 3, v34
	v_cndmask_b32_e32 v39, v39, v5, vcc
	v_cmp_eq_u32_e32 vcc, 4, v34
	v_cndmask_b32_e32 v39, v39, v6, vcc
	v_cmp_eq_u32_e32 vcc, 5, v34
	v_cndmask_b32_e32 v39, v39, v7, vcc
	v_cmp_eq_u32_e32 vcc, 6, v34
	v_cndmask_b32_e32 v39, v39, v8, vcc
	v_cmp_eq_u32_e32 vcc, 7, v34
	v_cndmask_b32_e32 v39, v39, v9, vcc
	v_cmp_eq_u32_e32 vcc, 8, v34
	v_cndmask_b32_e32 v39, v39, v10, vcc
	v_cmp_eq_u32_e32 vcc, 9, v34
	v_cndmask_b32_e32 v39, v39, v11, vcc
	v_cmp_eq_u32_e32 vcc, 10, v34
	v_cndmask_b32_e32 v39, v39, v12, vcc
	v_cmp_eq_u32_e32 vcc, 11, v34
	v_cndmask_b32_e32 v39, v39, v13, vcc
	v_cmp_eq_u32_e32 vcc, 12, v34
	v_cndmask_b32_e32 v39, v39, v14, vcc
	v_cmp_eq_u32_e32 vcc, 13, v34
	v_cndmask_b32_e32 v39, v39, v15, vcc
	v_cmp_eq_u32_e32 vcc, 14, v34
	v_cndmask_b32_e32 v39, v39, v16, vcc
	v_cmp_eq_u32_e32 vcc, 15, v34
	v_cndmask_b32_e32 v39, v39, v17, vcc
	v_cmp_eq_u32_e32 vcc, 16, v34
	v_cndmask_b32_e32 v39, v39, v18, vcc
	v_cmp_eq_u32_e32 vcc, 17, v34
	v_cndmask_b32_e32 v39, v39, v19, vcc
	v_cmp_eq_u32_e32 vcc, 18, v34
	v_cndmask_b32_e32 v39, v39, v20, vcc
	v_cmp_eq_u32_e32 vcc, 19, v34
	v_cndmask_b32_e32 v39, v39, v21, vcc
	v_cmp_eq_u32_e32 vcc, 20, v34
	v_cndmask_b32_e32 v39, v39, v22, vcc
	v_cmp_eq_u32_e32 vcc, 21, v34
	v_cndmask_b32_e32 v39, v39, v23, vcc
	v_cmp_eq_u32_e32 vcc, 22, v34
	v_cndmask_b32_e32 v39, v39, v24, vcc
	v_cmp_eq_u32_e32 vcc, 23, v34
	v_cndmask_b32_e32 v39, v39, v25, vcc
	v_cmp_eq_u32_e32 vcc, 24, v34
	v_cndmask_b32_e32 v39, v39, v26, vcc
	v_cmp_eq_u32_e32 vcc, 25, v34
	v_cndmask_b32_e32 v39, v39, v27, vcc
	v_cmp_eq_u32_e32 vcc, 26, v34
	v_cndmask_b32_e32 v39, v39, v28, vcc
	v_cmp_eq_u32_e32 vcc, 27, v34
	ds_read_b32 v38, v37
	v_cndmask_b32_e32 v39, v39, v29, vcc
	v_cmp_eq_u32_e32 vcc, 28, v34
	v_cndmask_b32_e32 v39, v39, v30, vcc
	v_cmp_eq_u32_e32 vcc, 29, v34
	;; [unrolled: 2-line block ×4, first 2 shown]
	v_cndmask_b32_e32 v39, v39, v33, vcc
	v_add_u32_e32 v37, 4, v37
	s_waitcnt lgkmcnt(0)
	v_fmac_f32_e32 v36, v39, v38
	s_andn2_b64 exec, exec, s[8:9]
	s_cbranch_execnz .LBB95_701
; %bb.702:
	s_or_b64 exec, exec, s[8:9]
.LBB95_703:
	s_or_b64 exec, exec, s[6:7]
	v_mov_b32_e32 v24, 0
	ds_read_b32 v24, v24 offset:88
	s_waitcnt lgkmcnt(0)
	v_mul_f32_e32 v24, v36, v24
.LBB95_704:
	s_or_b64 exec, exec, s[4:5]
	v_cmp_gt_u32_e32 vcc, 23, v0
	ds_write_b32 v130, v25
	s_waitcnt lgkmcnt(0)
	; wave barrier
	s_and_saveexec_b64 s[4:5], vcc
	s_cbranch_execz .LBB95_714
; %bb.705:
	s_and_b64 vcc, exec, s[0:1]
	s_cbranch_vccnz .LBB95_707
; %bb.706:
	v_cmp_eq_u32_e32 vcc, 1, v0
	v_cndmask_b32_e32 v34, v2, v3, vcc
	v_cmp_eq_u32_e32 vcc, 2, v0
	v_cndmask_b32_e32 v34, v34, v4, vcc
	;; [unrolled: 2-line block ×27, first 2 shown]
	v_cmp_eq_u32_e32 vcc, 28, v0
	ds_read_b32 v35, v130
	v_cndmask_b32_e32 v34, v34, v30, vcc
	v_cmp_eq_u32_e32 vcc, 29, v0
	v_cndmask_b32_e32 v34, v34, v31, vcc
	v_cmp_eq_u32_e32 vcc, 30, v0
	;; [unrolled: 2-line block ×3, first 2 shown]
	v_cndmask_b32_e32 v34, v34, v33, vcc
	s_waitcnt lgkmcnt(0)
	v_mul_f32_e32 v36, v34, v35
	s_cbranch_execz .LBB95_708
	s_branch .LBB95_709
.LBB95_707:
                                        ; implicit-def: $vgpr36
.LBB95_708:
	ds_read_b32 v36, v130
.LBB95_709:
	v_cmp_ne_u32_e32 vcc, 22, v0
	s_and_saveexec_b64 s[6:7], vcc
	s_cbranch_execz .LBB95_713
; %bb.710:
	v_mov_b32_e32 v34, 0x84
	v_lshl_add_u32 v37, v0, 2, v34
	v_mov_b32_e32 v35, v1
	s_mov_b64 s[8:9], 0
	v_mov_b32_e32 v34, v0
.LBB95_711:                             ; =>This Inner Loop Header: Depth=1
	v_add_co_u32_e32 v34, vcc, 1, v34
	v_addc_co_u32_e32 v35, vcc, 0, v35, vcc
	v_cmp_eq_u32_e32 vcc, 1, v34
	v_cndmask_b32_e32 v39, v2, v3, vcc
	v_cmp_lt_u32_e32 vcc, 21, v34
	v_cmp_eq_u32_e64 s[2:3], 2, v34
	v_cndmask_b32_e64 v39, v39, v4, s[2:3]
	s_or_b64 s[8:9], vcc, s[8:9]
	v_cmp_eq_u32_e32 vcc, 3, v34
	v_cndmask_b32_e32 v39, v39, v5, vcc
	v_cmp_eq_u32_e32 vcc, 4, v34
	v_cndmask_b32_e32 v39, v39, v6, vcc
	;; [unrolled: 2-line block ×24, first 2 shown]
	v_cmp_eq_u32_e32 vcc, 27, v34
	ds_read_b32 v38, v37
	v_cndmask_b32_e32 v39, v39, v29, vcc
	v_cmp_eq_u32_e32 vcc, 28, v34
	v_cndmask_b32_e32 v39, v39, v30, vcc
	v_cmp_eq_u32_e32 vcc, 29, v34
	;; [unrolled: 2-line block ×4, first 2 shown]
	v_cndmask_b32_e32 v39, v39, v33, vcc
	v_add_u32_e32 v37, 4, v37
	s_waitcnt lgkmcnt(0)
	v_fmac_f32_e32 v36, v39, v38
	s_andn2_b64 exec, exec, s[8:9]
	s_cbranch_execnz .LBB95_711
; %bb.712:
	s_or_b64 exec, exec, s[8:9]
.LBB95_713:
	s_or_b64 exec, exec, s[6:7]
	v_mov_b32_e32 v25, 0
	ds_read_b32 v25, v25 offset:92
	s_waitcnt lgkmcnt(0)
	v_mul_f32_e32 v25, v36, v25
.LBB95_714:
	s_or_b64 exec, exec, s[4:5]
	v_cmp_gt_u32_e32 vcc, 24, v0
	ds_write_b32 v130, v26
	s_waitcnt lgkmcnt(0)
	; wave barrier
	s_and_saveexec_b64 s[4:5], vcc
	s_cbranch_execz .LBB95_724
; %bb.715:
	s_and_b64 vcc, exec, s[0:1]
	s_cbranch_vccnz .LBB95_717
; %bb.716:
	v_cmp_eq_u32_e32 vcc, 1, v0
	v_cndmask_b32_e32 v34, v2, v3, vcc
	v_cmp_eq_u32_e32 vcc, 2, v0
	v_cndmask_b32_e32 v34, v34, v4, vcc
	;; [unrolled: 2-line block ×27, first 2 shown]
	v_cmp_eq_u32_e32 vcc, 28, v0
	ds_read_b32 v35, v130
	v_cndmask_b32_e32 v34, v34, v30, vcc
	v_cmp_eq_u32_e32 vcc, 29, v0
	v_cndmask_b32_e32 v34, v34, v31, vcc
	v_cmp_eq_u32_e32 vcc, 30, v0
	;; [unrolled: 2-line block ×3, first 2 shown]
	v_cndmask_b32_e32 v34, v34, v33, vcc
	s_waitcnt lgkmcnt(0)
	v_mul_f32_e32 v36, v34, v35
	s_cbranch_execz .LBB95_718
	s_branch .LBB95_719
.LBB95_717:
                                        ; implicit-def: $vgpr36
.LBB95_718:
	ds_read_b32 v36, v130
.LBB95_719:
	v_cmp_ne_u32_e32 vcc, 23, v0
	s_and_saveexec_b64 s[6:7], vcc
	s_cbranch_execz .LBB95_723
; %bb.720:
	v_mov_b32_e32 v34, 0x84
	v_lshl_add_u32 v37, v0, 2, v34
	v_mov_b32_e32 v35, v1
	s_mov_b64 s[8:9], 0
	v_mov_b32_e32 v34, v0
.LBB95_721:                             ; =>This Inner Loop Header: Depth=1
	v_add_co_u32_e32 v34, vcc, 1, v34
	v_addc_co_u32_e32 v35, vcc, 0, v35, vcc
	v_cmp_eq_u32_e32 vcc, 1, v34
	v_cndmask_b32_e32 v39, v2, v3, vcc
	v_cmp_lt_u32_e32 vcc, 22, v34
	v_cmp_eq_u32_e64 s[2:3], 2, v34
	v_cndmask_b32_e64 v39, v39, v4, s[2:3]
	s_or_b64 s[8:9], vcc, s[8:9]
	v_cmp_eq_u32_e32 vcc, 3, v34
	v_cndmask_b32_e32 v39, v39, v5, vcc
	v_cmp_eq_u32_e32 vcc, 4, v34
	v_cndmask_b32_e32 v39, v39, v6, vcc
	;; [unrolled: 2-line block ×24, first 2 shown]
	v_cmp_eq_u32_e32 vcc, 27, v34
	ds_read_b32 v38, v37
	v_cndmask_b32_e32 v39, v39, v29, vcc
	v_cmp_eq_u32_e32 vcc, 28, v34
	v_cndmask_b32_e32 v39, v39, v30, vcc
	v_cmp_eq_u32_e32 vcc, 29, v34
	;; [unrolled: 2-line block ×4, first 2 shown]
	v_cndmask_b32_e32 v39, v39, v33, vcc
	v_add_u32_e32 v37, 4, v37
	s_waitcnt lgkmcnt(0)
	v_fmac_f32_e32 v36, v39, v38
	s_andn2_b64 exec, exec, s[8:9]
	s_cbranch_execnz .LBB95_721
; %bb.722:
	s_or_b64 exec, exec, s[8:9]
.LBB95_723:
	s_or_b64 exec, exec, s[6:7]
	v_mov_b32_e32 v26, 0
	ds_read_b32 v26, v26 offset:96
	s_waitcnt lgkmcnt(0)
	v_mul_f32_e32 v26, v36, v26
.LBB95_724:
	s_or_b64 exec, exec, s[4:5]
	v_cmp_gt_u32_e32 vcc, 25, v0
	ds_write_b32 v130, v27
	s_waitcnt lgkmcnt(0)
	; wave barrier
	s_and_saveexec_b64 s[4:5], vcc
	s_cbranch_execz .LBB95_734
; %bb.725:
	s_and_b64 vcc, exec, s[0:1]
	s_cbranch_vccnz .LBB95_727
; %bb.726:
	v_cmp_eq_u32_e32 vcc, 1, v0
	v_cndmask_b32_e32 v34, v2, v3, vcc
	v_cmp_eq_u32_e32 vcc, 2, v0
	v_cndmask_b32_e32 v34, v34, v4, vcc
	;; [unrolled: 2-line block ×27, first 2 shown]
	v_cmp_eq_u32_e32 vcc, 28, v0
	ds_read_b32 v35, v130
	v_cndmask_b32_e32 v34, v34, v30, vcc
	v_cmp_eq_u32_e32 vcc, 29, v0
	v_cndmask_b32_e32 v34, v34, v31, vcc
	v_cmp_eq_u32_e32 vcc, 30, v0
	;; [unrolled: 2-line block ×3, first 2 shown]
	v_cndmask_b32_e32 v34, v34, v33, vcc
	s_waitcnt lgkmcnt(0)
	v_mul_f32_e32 v36, v34, v35
	s_cbranch_execz .LBB95_728
	s_branch .LBB95_729
.LBB95_727:
                                        ; implicit-def: $vgpr36
.LBB95_728:
	ds_read_b32 v36, v130
.LBB95_729:
	v_cmp_ne_u32_e32 vcc, 24, v0
	s_and_saveexec_b64 s[6:7], vcc
	s_cbranch_execz .LBB95_733
; %bb.730:
	v_mov_b32_e32 v34, 0x84
	v_lshl_add_u32 v37, v0, 2, v34
	v_mov_b32_e32 v35, v1
	s_mov_b64 s[8:9], 0
	v_mov_b32_e32 v34, v0
.LBB95_731:                             ; =>This Inner Loop Header: Depth=1
	v_add_co_u32_e32 v34, vcc, 1, v34
	v_addc_co_u32_e32 v35, vcc, 0, v35, vcc
	v_cmp_eq_u32_e32 vcc, 1, v34
	v_cndmask_b32_e32 v39, v2, v3, vcc
	v_cmp_lt_u32_e32 vcc, 23, v34
	v_cmp_eq_u32_e64 s[2:3], 2, v34
	v_cndmask_b32_e64 v39, v39, v4, s[2:3]
	s_or_b64 s[8:9], vcc, s[8:9]
	v_cmp_eq_u32_e32 vcc, 3, v34
	v_cndmask_b32_e32 v39, v39, v5, vcc
	v_cmp_eq_u32_e32 vcc, 4, v34
	v_cndmask_b32_e32 v39, v39, v6, vcc
	;; [unrolled: 2-line block ×24, first 2 shown]
	v_cmp_eq_u32_e32 vcc, 27, v34
	ds_read_b32 v38, v37
	v_cndmask_b32_e32 v39, v39, v29, vcc
	v_cmp_eq_u32_e32 vcc, 28, v34
	v_cndmask_b32_e32 v39, v39, v30, vcc
	v_cmp_eq_u32_e32 vcc, 29, v34
	;; [unrolled: 2-line block ×4, first 2 shown]
	v_cndmask_b32_e32 v39, v39, v33, vcc
	v_add_u32_e32 v37, 4, v37
	s_waitcnt lgkmcnt(0)
	v_fmac_f32_e32 v36, v39, v38
	s_andn2_b64 exec, exec, s[8:9]
	s_cbranch_execnz .LBB95_731
; %bb.732:
	s_or_b64 exec, exec, s[8:9]
.LBB95_733:
	s_or_b64 exec, exec, s[6:7]
	v_mov_b32_e32 v27, 0
	ds_read_b32 v27, v27 offset:100
	s_waitcnt lgkmcnt(0)
	v_mul_f32_e32 v27, v36, v27
.LBB95_734:
	s_or_b64 exec, exec, s[4:5]
	v_cmp_gt_u32_e32 vcc, 26, v0
	ds_write_b32 v130, v28
	s_waitcnt lgkmcnt(0)
	; wave barrier
	s_and_saveexec_b64 s[4:5], vcc
	s_cbranch_execz .LBB95_744
; %bb.735:
	s_and_b64 vcc, exec, s[0:1]
	s_cbranch_vccnz .LBB95_737
; %bb.736:
	v_cmp_eq_u32_e32 vcc, 1, v0
	v_cndmask_b32_e32 v34, v2, v3, vcc
	v_cmp_eq_u32_e32 vcc, 2, v0
	v_cndmask_b32_e32 v34, v34, v4, vcc
	;; [unrolled: 2-line block ×27, first 2 shown]
	v_cmp_eq_u32_e32 vcc, 28, v0
	ds_read_b32 v35, v130
	v_cndmask_b32_e32 v34, v34, v30, vcc
	v_cmp_eq_u32_e32 vcc, 29, v0
	v_cndmask_b32_e32 v34, v34, v31, vcc
	v_cmp_eq_u32_e32 vcc, 30, v0
	;; [unrolled: 2-line block ×3, first 2 shown]
	v_cndmask_b32_e32 v34, v34, v33, vcc
	s_waitcnt lgkmcnt(0)
	v_mul_f32_e32 v36, v34, v35
	s_cbranch_execz .LBB95_738
	s_branch .LBB95_739
.LBB95_737:
                                        ; implicit-def: $vgpr36
.LBB95_738:
	ds_read_b32 v36, v130
.LBB95_739:
	v_cmp_ne_u32_e32 vcc, 25, v0
	s_and_saveexec_b64 s[6:7], vcc
	s_cbranch_execz .LBB95_743
; %bb.740:
	v_mov_b32_e32 v34, 0x84
	v_lshl_add_u32 v37, v0, 2, v34
	v_mov_b32_e32 v35, v1
	s_mov_b64 s[8:9], 0
	v_mov_b32_e32 v34, v0
.LBB95_741:                             ; =>This Inner Loop Header: Depth=1
	v_add_co_u32_e32 v34, vcc, 1, v34
	v_addc_co_u32_e32 v35, vcc, 0, v35, vcc
	v_cmp_eq_u32_e32 vcc, 1, v34
	v_cndmask_b32_e32 v39, v2, v3, vcc
	v_cmp_lt_u32_e32 vcc, 24, v34
	v_cmp_eq_u32_e64 s[2:3], 2, v34
	v_cndmask_b32_e64 v39, v39, v4, s[2:3]
	s_or_b64 s[8:9], vcc, s[8:9]
	v_cmp_eq_u32_e32 vcc, 3, v34
	v_cndmask_b32_e32 v39, v39, v5, vcc
	v_cmp_eq_u32_e32 vcc, 4, v34
	v_cndmask_b32_e32 v39, v39, v6, vcc
	;; [unrolled: 2-line block ×24, first 2 shown]
	v_cmp_eq_u32_e32 vcc, 27, v34
	ds_read_b32 v38, v37
	v_cndmask_b32_e32 v39, v39, v29, vcc
	v_cmp_eq_u32_e32 vcc, 28, v34
	v_cndmask_b32_e32 v39, v39, v30, vcc
	v_cmp_eq_u32_e32 vcc, 29, v34
	v_cndmask_b32_e32 v39, v39, v31, vcc
	v_cmp_eq_u32_e32 vcc, 30, v34
	v_cndmask_b32_e32 v39, v39, v32, vcc
	v_cmp_eq_u32_e32 vcc, 31, v34
	v_cndmask_b32_e32 v39, v39, v33, vcc
	v_add_u32_e32 v37, 4, v37
	s_waitcnt lgkmcnt(0)
	v_fmac_f32_e32 v36, v39, v38
	s_andn2_b64 exec, exec, s[8:9]
	s_cbranch_execnz .LBB95_741
; %bb.742:
	s_or_b64 exec, exec, s[8:9]
.LBB95_743:
	s_or_b64 exec, exec, s[6:7]
	v_mov_b32_e32 v28, 0
	ds_read_b32 v28, v28 offset:104
	s_waitcnt lgkmcnt(0)
	v_mul_f32_e32 v28, v36, v28
.LBB95_744:
	s_or_b64 exec, exec, s[4:5]
	v_cmp_gt_u32_e32 vcc, 27, v0
	ds_write_b32 v130, v29
	s_waitcnt lgkmcnt(0)
	; wave barrier
	s_and_saveexec_b64 s[4:5], vcc
	s_cbranch_execz .LBB95_754
; %bb.745:
	s_and_b64 vcc, exec, s[0:1]
	s_cbranch_vccnz .LBB95_747
; %bb.746:
	v_cmp_eq_u32_e32 vcc, 1, v0
	v_cndmask_b32_e32 v34, v2, v3, vcc
	v_cmp_eq_u32_e32 vcc, 2, v0
	v_cndmask_b32_e32 v34, v34, v4, vcc
	;; [unrolled: 2-line block ×27, first 2 shown]
	v_cmp_eq_u32_e32 vcc, 28, v0
	ds_read_b32 v35, v130
	v_cndmask_b32_e32 v34, v34, v30, vcc
	v_cmp_eq_u32_e32 vcc, 29, v0
	v_cndmask_b32_e32 v34, v34, v31, vcc
	v_cmp_eq_u32_e32 vcc, 30, v0
	;; [unrolled: 2-line block ×3, first 2 shown]
	v_cndmask_b32_e32 v34, v34, v33, vcc
	s_waitcnt lgkmcnt(0)
	v_mul_f32_e32 v36, v34, v35
	s_cbranch_execz .LBB95_748
	s_branch .LBB95_749
.LBB95_747:
                                        ; implicit-def: $vgpr36
.LBB95_748:
	ds_read_b32 v36, v130
.LBB95_749:
	v_cmp_ne_u32_e32 vcc, 26, v0
	s_and_saveexec_b64 s[6:7], vcc
	s_cbranch_execz .LBB95_753
; %bb.750:
	v_mov_b32_e32 v34, 0x84
	v_lshl_add_u32 v37, v0, 2, v34
	v_mov_b32_e32 v35, v1
	s_mov_b64 s[8:9], 0
	v_mov_b32_e32 v34, v0
.LBB95_751:                             ; =>This Inner Loop Header: Depth=1
	v_add_co_u32_e32 v34, vcc, 1, v34
	v_addc_co_u32_e32 v35, vcc, 0, v35, vcc
	v_cmp_eq_u32_e32 vcc, 1, v34
	v_cndmask_b32_e32 v39, v2, v3, vcc
	v_cmp_lt_u32_e32 vcc, 25, v34
	v_cmp_eq_u32_e64 s[2:3], 2, v34
	v_cndmask_b32_e64 v39, v39, v4, s[2:3]
	s_or_b64 s[8:9], vcc, s[8:9]
	v_cmp_eq_u32_e32 vcc, 3, v34
	v_cndmask_b32_e32 v39, v39, v5, vcc
	v_cmp_eq_u32_e32 vcc, 4, v34
	v_cndmask_b32_e32 v39, v39, v6, vcc
	;; [unrolled: 2-line block ×24, first 2 shown]
	v_cmp_eq_u32_e32 vcc, 27, v34
	ds_read_b32 v38, v37
	v_cndmask_b32_e32 v39, v39, v29, vcc
	v_cmp_eq_u32_e32 vcc, 28, v34
	v_cndmask_b32_e32 v39, v39, v30, vcc
	v_cmp_eq_u32_e32 vcc, 29, v34
	;; [unrolled: 2-line block ×4, first 2 shown]
	v_cndmask_b32_e32 v39, v39, v33, vcc
	v_add_u32_e32 v37, 4, v37
	s_waitcnt lgkmcnt(0)
	v_fmac_f32_e32 v36, v39, v38
	s_andn2_b64 exec, exec, s[8:9]
	s_cbranch_execnz .LBB95_751
; %bb.752:
	s_or_b64 exec, exec, s[8:9]
.LBB95_753:
	s_or_b64 exec, exec, s[6:7]
	v_mov_b32_e32 v29, 0
	ds_read_b32 v29, v29 offset:108
	s_waitcnt lgkmcnt(0)
	v_mul_f32_e32 v29, v36, v29
.LBB95_754:
	s_or_b64 exec, exec, s[4:5]
	v_cmp_gt_u32_e32 vcc, 28, v0
	ds_write_b32 v130, v30
	s_waitcnt lgkmcnt(0)
	; wave barrier
	s_and_saveexec_b64 s[4:5], vcc
	s_cbranch_execz .LBB95_764
; %bb.755:
	s_and_b64 vcc, exec, s[0:1]
	s_cbranch_vccnz .LBB95_757
; %bb.756:
	v_cmp_eq_u32_e32 vcc, 1, v0
	v_cndmask_b32_e32 v34, v2, v3, vcc
	v_cmp_eq_u32_e32 vcc, 2, v0
	v_cndmask_b32_e32 v34, v34, v4, vcc
	;; [unrolled: 2-line block ×27, first 2 shown]
	v_cmp_eq_u32_e32 vcc, 28, v0
	ds_read_b32 v35, v130
	v_cndmask_b32_e32 v34, v34, v30, vcc
	v_cmp_eq_u32_e32 vcc, 29, v0
	v_cndmask_b32_e32 v34, v34, v31, vcc
	v_cmp_eq_u32_e32 vcc, 30, v0
	;; [unrolled: 2-line block ×3, first 2 shown]
	v_cndmask_b32_e32 v34, v34, v33, vcc
	s_waitcnt lgkmcnt(0)
	v_mul_f32_e32 v36, v34, v35
	s_cbranch_execz .LBB95_758
	s_branch .LBB95_759
.LBB95_757:
                                        ; implicit-def: $vgpr36
.LBB95_758:
	ds_read_b32 v36, v130
.LBB95_759:
	v_cmp_ne_u32_e32 vcc, 27, v0
	s_and_saveexec_b64 s[6:7], vcc
	s_cbranch_execz .LBB95_763
; %bb.760:
	v_mov_b32_e32 v34, 0x84
	v_lshl_add_u32 v37, v0, 2, v34
	v_mov_b32_e32 v35, v1
	s_mov_b64 s[8:9], 0
	v_mov_b32_e32 v34, v0
.LBB95_761:                             ; =>This Inner Loop Header: Depth=1
	v_add_co_u32_e32 v34, vcc, 1, v34
	v_addc_co_u32_e32 v35, vcc, 0, v35, vcc
	v_cmp_eq_u32_e32 vcc, 1, v34
	v_cndmask_b32_e32 v39, v2, v3, vcc
	v_cmp_lt_u32_e32 vcc, 26, v34
	v_cmp_eq_u32_e64 s[2:3], 2, v34
	v_cndmask_b32_e64 v39, v39, v4, s[2:3]
	s_or_b64 s[8:9], vcc, s[8:9]
	v_cmp_eq_u32_e32 vcc, 3, v34
	v_cndmask_b32_e32 v39, v39, v5, vcc
	v_cmp_eq_u32_e32 vcc, 4, v34
	v_cndmask_b32_e32 v39, v39, v6, vcc
	;; [unrolled: 2-line block ×24, first 2 shown]
	v_cmp_eq_u32_e32 vcc, 27, v34
	ds_read_b32 v38, v37
	v_cndmask_b32_e32 v39, v39, v29, vcc
	v_cmp_eq_u32_e32 vcc, 28, v34
	v_cndmask_b32_e32 v39, v39, v30, vcc
	v_cmp_eq_u32_e32 vcc, 29, v34
	;; [unrolled: 2-line block ×4, first 2 shown]
	v_cndmask_b32_e32 v39, v39, v33, vcc
	v_add_u32_e32 v37, 4, v37
	s_waitcnt lgkmcnt(0)
	v_fmac_f32_e32 v36, v39, v38
	s_andn2_b64 exec, exec, s[8:9]
	s_cbranch_execnz .LBB95_761
; %bb.762:
	s_or_b64 exec, exec, s[8:9]
.LBB95_763:
	s_or_b64 exec, exec, s[6:7]
	v_mov_b32_e32 v30, 0
	ds_read_b32 v30, v30 offset:112
	s_waitcnt lgkmcnt(0)
	v_mul_f32_e32 v30, v36, v30
.LBB95_764:
	s_or_b64 exec, exec, s[4:5]
	v_cmp_gt_u32_e32 vcc, 29, v0
	ds_write_b32 v130, v31
	s_waitcnt lgkmcnt(0)
	; wave barrier
	s_and_saveexec_b64 s[4:5], vcc
	s_cbranch_execz .LBB95_774
; %bb.765:
	s_and_b64 vcc, exec, s[0:1]
	s_cbranch_vccnz .LBB95_767
; %bb.766:
	v_cmp_eq_u32_e32 vcc, 1, v0
	v_cndmask_b32_e32 v34, v2, v3, vcc
	v_cmp_eq_u32_e32 vcc, 2, v0
	v_cndmask_b32_e32 v34, v34, v4, vcc
	;; [unrolled: 2-line block ×27, first 2 shown]
	v_cmp_eq_u32_e32 vcc, 28, v0
	ds_read_b32 v35, v130
	v_cndmask_b32_e32 v34, v34, v30, vcc
	v_cmp_eq_u32_e32 vcc, 29, v0
	v_cndmask_b32_e32 v34, v34, v31, vcc
	v_cmp_eq_u32_e32 vcc, 30, v0
	;; [unrolled: 2-line block ×3, first 2 shown]
	v_cndmask_b32_e32 v34, v34, v33, vcc
	s_waitcnt lgkmcnt(0)
	v_mul_f32_e32 v36, v34, v35
	s_cbranch_execz .LBB95_768
	s_branch .LBB95_769
.LBB95_767:
                                        ; implicit-def: $vgpr36
.LBB95_768:
	ds_read_b32 v36, v130
.LBB95_769:
	v_cmp_ne_u32_e32 vcc, 28, v0
	s_and_saveexec_b64 s[6:7], vcc
	s_cbranch_execz .LBB95_773
; %bb.770:
	v_mov_b32_e32 v34, 0x84
	v_lshl_add_u32 v37, v0, 2, v34
	v_mov_b32_e32 v35, v1
	s_mov_b64 s[8:9], 0
	v_mov_b32_e32 v34, v0
.LBB95_771:                             ; =>This Inner Loop Header: Depth=1
	v_add_co_u32_e32 v34, vcc, 1, v34
	v_addc_co_u32_e32 v35, vcc, 0, v35, vcc
	v_cmp_eq_u32_e32 vcc, 1, v34
	v_cndmask_b32_e32 v39, v2, v3, vcc
	v_cmp_lt_u32_e32 vcc, 27, v34
	v_cmp_eq_u32_e64 s[2:3], 2, v34
	v_cndmask_b32_e64 v39, v39, v4, s[2:3]
	s_or_b64 s[8:9], vcc, s[8:9]
	v_cmp_eq_u32_e32 vcc, 3, v34
	v_cndmask_b32_e32 v39, v39, v5, vcc
	v_cmp_eq_u32_e32 vcc, 4, v34
	v_cndmask_b32_e32 v39, v39, v6, vcc
	;; [unrolled: 2-line block ×24, first 2 shown]
	v_cmp_eq_u32_e32 vcc, 27, v34
	ds_read_b32 v38, v37
	v_cndmask_b32_e32 v39, v39, v29, vcc
	v_cmp_eq_u32_e32 vcc, 28, v34
	v_cndmask_b32_e32 v39, v39, v30, vcc
	v_cmp_eq_u32_e32 vcc, 29, v34
	;; [unrolled: 2-line block ×4, first 2 shown]
	v_cndmask_b32_e32 v39, v39, v33, vcc
	v_add_u32_e32 v37, 4, v37
	s_waitcnt lgkmcnt(0)
	v_fmac_f32_e32 v36, v39, v38
	s_andn2_b64 exec, exec, s[8:9]
	s_cbranch_execnz .LBB95_771
; %bb.772:
	s_or_b64 exec, exec, s[8:9]
.LBB95_773:
	s_or_b64 exec, exec, s[6:7]
	v_mov_b32_e32 v31, 0
	ds_read_b32 v31, v31 offset:116
	s_waitcnt lgkmcnt(0)
	v_mul_f32_e32 v31, v36, v31
.LBB95_774:
	s_or_b64 exec, exec, s[4:5]
	v_cmp_gt_u32_e64 s[2:3], 30, v0
	ds_write_b32 v130, v32
	s_waitcnt lgkmcnt(0)
	; wave barrier
	s_and_saveexec_b64 s[6:7], s[2:3]
	s_cbranch_execz .LBB95_784
; %bb.775:
	s_and_b64 vcc, exec, s[0:1]
	s_cbranch_vccnz .LBB95_777
; %bb.776:
	v_cmp_eq_u32_e32 vcc, 1, v0
	v_cndmask_b32_e32 v34, v2, v3, vcc
	v_cmp_eq_u32_e32 vcc, 2, v0
	v_cndmask_b32_e32 v34, v34, v4, vcc
	;; [unrolled: 2-line block ×27, first 2 shown]
	v_cmp_eq_u32_e32 vcc, 28, v0
	ds_read_b32 v35, v130
	v_cndmask_b32_e32 v34, v34, v30, vcc
	v_cmp_eq_u32_e32 vcc, 29, v0
	v_cndmask_b32_e32 v34, v34, v31, vcc
	v_cmp_eq_u32_e32 vcc, 30, v0
	;; [unrolled: 2-line block ×3, first 2 shown]
	v_cndmask_b32_e32 v34, v34, v33, vcc
	s_waitcnt lgkmcnt(0)
	v_mul_f32_e32 v36, v34, v35
	s_cbranch_execz .LBB95_778
	s_branch .LBB95_779
.LBB95_777:
                                        ; implicit-def: $vgpr36
.LBB95_778:
	ds_read_b32 v36, v130
.LBB95_779:
	v_cmp_ne_u32_e32 vcc, 29, v0
	s_and_saveexec_b64 s[8:9], vcc
	s_cbranch_execz .LBB95_783
; %bb.780:
	v_mov_b32_e32 v34, 0x84
	v_lshl_add_u32 v37, v0, 2, v34
	v_mov_b32_e32 v35, v1
	s_mov_b64 s[10:11], 0
	v_mov_b32_e32 v34, v0
.LBB95_781:                             ; =>This Inner Loop Header: Depth=1
	v_add_co_u32_e32 v34, vcc, 1, v34
	v_addc_co_u32_e32 v35, vcc, 0, v35, vcc
	v_cmp_eq_u32_e32 vcc, 1, v34
	v_cndmask_b32_e32 v39, v2, v3, vcc
	v_cmp_lt_u32_e32 vcc, 28, v34
	v_cmp_eq_u32_e64 s[4:5], 2, v34
	v_cndmask_b32_e64 v39, v39, v4, s[4:5]
	s_or_b64 s[10:11], vcc, s[10:11]
	v_cmp_eq_u32_e32 vcc, 3, v34
	v_cndmask_b32_e32 v39, v39, v5, vcc
	v_cmp_eq_u32_e32 vcc, 4, v34
	v_cndmask_b32_e32 v39, v39, v6, vcc
	;; [unrolled: 2-line block ×24, first 2 shown]
	v_cmp_eq_u32_e32 vcc, 27, v34
	ds_read_b32 v38, v37
	v_cndmask_b32_e32 v39, v39, v29, vcc
	v_cmp_eq_u32_e32 vcc, 28, v34
	v_cndmask_b32_e32 v39, v39, v30, vcc
	v_cmp_eq_u32_e32 vcc, 29, v34
	;; [unrolled: 2-line block ×4, first 2 shown]
	v_cndmask_b32_e32 v39, v39, v33, vcc
	v_add_u32_e32 v37, 4, v37
	s_waitcnt lgkmcnt(0)
	v_fmac_f32_e32 v36, v39, v38
	s_andn2_b64 exec, exec, s[10:11]
	s_cbranch_execnz .LBB95_781
; %bb.782:
	s_or_b64 exec, exec, s[10:11]
.LBB95_783:
	s_or_b64 exec, exec, s[8:9]
	v_mov_b32_e32 v32, 0
	ds_read_b32 v32, v32 offset:120
	s_waitcnt lgkmcnt(0)
	v_mul_f32_e32 v32, v36, v32
.LBB95_784:
	s_or_b64 exec, exec, s[6:7]
	v_cmp_ne_u32_e32 vcc, 31, v0
	ds_write_b32 v130, v33
	s_waitcnt lgkmcnt(0)
	; wave barrier
	s_and_saveexec_b64 s[4:5], vcc
	s_cbranch_execz .LBB95_794
; %bb.785:
	s_and_b64 vcc, exec, s[0:1]
	s_cbranch_vccnz .LBB95_787
; %bb.786:
	v_cmp_eq_u32_e32 vcc, 1, v0
	v_cndmask_b32_e32 v34, v2, v3, vcc
	v_cmp_eq_u32_e32 vcc, 2, v0
	v_cndmask_b32_e32 v34, v34, v4, vcc
	v_cmp_eq_u32_e32 vcc, 3, v0
	v_cndmask_b32_e32 v34, v34, v5, vcc
	v_cmp_eq_u32_e32 vcc, 4, v0
	v_cndmask_b32_e32 v34, v34, v6, vcc
	v_cmp_eq_u32_e32 vcc, 5, v0
	v_cndmask_b32_e32 v34, v34, v7, vcc
	v_cmp_eq_u32_e32 vcc, 6, v0
	v_cndmask_b32_e32 v34, v34, v8, vcc
	v_cmp_eq_u32_e32 vcc, 7, v0
	v_cndmask_b32_e32 v34, v34, v9, vcc
	v_cmp_eq_u32_e32 vcc, 8, v0
	v_cndmask_b32_e32 v34, v34, v10, vcc
	v_cmp_eq_u32_e32 vcc, 9, v0
	v_cndmask_b32_e32 v34, v34, v11, vcc
	v_cmp_eq_u32_e32 vcc, 10, v0
	v_cndmask_b32_e32 v34, v34, v12, vcc
	v_cmp_eq_u32_e32 vcc, 11, v0
	v_cndmask_b32_e32 v34, v34, v13, vcc
	v_cmp_eq_u32_e32 vcc, 12, v0
	v_cndmask_b32_e32 v34, v34, v14, vcc
	v_cmp_eq_u32_e32 vcc, 13, v0
	v_cndmask_b32_e32 v34, v34, v15, vcc
	v_cmp_eq_u32_e32 vcc, 14, v0
	v_cndmask_b32_e32 v34, v34, v16, vcc
	v_cmp_eq_u32_e32 vcc, 15, v0
	v_cndmask_b32_e32 v34, v34, v17, vcc
	v_cmp_eq_u32_e32 vcc, 16, v0
	v_cndmask_b32_e32 v34, v34, v18, vcc
	v_cmp_eq_u32_e32 vcc, 17, v0
	v_cndmask_b32_e32 v34, v34, v19, vcc
	v_cmp_eq_u32_e32 vcc, 18, v0
	v_cndmask_b32_e32 v34, v34, v20, vcc
	v_cmp_eq_u32_e32 vcc, 19, v0
	v_cndmask_b32_e32 v34, v34, v21, vcc
	v_cmp_eq_u32_e32 vcc, 20, v0
	v_cndmask_b32_e32 v34, v34, v22, vcc
	v_cmp_eq_u32_e32 vcc, 21, v0
	v_cndmask_b32_e32 v34, v34, v23, vcc
	v_cmp_eq_u32_e32 vcc, 22, v0
	v_cndmask_b32_e32 v34, v34, v24, vcc
	v_cmp_eq_u32_e32 vcc, 23, v0
	v_cndmask_b32_e32 v34, v34, v25, vcc
	v_cmp_eq_u32_e32 vcc, 24, v0
	v_cndmask_b32_e32 v34, v34, v26, vcc
	v_cmp_eq_u32_e32 vcc, 25, v0
	v_cndmask_b32_e32 v34, v34, v27, vcc
	v_cmp_eq_u32_e32 vcc, 26, v0
	v_cndmask_b32_e32 v34, v34, v28, vcc
	v_cmp_eq_u32_e32 vcc, 27, v0
	v_cndmask_b32_e32 v34, v34, v29, vcc
	v_cmp_eq_u32_e32 vcc, 28, v0
	ds_read_b32 v35, v130
	v_cndmask_b32_e32 v34, v34, v30, vcc
	v_cmp_eq_u32_e32 vcc, 29, v0
	v_cndmask_b32_e32 v34, v34, v31, vcc
	v_cmp_eq_u32_e32 vcc, 30, v0
	;; [unrolled: 2-line block ×3, first 2 shown]
	v_cndmask_b32_e32 v34, v34, v33, vcc
	s_waitcnt lgkmcnt(0)
	v_mul_f32_e32 v34, v34, v35
	s_cbranch_execz .LBB95_788
	s_branch .LBB95_789
.LBB95_787:
                                        ; implicit-def: $vgpr34
.LBB95_788:
	ds_read_b32 v34, v130
.LBB95_789:
	s_and_saveexec_b64 s[6:7], s[2:3]
	s_cbranch_execz .LBB95_793
; %bb.790:
	v_mov_b32_e32 v35, 0x84
	v_lshl_add_u32 v35, v0, 2, v35
	s_mov_b64 s[2:3], 0
.LBB95_791:                             ; =>This Inner Loop Header: Depth=1
	v_add_co_u32_e32 v0, vcc, 1, v0
	v_addc_co_u32_e32 v1, vcc, 0, v1, vcc
	v_cmp_eq_u32_e32 vcc, 1, v0
	v_cndmask_b32_e32 v37, v2, v3, vcc
	v_cmp_lt_u32_e32 vcc, 29, v0
	v_cmp_eq_u32_e64 s[0:1], 2, v0
	v_cndmask_b32_e64 v37, v37, v4, s[0:1]
	s_or_b64 s[2:3], vcc, s[2:3]
	v_cmp_eq_u32_e32 vcc, 3, v0
	v_cndmask_b32_e32 v37, v37, v5, vcc
	v_cmp_eq_u32_e32 vcc, 4, v0
	v_cndmask_b32_e32 v37, v37, v6, vcc
	;; [unrolled: 2-line block ×24, first 2 shown]
	v_cmp_eq_u32_e32 vcc, 27, v0
	ds_read_b32 v36, v35
	v_cndmask_b32_e32 v37, v37, v29, vcc
	v_cmp_eq_u32_e32 vcc, 28, v0
	v_cndmask_b32_e32 v37, v37, v30, vcc
	v_cmp_eq_u32_e32 vcc, 29, v0
	;; [unrolled: 2-line block ×4, first 2 shown]
	v_cndmask_b32_e32 v37, v37, v33, vcc
	v_add_u32_e32 v35, 4, v35
	s_waitcnt lgkmcnt(0)
	v_fmac_f32_e32 v34, v37, v36
	s_andn2_b64 exec, exec, s[2:3]
	s_cbranch_execnz .LBB95_791
; %bb.792:
	s_or_b64 exec, exec, s[2:3]
.LBB95_793:
	s_or_b64 exec, exec, s[6:7]
	v_mov_b32_e32 v0, 0
	ds_read_b32 v0, v0 offset:124
	s_waitcnt lgkmcnt(0)
	v_mul_f32_e32 v33, v34, v0
.LBB95_794:
	s_or_b64 exec, exec, s[4:5]
	v_mov_b32_e32 v65, v33
	v_mov_b32_e32 v64, v32
	;; [unrolled: 1-line block ×32, first 2 shown]
.LBB95_795:
	flat_store_dword v[126:127], v34
	flat_store_dword v[128:129], v35
	;; [unrolled: 1-line block ×32, first 2 shown]
.LBB95_796:
	s_endpgm
	.section	.rodata,"a",@progbits
	.p2align	6, 0x0
	.amdhsa_kernel _ZN9rocsolver6v33100L18trti2_kernel_smallILi32EfPKPfEEv13rocblas_fill_17rocblas_diagonal_T1_iil
		.amdhsa_group_segment_fixed_size 256
		.amdhsa_private_segment_fixed_size 0
		.amdhsa_kernarg_size 32
		.amdhsa_user_sgpr_count 6
		.amdhsa_user_sgpr_private_segment_buffer 1
		.amdhsa_user_sgpr_dispatch_ptr 0
		.amdhsa_user_sgpr_queue_ptr 0
		.amdhsa_user_sgpr_kernarg_segment_ptr 1
		.amdhsa_user_sgpr_dispatch_id 0
		.amdhsa_user_sgpr_flat_scratch_init 0
		.amdhsa_user_sgpr_private_segment_size 0
		.amdhsa_uses_dynamic_stack 0
		.amdhsa_system_sgpr_private_segment_wavefront_offset 0
		.amdhsa_system_sgpr_workgroup_id_x 1
		.amdhsa_system_sgpr_workgroup_id_y 0
		.amdhsa_system_sgpr_workgroup_id_z 0
		.amdhsa_system_sgpr_workgroup_info 0
		.amdhsa_system_vgpr_workitem_id 0
		.amdhsa_next_free_vgpr 148
		.amdhsa_next_free_sgpr 72
		.amdhsa_reserve_vcc 1
		.amdhsa_reserve_flat_scratch 0
		.amdhsa_float_round_mode_32 0
		.amdhsa_float_round_mode_16_64 0
		.amdhsa_float_denorm_mode_32 3
		.amdhsa_float_denorm_mode_16_64 3
		.amdhsa_dx10_clamp 1
		.amdhsa_ieee_mode 1
		.amdhsa_fp16_overflow 0
		.amdhsa_exception_fp_ieee_invalid_op 0
		.amdhsa_exception_fp_denorm_src 0
		.amdhsa_exception_fp_ieee_div_zero 0
		.amdhsa_exception_fp_ieee_overflow 0
		.amdhsa_exception_fp_ieee_underflow 0
		.amdhsa_exception_fp_ieee_inexact 0
		.amdhsa_exception_int_div_zero 0
	.end_amdhsa_kernel
	.section	.text._ZN9rocsolver6v33100L18trti2_kernel_smallILi32EfPKPfEEv13rocblas_fill_17rocblas_diagonal_T1_iil,"axG",@progbits,_ZN9rocsolver6v33100L18trti2_kernel_smallILi32EfPKPfEEv13rocblas_fill_17rocblas_diagonal_T1_iil,comdat
.Lfunc_end95:
	.size	_ZN9rocsolver6v33100L18trti2_kernel_smallILi32EfPKPfEEv13rocblas_fill_17rocblas_diagonal_T1_iil, .Lfunc_end95-_ZN9rocsolver6v33100L18trti2_kernel_smallILi32EfPKPfEEv13rocblas_fill_17rocblas_diagonal_T1_iil
                                        ; -- End function
	.set _ZN9rocsolver6v33100L18trti2_kernel_smallILi32EfPKPfEEv13rocblas_fill_17rocblas_diagonal_T1_iil.num_vgpr, 148
	.set _ZN9rocsolver6v33100L18trti2_kernel_smallILi32EfPKPfEEv13rocblas_fill_17rocblas_diagonal_T1_iil.num_agpr, 0
	.set _ZN9rocsolver6v33100L18trti2_kernel_smallILi32EfPKPfEEv13rocblas_fill_17rocblas_diagonal_T1_iil.numbered_sgpr, 72
	.set _ZN9rocsolver6v33100L18trti2_kernel_smallILi32EfPKPfEEv13rocblas_fill_17rocblas_diagonal_T1_iil.num_named_barrier, 0
	.set _ZN9rocsolver6v33100L18trti2_kernel_smallILi32EfPKPfEEv13rocblas_fill_17rocblas_diagonal_T1_iil.private_seg_size, 0
	.set _ZN9rocsolver6v33100L18trti2_kernel_smallILi32EfPKPfEEv13rocblas_fill_17rocblas_diagonal_T1_iil.uses_vcc, 1
	.set _ZN9rocsolver6v33100L18trti2_kernel_smallILi32EfPKPfEEv13rocblas_fill_17rocblas_diagonal_T1_iil.uses_flat_scratch, 0
	.set _ZN9rocsolver6v33100L18trti2_kernel_smallILi32EfPKPfEEv13rocblas_fill_17rocblas_diagonal_T1_iil.has_dyn_sized_stack, 0
	.set _ZN9rocsolver6v33100L18trti2_kernel_smallILi32EfPKPfEEv13rocblas_fill_17rocblas_diagonal_T1_iil.has_recursion, 0
	.set _ZN9rocsolver6v33100L18trti2_kernel_smallILi32EfPKPfEEv13rocblas_fill_17rocblas_diagonal_T1_iil.has_indirect_call, 0
	.section	.AMDGPU.csdata,"",@progbits
; Kernel info:
; codeLenInByte = 54528
; TotalNumSgprs: 76
; NumVgprs: 148
; ScratchSize: 0
; MemoryBound: 0
; FloatMode: 240
; IeeeMode: 1
; LDSByteSize: 256 bytes/workgroup (compile time only)
; SGPRBlocks: 9
; VGPRBlocks: 36
; NumSGPRsForWavesPerEU: 76
; NumVGPRsForWavesPerEU: 148
; Occupancy: 1
; WaveLimiterHint : 1
; COMPUTE_PGM_RSRC2:SCRATCH_EN: 0
; COMPUTE_PGM_RSRC2:USER_SGPR: 6
; COMPUTE_PGM_RSRC2:TRAP_HANDLER: 0
; COMPUTE_PGM_RSRC2:TGID_X_EN: 1
; COMPUTE_PGM_RSRC2:TGID_Y_EN: 0
; COMPUTE_PGM_RSRC2:TGID_Z_EN: 0
; COMPUTE_PGM_RSRC2:TIDIG_COMP_CNT: 0
	.section	.text._ZN9rocsolver6v33100L18trti2_kernel_smallILi33EfPKPfEEv13rocblas_fill_17rocblas_diagonal_T1_iil,"axG",@progbits,_ZN9rocsolver6v33100L18trti2_kernel_smallILi33EfPKPfEEv13rocblas_fill_17rocblas_diagonal_T1_iil,comdat
	.globl	_ZN9rocsolver6v33100L18trti2_kernel_smallILi33EfPKPfEEv13rocblas_fill_17rocblas_diagonal_T1_iil ; -- Begin function _ZN9rocsolver6v33100L18trti2_kernel_smallILi33EfPKPfEEv13rocblas_fill_17rocblas_diagonal_T1_iil
	.p2align	8
	.type	_ZN9rocsolver6v33100L18trti2_kernel_smallILi33EfPKPfEEv13rocblas_fill_17rocblas_diagonal_T1_iil,@function
_ZN9rocsolver6v33100L18trti2_kernel_smallILi33EfPKPfEEv13rocblas_fill_17rocblas_diagonal_T1_iil: ; @_ZN9rocsolver6v33100L18trti2_kernel_smallILi33EfPKPfEEv13rocblas_fill_17rocblas_diagonal_T1_iil
; %bb.0:
	s_add_u32 s0, s0, s7
	s_addc_u32 s1, s1, 0
	v_cmp_gt_u32_e32 vcc, 33, v0
	s_and_saveexec_b64 s[8:9], vcc
	s_cbranch_execz .LBB96_630
; %bb.1:
	s_load_dwordx2 s[12:13], s[4:5], 0x10
	s_load_dwordx4 s[8:11], s[4:5], 0x0
	s_ashr_i32 s7, s6, 31
	s_lshl_b64 s[6:7], s[6:7], 3
	v_lshlrev_b32_e32 v67, 2, v0
	s_waitcnt lgkmcnt(0)
	s_ashr_i32 s5, s12, 31
	s_add_u32 s6, s10, s6
	s_addc_u32 s7, s11, s7
	s_load_dwordx2 s[6:7], s[6:7], 0x0
	s_mov_b32 s4, s12
	s_lshl_b64 s[4:5], s[4:5], 2
	s_waitcnt lgkmcnt(0)
	s_add_u32 s4, s6, s4
	s_addc_u32 s5, s7, s5
	v_mov_b32_e32 v2, s5
	v_add_co_u32_e32 v1, vcc, s4, v67
	v_addc_co_u32_e32 v2, vcc, 0, v2, vcc
	flat_load_dword v5, v[1:2]
	s_mov_b32 s6, s13
	s_ashr_i32 s7, s13, 31
	s_lshl_b64 s[6:7], s[6:7], 2
	v_mov_b32_e32 v4, s7
	v_add_co_u32_e32 v3, vcc, s6, v1
	v_addc_co_u32_e32 v4, vcc, v2, v4, vcc
	s_add_i32 s6, s13, s13
	v_add_u32_e32 v7, s6, v0
	v_ashrrev_i32_e32 v8, 31, v7
	v_mov_b32_e32 v10, s5
	v_mov_b32_e32 v12, s5
	;; [unrolled: 1-line block ×30, first 2 shown]
	s_cmpk_lg_i32 s9, 0x84
	s_cselect_b64 s[10:11], -1, 0
	s_cmpk_eq_i32 s9, 0x84
	s_waitcnt vmcnt(0) lgkmcnt(0)
	buffer_store_dword v5, off, s[0:3], 0
	flat_load_dword v9, v[3:4]
	v_lshlrev_b64 v[5:6], 2, v[7:8]
	v_add_co_u32_e32 v5, vcc, s4, v5
	v_addc_co_u32_e32 v6, vcc, v10, v6, vcc
	s_waitcnt vmcnt(0) lgkmcnt(0)
	buffer_store_dword v9, off, s[0:3], 0 offset:4
	flat_load_dword v11, v[5:6]
	v_add_u32_e32 v9, s13, v7
	v_ashrrev_i32_e32 v10, 31, v9
	v_lshlrev_b64 v[7:8], 2, v[9:10]
	v_add_co_u32_e32 v7, vcc, s4, v7
	v_addc_co_u32_e32 v8, vcc, v12, v8, vcc
	s_waitcnt vmcnt(0) lgkmcnt(0)
	buffer_store_dword v11, off, s[0:3], 0 offset:8
	flat_load_dword v13, v[7:8]
	v_add_u32_e32 v11, s13, v9
	v_ashrrev_i32_e32 v12, 31, v11
	;; [unrolled: 8-line block ×29, first 2 shown]
	v_lshlrev_b64 v[63:64], 2, v[65:66]
	v_add_u32_e32 v65, s13, v65
	v_add_co_u32_e32 v63, vcc, s4, v63
	v_addc_co_u32_e32 v64, vcc, v69, v64, vcc
	v_ashrrev_i32_e32 v66, 31, v65
	v_lshlrev_b64 v[65:66], 2, v[65:66]
	v_add_co_u32_e32 v65, vcc, s4, v65
	v_addc_co_u32_e32 v66, vcc, v69, v66, vcc
	s_waitcnt vmcnt(0) lgkmcnt(0)
	buffer_store_dword v68, off, s[0:3], 0 offset:120
	flat_load_dword v68, v[63:64]
	s_waitcnt vmcnt(0) lgkmcnt(0)
	buffer_store_dword v68, off, s[0:3], 0 offset:124
	flat_load_dword v68, v[65:66]
	s_waitcnt vmcnt(0) lgkmcnt(0)
	buffer_store_dword v68, off, s[0:3], 0 offset:128
	v_mov_b32_e32 v68, -1.0
	s_cbranch_scc1 .LBB96_3
; %bb.2:
	v_mov_b32_e32 v68, 0
	v_lshl_add_u32 v68, v0, 2, v68
	buffer_load_dword v69, v68, s[0:3], 0 offen
	s_waitcnt vmcnt(0)
	v_div_scale_f32 v70, s[4:5], v69, v69, 1.0
	v_div_scale_f32 v71, vcc, 1.0, v69, 1.0
	v_rcp_f32_e32 v72, v70
	v_fma_f32 v73, -v70, v72, 1.0
	v_fmac_f32_e32 v72, v73, v72
	v_mul_f32_e32 v73, v71, v72
	v_fma_f32 v74, -v70, v73, v71
	v_fmac_f32_e32 v73, v74, v72
	v_fma_f32 v70, -v70, v73, v71
	v_div_fmas_f32 v70, v70, v72, v73
	v_div_fixup_f32 v69, v70, v69, 1.0
	buffer_store_dword v69, v68, s[0:3], 0 offen
	v_xor_b32_e32 v68, 0x80000000, v69
.LBB96_3:
	ds_write_b32 v67, v68
	s_cmpk_eq_i32 s8, 0x79
	v_add_u32_e32 v68, 0x90, v67
	v_mov_b32_e32 v69, v67
	s_mov_b64 s[4:5], -1
	s_cbranch_scc1 .LBB96_317
; %bb.4:
	buffer_load_dword v70, off, s[0:3], 0 offset:124
	s_movk_i32 s12, 0x44
	s_movk_i32 s13, 0x48
	;; [unrolled: 1-line block ×14, first 2 shown]
	v_cmp_eq_u32_e64 s[4:5], 32, v0
	s_waitcnt vmcnt(0)
	ds_write_b32 v68, v70
	s_waitcnt lgkmcnt(0)
	; wave barrier
	s_and_saveexec_b64 s[6:7], s[4:5]
	s_cbranch_execz .LBB96_10
; %bb.5:
	s_and_b64 vcc, exec, s[10:11]
	s_cbranch_vccz .LBB96_7
; %bb.6:
	buffer_load_dword v70, v69, s[0:3], 0 offen
	ds_read_b32 v71, v68
	s_waitcnt vmcnt(0) lgkmcnt(0)
	v_mul_f32_e32 v70, v70, v71
	s_cbranch_execz .LBB96_8
	s_branch .LBB96_9
.LBB96_7:
                                        ; implicit-def: $vgpr70
.LBB96_8:
	ds_read_b32 v70, v68
.LBB96_9:
	v_mov_b32_e32 v71, 0
	ds_read_b32 v71, v71 offset:124
	s_waitcnt lgkmcnt(0)
	v_mul_f32_e32 v70, v70, v71
	buffer_store_dword v70, off, s[0:3], 0 offset:124
.LBB96_10:
	s_or_b64 exec, exec, s[6:7]
	buffer_load_dword v70, off, s[0:3], 0 offset:120
	s_or_b32 s14, 0, 4
	s_or_b32 s15, 0, 8
	;; [unrolled: 1-line block ×3, first 2 shown]
	s_mov_b32 s17, 16
	s_mov_b32 s18, 20
	;; [unrolled: 1-line block ×15, first 2 shown]
	v_cmp_lt_u32_e64 s[6:7], 30, v0
	s_waitcnt vmcnt(0)
	ds_write_b32 v68, v70
	s_waitcnt lgkmcnt(0)
	; wave barrier
	s_and_saveexec_b64 s[8:9], s[6:7]
	s_cbranch_execz .LBB96_16
; %bb.11:
	s_andn2_b64 vcc, exec, s[10:11]
	s_cbranch_vccnz .LBB96_13
; %bb.12:
	buffer_load_dword v70, v69, s[0:3], 0 offen
	ds_read_b32 v71, v68
	s_waitcnt vmcnt(0) lgkmcnt(0)
	v_mul_f32_e32 v70, v70, v71
	s_cbranch_execz .LBB96_14
	s_branch .LBB96_15
.LBB96_13:
                                        ; implicit-def: $vgpr70
.LBB96_14:
	ds_read_b32 v70, v68
.LBB96_15:
	buffer_load_dword v73, off, s[0:3], 0 offset:124
	v_mov_b32_e32 v71, 0
	ds_read2_b32 v[71:72], v71 offset0:30 offset1:67
	s_waitcnt vmcnt(0) lgkmcnt(0)
	v_fma_f32 v72, v73, v72, v70
	v_cndmask_b32_e64 v70, v70, v72, s[4:5]
	v_mul_f32_e32 v70, v70, v71
	buffer_store_dword v70, off, s[0:3], 0 offset:120
.LBB96_16:
	s_or_b64 exec, exec, s[8:9]
	buffer_load_dword v70, off, s[0:3], 0 offset:116
	v_cmp_lt_u32_e64 s[4:5], 29, v0
	s_waitcnt vmcnt(0)
	ds_write_b32 v68, v70
	s_waitcnt lgkmcnt(0)
	; wave barrier
	s_and_saveexec_b64 s[8:9], s[4:5]
	s_cbranch_execz .LBB96_26
; %bb.17:
	s_andn2_b64 vcc, exec, s[10:11]
	s_cbranch_vccnz .LBB96_19
; %bb.18:
	buffer_load_dword v70, v69, s[0:3], 0 offen
	ds_read_b32 v71, v68
	s_waitcnt vmcnt(0) lgkmcnt(0)
	v_mul_f32_e32 v70, v70, v71
	s_cbranch_execz .LBB96_20
	s_branch .LBB96_21
.LBB96_19:
                                        ; implicit-def: $vgpr70
.LBB96_20:
	ds_read_b32 v70, v68
.LBB96_21:
	s_and_saveexec_b64 s[12:13], s[6:7]
	s_cbranch_execz .LBB96_25
; %bb.22:
	v_subrev_u32_e32 v71, 30, v0
	s_movk_i32 s45, 0x108
	s_mov_b64 s[6:7], 0
.LBB96_23:                              ; =>This Inner Loop Header: Depth=1
	v_mov_b32_e32 v72, s44
	buffer_load_dword v72, v72, s[0:3], 0 offen
	v_mov_b32_e32 v73, s45
	ds_read_b32 v73, v73
	v_add_u32_e32 v71, -1, v71
	s_add_i32 s45, s45, 4
	s_add_i32 s44, s44, 4
	v_cmp_eq_u32_e32 vcc, 0, v71
	s_or_b64 s[6:7], vcc, s[6:7]
	s_waitcnt vmcnt(0) lgkmcnt(0)
	v_fmac_f32_e32 v70, v72, v73
	s_andn2_b64 exec, exec, s[6:7]
	s_cbranch_execnz .LBB96_23
; %bb.24:
	s_or_b64 exec, exec, s[6:7]
.LBB96_25:
	s_or_b64 exec, exec, s[12:13]
	v_mov_b32_e32 v71, 0
	ds_read_b32 v71, v71 offset:116
	s_waitcnt lgkmcnt(0)
	v_mul_f32_e32 v70, v70, v71
	buffer_store_dword v70, off, s[0:3], 0 offset:116
.LBB96_26:
	s_or_b64 exec, exec, s[8:9]
	buffer_load_dword v70, off, s[0:3], 0 offset:112
	v_cmp_lt_u32_e64 s[6:7], 28, v0
	s_waitcnt vmcnt(0)
	ds_write_b32 v68, v70
	s_waitcnt lgkmcnt(0)
	; wave barrier
	s_and_saveexec_b64 s[8:9], s[6:7]
	s_cbranch_execz .LBB96_36
; %bb.27:
	s_andn2_b64 vcc, exec, s[10:11]
	s_cbranch_vccnz .LBB96_29
; %bb.28:
	buffer_load_dword v70, v69, s[0:3], 0 offen
	ds_read_b32 v71, v68
	s_waitcnt vmcnt(0) lgkmcnt(0)
	v_mul_f32_e32 v70, v70, v71
	s_cbranch_execz .LBB96_30
	s_branch .LBB96_31
.LBB96_29:
                                        ; implicit-def: $vgpr70
.LBB96_30:
	ds_read_b32 v70, v68
.LBB96_31:
	s_and_saveexec_b64 s[12:13], s[4:5]
	s_cbranch_execz .LBB96_35
; %bb.32:
	v_subrev_u32_e32 v71, 29, v0
	s_movk_i32 s44, 0x104
	s_mov_b64 s[4:5], 0
.LBB96_33:                              ; =>This Inner Loop Header: Depth=1
	v_mov_b32_e32 v72, s43
	buffer_load_dword v72, v72, s[0:3], 0 offen
	v_mov_b32_e32 v73, s44
	ds_read_b32 v73, v73
	v_add_u32_e32 v71, -1, v71
	s_add_i32 s44, s44, 4
	s_add_i32 s43, s43, 4
	v_cmp_eq_u32_e32 vcc, 0, v71
	s_or_b64 s[4:5], vcc, s[4:5]
	s_waitcnt vmcnt(0) lgkmcnt(0)
	v_fmac_f32_e32 v70, v72, v73
	s_andn2_b64 exec, exec, s[4:5]
	s_cbranch_execnz .LBB96_33
; %bb.34:
	s_or_b64 exec, exec, s[4:5]
.LBB96_35:
	s_or_b64 exec, exec, s[12:13]
	v_mov_b32_e32 v71, 0
	ds_read_b32 v71, v71 offset:112
	s_waitcnt lgkmcnt(0)
	v_mul_f32_e32 v70, v70, v71
	buffer_store_dword v70, off, s[0:3], 0 offset:112
.LBB96_36:
	;; [unrolled: 54-line block ×8, first 2 shown]
	s_or_b64 exec, exec, s[8:9]
	buffer_load_dword v70, off, s[0:3], 0 offset:84
	v_cmp_lt_u32_e64 s[4:5], 21, v0
	s_waitcnt vmcnt(0)
	ds_write_b32 v68, v70
	s_waitcnt lgkmcnt(0)
	; wave barrier
	s_and_saveexec_b64 s[8:9], s[4:5]
	s_cbranch_execz .LBB96_106
; %bb.97:
	s_andn2_b64 vcc, exec, s[10:11]
	s_cbranch_vccnz .LBB96_99
; %bb.98:
	buffer_load_dword v70, v69, s[0:3], 0 offen
	ds_read_b32 v71, v68
	s_waitcnt vmcnt(0) lgkmcnt(0)
	v_mul_f32_e32 v70, v70, v71
	s_cbranch_execz .LBB96_100
	s_branch .LBB96_101
.LBB96_99:
                                        ; implicit-def: $vgpr70
.LBB96_100:
	ds_read_b32 v70, v68
.LBB96_101:
	s_and_saveexec_b64 s[12:13], s[6:7]
	s_cbranch_execz .LBB96_105
; %bb.102:
	v_subrev_u32_e32 v71, 22, v0
	s_movk_i32 s37, 0xe8
	s_mov_b64 s[6:7], 0
.LBB96_103:                             ; =>This Inner Loop Header: Depth=1
	v_mov_b32_e32 v72, s36
	buffer_load_dword v72, v72, s[0:3], 0 offen
	v_mov_b32_e32 v73, s37
	ds_read_b32 v73, v73
	v_add_u32_e32 v71, -1, v71
	s_add_i32 s37, s37, 4
	s_add_i32 s36, s36, 4
	v_cmp_eq_u32_e32 vcc, 0, v71
	s_or_b64 s[6:7], vcc, s[6:7]
	s_waitcnt vmcnt(0) lgkmcnt(0)
	v_fmac_f32_e32 v70, v72, v73
	s_andn2_b64 exec, exec, s[6:7]
	s_cbranch_execnz .LBB96_103
; %bb.104:
	s_or_b64 exec, exec, s[6:7]
.LBB96_105:
	s_or_b64 exec, exec, s[12:13]
	v_mov_b32_e32 v71, 0
	ds_read_b32 v71, v71 offset:84
	s_waitcnt lgkmcnt(0)
	v_mul_f32_e32 v70, v70, v71
	buffer_store_dword v70, off, s[0:3], 0 offset:84
.LBB96_106:
	s_or_b64 exec, exec, s[8:9]
	buffer_load_dword v70, off, s[0:3], 0 offset:80
	v_cmp_lt_u32_e64 s[6:7], 20, v0
	s_waitcnt vmcnt(0)
	ds_write_b32 v68, v70
	s_waitcnt lgkmcnt(0)
	; wave barrier
	s_and_saveexec_b64 s[8:9], s[6:7]
	s_cbranch_execz .LBB96_116
; %bb.107:
	s_andn2_b64 vcc, exec, s[10:11]
	s_cbranch_vccnz .LBB96_109
; %bb.108:
	buffer_load_dword v70, v69, s[0:3], 0 offen
	ds_read_b32 v71, v68
	s_waitcnt vmcnt(0) lgkmcnt(0)
	v_mul_f32_e32 v70, v70, v71
	s_cbranch_execz .LBB96_110
	s_branch .LBB96_111
.LBB96_109:
                                        ; implicit-def: $vgpr70
.LBB96_110:
	ds_read_b32 v70, v68
.LBB96_111:
	s_and_saveexec_b64 s[12:13], s[4:5]
	s_cbranch_execz .LBB96_115
; %bb.112:
	v_subrev_u32_e32 v71, 21, v0
	s_movk_i32 s36, 0xe4
	s_mov_b64 s[4:5], 0
.LBB96_113:                             ; =>This Inner Loop Header: Depth=1
	v_mov_b32_e32 v72, s35
	buffer_load_dword v72, v72, s[0:3], 0 offen
	v_mov_b32_e32 v73, s36
	ds_read_b32 v73, v73
	v_add_u32_e32 v71, -1, v71
	s_add_i32 s36, s36, 4
	s_add_i32 s35, s35, 4
	v_cmp_eq_u32_e32 vcc, 0, v71
	s_or_b64 s[4:5], vcc, s[4:5]
	s_waitcnt vmcnt(0) lgkmcnt(0)
	v_fmac_f32_e32 v70, v72, v73
	s_andn2_b64 exec, exec, s[4:5]
	s_cbranch_execnz .LBB96_113
; %bb.114:
	s_or_b64 exec, exec, s[4:5]
.LBB96_115:
	s_or_b64 exec, exec, s[12:13]
	v_mov_b32_e32 v71, 0
	ds_read_b32 v71, v71 offset:80
	s_waitcnt lgkmcnt(0)
	v_mul_f32_e32 v70, v70, v71
	buffer_store_dword v70, off, s[0:3], 0 offset:80
.LBB96_116:
	;; [unrolled: 54-line block ×6, first 2 shown]
	s_or_b64 exec, exec, s[8:9]
	buffer_load_dword v70, off, s[0:3], 0 offset:60
	v_cmp_lt_u32_e64 s[4:5], 15, v0
	s_waitcnt vmcnt(0)
	ds_write_b32 v68, v70
	s_waitcnt lgkmcnt(0)
	; wave barrier
	s_and_saveexec_b64 s[8:9], s[4:5]
	s_cbranch_execz .LBB96_166
; %bb.157:
	s_andn2_b64 vcc, exec, s[10:11]
	s_cbranch_vccnz .LBB96_159
; %bb.158:
	buffer_load_dword v70, v69, s[0:3], 0 offen
	ds_read_b32 v71, v68
	s_waitcnt vmcnt(0) lgkmcnt(0)
	v_mul_f32_e32 v70, v70, v71
	s_cbranch_execz .LBB96_160
	s_branch .LBB96_161
.LBB96_159:
                                        ; implicit-def: $vgpr70
.LBB96_160:
	ds_read_b32 v70, v68
.LBB96_161:
	s_and_saveexec_b64 s[12:13], s[6:7]
	s_cbranch_execz .LBB96_165
; %bb.162:
	v_add_u32_e32 v71, -16, v0
	s_movk_i32 s30, 0xd0
	s_mov_b64 s[6:7], 0
.LBB96_163:                             ; =>This Inner Loop Header: Depth=1
	v_mov_b32_e32 v72, s29
	buffer_load_dword v72, v72, s[0:3], 0 offen
	v_mov_b32_e32 v73, s30
	ds_read_b32 v73, v73
	v_add_u32_e32 v71, -1, v71
	s_add_i32 s30, s30, 4
	s_add_i32 s29, s29, 4
	v_cmp_eq_u32_e32 vcc, 0, v71
	s_or_b64 s[6:7], vcc, s[6:7]
	s_waitcnt vmcnt(0) lgkmcnt(0)
	v_fmac_f32_e32 v70, v72, v73
	s_andn2_b64 exec, exec, s[6:7]
	s_cbranch_execnz .LBB96_163
; %bb.164:
	s_or_b64 exec, exec, s[6:7]
.LBB96_165:
	s_or_b64 exec, exec, s[12:13]
	v_mov_b32_e32 v71, 0
	ds_read_b32 v71, v71 offset:60
	s_waitcnt lgkmcnt(0)
	v_mul_f32_e32 v70, v70, v71
	buffer_store_dword v70, off, s[0:3], 0 offset:60
.LBB96_166:
	s_or_b64 exec, exec, s[8:9]
	buffer_load_dword v70, off, s[0:3], 0 offset:56
	v_cmp_lt_u32_e64 s[6:7], 14, v0
	s_waitcnt vmcnt(0)
	ds_write_b32 v68, v70
	s_waitcnt lgkmcnt(0)
	; wave barrier
	s_and_saveexec_b64 s[8:9], s[6:7]
	s_cbranch_execz .LBB96_176
; %bb.167:
	s_andn2_b64 vcc, exec, s[10:11]
	s_cbranch_vccnz .LBB96_169
; %bb.168:
	buffer_load_dword v70, v69, s[0:3], 0 offen
	ds_read_b32 v71, v68
	s_waitcnt vmcnt(0) lgkmcnt(0)
	v_mul_f32_e32 v70, v70, v71
	s_cbranch_execz .LBB96_170
	s_branch .LBB96_171
.LBB96_169:
                                        ; implicit-def: $vgpr70
.LBB96_170:
	ds_read_b32 v70, v68
.LBB96_171:
	s_and_saveexec_b64 s[12:13], s[4:5]
	s_cbranch_execz .LBB96_175
; %bb.172:
	v_add_u32_e32 v71, -15, v0
	s_movk_i32 s29, 0xcc
	s_mov_b64 s[4:5], 0
.LBB96_173:                             ; =>This Inner Loop Header: Depth=1
	v_mov_b32_e32 v72, s28
	buffer_load_dword v72, v72, s[0:3], 0 offen
	v_mov_b32_e32 v73, s29
	ds_read_b32 v73, v73
	v_add_u32_e32 v71, -1, v71
	s_add_i32 s29, s29, 4
	s_add_i32 s28, s28, 4
	v_cmp_eq_u32_e32 vcc, 0, v71
	s_or_b64 s[4:5], vcc, s[4:5]
	s_waitcnt vmcnt(0) lgkmcnt(0)
	v_fmac_f32_e32 v70, v72, v73
	s_andn2_b64 exec, exec, s[4:5]
	s_cbranch_execnz .LBB96_173
; %bb.174:
	s_or_b64 exec, exec, s[4:5]
.LBB96_175:
	s_or_b64 exec, exec, s[12:13]
	v_mov_b32_e32 v71, 0
	ds_read_b32 v71, v71 offset:56
	s_waitcnt lgkmcnt(0)
	v_mul_f32_e32 v70, v70, v71
	buffer_store_dword v70, off, s[0:3], 0 offset:56
.LBB96_176:
	;; [unrolled: 54-line block ×15, first 2 shown]
	s_or_b64 exec, exec, s[8:9]
	buffer_load_dword v70, off, s[0:3], 0
	v_cmp_ne_u32_e32 vcc, 0, v0
	s_waitcnt vmcnt(0)
	ds_write_b32 v68, v70
	s_waitcnt lgkmcnt(0)
	; wave barrier
	s_and_saveexec_b64 s[6:7], vcc
	s_cbranch_execz .LBB96_316
; %bb.307:
	s_andn2_b64 vcc, exec, s[10:11]
	s_cbranch_vccnz .LBB96_309
; %bb.308:
	buffer_load_dword v70, v69, s[0:3], 0 offen
	ds_read_b32 v71, v68
	s_waitcnt vmcnt(0) lgkmcnt(0)
	v_mul_f32_e32 v70, v70, v71
	s_cbranch_execz .LBB96_310
	s_branch .LBB96_311
.LBB96_309:
                                        ; implicit-def: $vgpr70
.LBB96_310:
	ds_read_b32 v70, v68
.LBB96_311:
	s_and_saveexec_b64 s[8:9], s[4:5]
	s_cbranch_execz .LBB96_315
; %bb.312:
	v_add_u32_e32 v71, -1, v0
	s_movk_i32 s12, 0x94
	s_mov_b64 s[4:5], 0
.LBB96_313:                             ; =>This Inner Loop Header: Depth=1
	v_mov_b32_e32 v72, s14
	buffer_load_dword v72, v72, s[0:3], 0 offen
	v_mov_b32_e32 v73, s12
	ds_read_b32 v73, v73
	v_add_u32_e32 v71, -1, v71
	s_add_i32 s12, s12, 4
	s_add_i32 s14, s14, 4
	v_cmp_eq_u32_e32 vcc, 0, v71
	s_or_b64 s[4:5], vcc, s[4:5]
	s_waitcnt vmcnt(0) lgkmcnt(0)
	v_fmac_f32_e32 v70, v72, v73
	s_andn2_b64 exec, exec, s[4:5]
	s_cbranch_execnz .LBB96_313
; %bb.314:
	s_or_b64 exec, exec, s[4:5]
.LBB96_315:
	s_or_b64 exec, exec, s[8:9]
	v_mov_b32_e32 v71, 0
	ds_read_b32 v71, v71
	s_waitcnt lgkmcnt(0)
	v_mul_f32_e32 v70, v70, v71
	buffer_store_dword v70, off, s[0:3], 0
.LBB96_316:
	s_or_b64 exec, exec, s[6:7]
	s_mov_b64 s[4:5], 0
.LBB96_317:
	s_and_b64 vcc, exec, s[4:5]
	s_cbranch_vccz .LBB96_629
; %bb.318:
	buffer_load_dword v70, off, s[0:3], 0 offset:4
	v_cmp_eq_u32_e64 s[6:7], 0, v0
	s_waitcnt vmcnt(0)
	ds_write_b32 v68, v70
	s_waitcnt lgkmcnt(0)
	; wave barrier
	s_and_saveexec_b64 s[4:5], s[6:7]
	s_cbranch_execz .LBB96_324
; %bb.319:
	s_and_b64 vcc, exec, s[10:11]
	s_cbranch_vccz .LBB96_321
; %bb.320:
	buffer_load_dword v70, v69, s[0:3], 0 offen
	ds_read_b32 v71, v68
	s_waitcnt vmcnt(0) lgkmcnt(0)
	v_mul_f32_e32 v70, v70, v71
	s_cbranch_execz .LBB96_322
	s_branch .LBB96_323
.LBB96_321:
                                        ; implicit-def: $vgpr70
.LBB96_322:
	ds_read_b32 v70, v68
.LBB96_323:
	v_mov_b32_e32 v71, 0
	ds_read_b32 v71, v71 offset:4
	s_waitcnt lgkmcnt(0)
	v_mul_f32_e32 v70, v70, v71
	buffer_store_dword v70, off, s[0:3], 0 offset:4
.LBB96_324:
	s_or_b64 exec, exec, s[4:5]
	buffer_load_dword v70, off, s[0:3], 0 offset:8
	v_cndmask_b32_e64 v71, 0, 1, s[10:11]
	v_cmp_gt_u32_e32 vcc, 2, v0
	v_cmp_ne_u32_e64 s[4:5], 1, v71
	s_waitcnt vmcnt(0)
	ds_write_b32 v68, v70
	s_waitcnt lgkmcnt(0)
	; wave barrier
	s_and_saveexec_b64 s[8:9], vcc
	s_cbranch_execz .LBB96_330
; %bb.325:
	s_and_b64 vcc, exec, s[4:5]
	s_cbranch_vccnz .LBB96_327
; %bb.326:
	buffer_load_dword v70, v69, s[0:3], 0 offen
	ds_read_b32 v71, v68
	s_waitcnt vmcnt(0) lgkmcnt(0)
	v_mul_f32_e32 v70, v70, v71
	s_cbranch_execz .LBB96_328
	s_branch .LBB96_329
.LBB96_327:
                                        ; implicit-def: $vgpr70
.LBB96_328:
	ds_read_b32 v70, v68
.LBB96_329:
	buffer_load_dword v73, off, s[0:3], 0 offset:4
	v_mov_b32_e32 v71, 0
	ds_read2_b32 v[71:72], v71 offset0:2 offset1:37
	s_waitcnt vmcnt(0) lgkmcnt(0)
	v_fma_f32 v72, v73, v72, v70
	v_cndmask_b32_e64 v70, v70, v72, s[6:7]
	v_mul_f32_e32 v70, v70, v71
	buffer_store_dword v70, off, s[0:3], 0 offset:8
.LBB96_330:
	s_or_b64 exec, exec, s[8:9]
	buffer_load_dword v70, off, s[0:3], 0 offset:12
	v_cmp_gt_u32_e32 vcc, 3, v0
	s_waitcnt vmcnt(0)
	ds_write_b32 v68, v70
	s_waitcnt lgkmcnt(0)
	; wave barrier
	s_and_saveexec_b64 s[8:9], vcc
	s_cbranch_execz .LBB96_338
; %bb.331:
	s_and_b64 vcc, exec, s[4:5]
	s_cbranch_vccnz .LBB96_333
; %bb.332:
	buffer_load_dword v70, v69, s[0:3], 0 offen
	ds_read_b32 v71, v68
	s_waitcnt vmcnt(0) lgkmcnt(0)
	v_mul_f32_e32 v70, v70, v71
	s_cbranch_execz .LBB96_334
	s_branch .LBB96_335
.LBB96_333:
                                        ; implicit-def: $vgpr70
.LBB96_334:
	ds_read_b32 v70, v68
.LBB96_335:
	v_cmp_ne_u32_e32 vcc, 2, v0
	s_and_saveexec_b64 s[10:11], vcc
	s_cbranch_execz .LBB96_337
; %bb.336:
	buffer_load_dword v71, v69, s[0:3], 0 offen offset:4
	buffer_load_dword v72, off, s[0:3], 0 offset:8
	v_mov_b32_e32 v73, 0
	ds_read_b32 v74, v68 offset:4
	ds_read_b32 v73, v73 offset:152
	s_waitcnt vmcnt(1) lgkmcnt(1)
	v_fmac_f32_e32 v70, v71, v74
	s_waitcnt vmcnt(0) lgkmcnt(0)
	v_fma_f32 v71, v72, v73, v70
	v_cndmask_b32_e64 v70, v70, v71, s[6:7]
.LBB96_337:
	s_or_b64 exec, exec, s[10:11]
	v_mov_b32_e32 v71, 0
	ds_read_b32 v71, v71 offset:12
	s_waitcnt lgkmcnt(0)
	v_mul_f32_e32 v70, v70, v71
	buffer_store_dword v70, off, s[0:3], 0 offset:12
.LBB96_338:
	s_or_b64 exec, exec, s[8:9]
	buffer_load_dword v70, off, s[0:3], 0 offset:16
	v_cmp_gt_u32_e32 vcc, 4, v0
	s_waitcnt vmcnt(0)
	ds_write_b32 v68, v70
	s_waitcnt lgkmcnt(0)
	; wave barrier
	s_and_saveexec_b64 s[6:7], vcc
	s_cbranch_execz .LBB96_348
; %bb.339:
	s_and_b64 vcc, exec, s[4:5]
	s_cbranch_vccnz .LBB96_341
; %bb.340:
	buffer_load_dword v70, v69, s[0:3], 0 offen
	ds_read_b32 v71, v68
	s_waitcnt vmcnt(0) lgkmcnt(0)
	v_mul_f32_e32 v70, v70, v71
	s_cbranch_execz .LBB96_342
	s_branch .LBB96_343
.LBB96_341:
                                        ; implicit-def: $vgpr70
.LBB96_342:
	ds_read_b32 v70, v68
.LBB96_343:
	v_cmp_ne_u32_e32 vcc, 3, v0
	s_and_saveexec_b64 s[8:9], vcc
	s_cbranch_execz .LBB96_347
; %bb.344:
	s_mov_b32 s10, 0
	v_add_u32_e32 v71, 0x94, v67
	v_add3_u32 v72, v67, s10, 4
	s_mov_b64 s[10:11], 0
	v_mov_b32_e32 v73, v0
.LBB96_345:                             ; =>This Inner Loop Header: Depth=1
	buffer_load_dword v74, v72, s[0:3], 0 offen
	ds_read_b32 v75, v71
	v_add_u32_e32 v73, 1, v73
	v_cmp_lt_u32_e32 vcc, 2, v73
	v_add_u32_e32 v71, 4, v71
	v_add_u32_e32 v72, 4, v72
	s_or_b64 s[10:11], vcc, s[10:11]
	s_waitcnt vmcnt(0) lgkmcnt(0)
	v_fmac_f32_e32 v70, v74, v75
	s_andn2_b64 exec, exec, s[10:11]
	s_cbranch_execnz .LBB96_345
; %bb.346:
	s_or_b64 exec, exec, s[10:11]
.LBB96_347:
	s_or_b64 exec, exec, s[8:9]
	v_mov_b32_e32 v71, 0
	ds_read_b32 v71, v71 offset:16
	s_waitcnt lgkmcnt(0)
	v_mul_f32_e32 v70, v70, v71
	buffer_store_dword v70, off, s[0:3], 0 offset:16
.LBB96_348:
	s_or_b64 exec, exec, s[6:7]
	buffer_load_dword v70, off, s[0:3], 0 offset:20
	v_cmp_gt_u32_e32 vcc, 5, v0
	s_waitcnt vmcnt(0)
	ds_write_b32 v68, v70
	s_waitcnt lgkmcnt(0)
	; wave barrier
	s_and_saveexec_b64 s[6:7], vcc
	s_cbranch_execz .LBB96_358
; %bb.349:
	s_and_b64 vcc, exec, s[4:5]
	s_cbranch_vccnz .LBB96_351
; %bb.350:
	buffer_load_dword v70, v69, s[0:3], 0 offen
	ds_read_b32 v71, v68
	s_waitcnt vmcnt(0) lgkmcnt(0)
	v_mul_f32_e32 v70, v70, v71
	s_cbranch_execz .LBB96_352
	s_branch .LBB96_353
.LBB96_351:
                                        ; implicit-def: $vgpr70
.LBB96_352:
	ds_read_b32 v70, v68
.LBB96_353:
	v_cmp_ne_u32_e32 vcc, 4, v0
	s_and_saveexec_b64 s[8:9], vcc
	s_cbranch_execz .LBB96_357
; %bb.354:
	s_mov_b32 s10, 0
	v_add_u32_e32 v71, 0x94, v67
	v_add3_u32 v72, v67, s10, 4
	s_mov_b64 s[10:11], 0
	v_mov_b32_e32 v73, v0
.LBB96_355:                             ; =>This Inner Loop Header: Depth=1
	buffer_load_dword v74, v72, s[0:3], 0 offen
	ds_read_b32 v75, v71
	v_add_u32_e32 v73, 1, v73
	v_cmp_lt_u32_e32 vcc, 3, v73
	v_add_u32_e32 v71, 4, v71
	v_add_u32_e32 v72, 4, v72
	s_or_b64 s[10:11], vcc, s[10:11]
	s_waitcnt vmcnt(0) lgkmcnt(0)
	v_fmac_f32_e32 v70, v74, v75
	s_andn2_b64 exec, exec, s[10:11]
	s_cbranch_execnz .LBB96_355
; %bb.356:
	s_or_b64 exec, exec, s[10:11]
.LBB96_357:
	s_or_b64 exec, exec, s[8:9]
	v_mov_b32_e32 v71, 0
	ds_read_b32 v71, v71 offset:20
	s_waitcnt lgkmcnt(0)
	v_mul_f32_e32 v70, v70, v71
	buffer_store_dword v70, off, s[0:3], 0 offset:20
.LBB96_358:
	;; [unrolled: 55-line block ×27, first 2 shown]
	s_or_b64 exec, exec, s[6:7]
	buffer_load_dword v70, off, s[0:3], 0 offset:124
	v_cmp_gt_u32_e64 s[6:7], 31, v0
	s_waitcnt vmcnt(0)
	ds_write_b32 v68, v70
	s_waitcnt lgkmcnt(0)
	; wave barrier
	s_and_saveexec_b64 s[8:9], s[6:7]
	s_cbranch_execz .LBB96_618
; %bb.609:
	s_and_b64 vcc, exec, s[4:5]
	s_cbranch_vccnz .LBB96_611
; %bb.610:
	buffer_load_dword v70, v69, s[0:3], 0 offen
	ds_read_b32 v71, v68
	s_waitcnt vmcnt(0) lgkmcnt(0)
	v_mul_f32_e32 v70, v70, v71
	s_cbranch_execz .LBB96_612
	s_branch .LBB96_613
.LBB96_611:
                                        ; implicit-def: $vgpr70
.LBB96_612:
	ds_read_b32 v70, v68
.LBB96_613:
	v_cmp_ne_u32_e32 vcc, 30, v0
	s_and_saveexec_b64 s[10:11], vcc
	s_cbranch_execz .LBB96_617
; %bb.614:
	s_mov_b32 s12, 0
	v_add_u32_e32 v71, 0x94, v67
	v_add3_u32 v72, v67, s12, 4
	s_mov_b64 s[12:13], 0
	v_mov_b32_e32 v73, v0
.LBB96_615:                             ; =>This Inner Loop Header: Depth=1
	buffer_load_dword v74, v72, s[0:3], 0 offen
	ds_read_b32 v75, v71
	v_add_u32_e32 v73, 1, v73
	v_cmp_lt_u32_e32 vcc, 29, v73
	v_add_u32_e32 v71, 4, v71
	v_add_u32_e32 v72, 4, v72
	s_or_b64 s[12:13], vcc, s[12:13]
	s_waitcnt vmcnt(0) lgkmcnt(0)
	v_fmac_f32_e32 v70, v74, v75
	s_andn2_b64 exec, exec, s[12:13]
	s_cbranch_execnz .LBB96_615
; %bb.616:
	s_or_b64 exec, exec, s[12:13]
.LBB96_617:
	s_or_b64 exec, exec, s[10:11]
	v_mov_b32_e32 v71, 0
	ds_read_b32 v71, v71 offset:124
	s_waitcnt lgkmcnt(0)
	v_mul_f32_e32 v70, v70, v71
	buffer_store_dword v70, off, s[0:3], 0 offset:124
.LBB96_618:
	s_or_b64 exec, exec, s[8:9]
	buffer_load_dword v70, off, s[0:3], 0 offset:128
	v_cmp_ne_u32_e32 vcc, 32, v0
	s_waitcnt vmcnt(0)
	ds_write_b32 v68, v70
	s_waitcnt lgkmcnt(0)
	; wave barrier
	s_and_saveexec_b64 s[8:9], vcc
	s_cbranch_execz .LBB96_628
; %bb.619:
	s_and_b64 vcc, exec, s[4:5]
	s_cbranch_vccnz .LBB96_621
; %bb.620:
	buffer_load_dword v69, v69, s[0:3], 0 offen
	ds_read_b32 v70, v68
	s_waitcnt vmcnt(0) lgkmcnt(0)
	v_mul_f32_e32 v69, v69, v70
	s_cbranch_execz .LBB96_622
	s_branch .LBB96_623
.LBB96_621:
                                        ; implicit-def: $vgpr69
.LBB96_622:
	ds_read_b32 v69, v68
.LBB96_623:
	s_and_saveexec_b64 s[4:5], s[6:7]
	s_cbranch_execz .LBB96_627
; %bb.624:
	s_mov_b32 s6, 0
	v_add_u32_e32 v68, 0x94, v67
	v_add3_u32 v67, v67, s6, 4
	s_mov_b64 s[6:7], 0
.LBB96_625:                             ; =>This Inner Loop Header: Depth=1
	buffer_load_dword v70, v67, s[0:3], 0 offen
	ds_read_b32 v71, v68
	v_add_u32_e32 v0, 1, v0
	v_cmp_lt_u32_e32 vcc, 30, v0
	v_add_u32_e32 v68, 4, v68
	v_add_u32_e32 v67, 4, v67
	s_or_b64 s[6:7], vcc, s[6:7]
	s_waitcnt vmcnt(0) lgkmcnt(0)
	v_fmac_f32_e32 v69, v70, v71
	s_andn2_b64 exec, exec, s[6:7]
	s_cbranch_execnz .LBB96_625
; %bb.626:
	s_or_b64 exec, exec, s[6:7]
.LBB96_627:
	s_or_b64 exec, exec, s[4:5]
	v_mov_b32_e32 v0, 0
	ds_read_b32 v0, v0 offset:128
	s_waitcnt lgkmcnt(0)
	v_mul_f32_e32 v0, v69, v0
	buffer_store_dword v0, off, s[0:3], 0 offset:128
.LBB96_628:
	s_or_b64 exec, exec, s[8:9]
.LBB96_629:
	buffer_load_dword v0, off, s[0:3], 0
	s_waitcnt vmcnt(0)
	flat_store_dword v[1:2], v0
	buffer_load_dword v0, off, s[0:3], 0 offset:4
	s_waitcnt vmcnt(0)
	flat_store_dword v[3:4], v0
	buffer_load_dword v0, off, s[0:3], 0 offset:8
	;; [unrolled: 3-line block ×32, first 2 shown]
	s_waitcnt vmcnt(0)
	flat_store_dword v[65:66], v0
.LBB96_630:
	s_endpgm
	.section	.rodata,"a",@progbits
	.p2align	6, 0x0
	.amdhsa_kernel _ZN9rocsolver6v33100L18trti2_kernel_smallILi33EfPKPfEEv13rocblas_fill_17rocblas_diagonal_T1_iil
		.amdhsa_group_segment_fixed_size 276
		.amdhsa_private_segment_fixed_size 144
		.amdhsa_kernarg_size 32
		.amdhsa_user_sgpr_count 6
		.amdhsa_user_sgpr_private_segment_buffer 1
		.amdhsa_user_sgpr_dispatch_ptr 0
		.amdhsa_user_sgpr_queue_ptr 0
		.amdhsa_user_sgpr_kernarg_segment_ptr 1
		.amdhsa_user_sgpr_dispatch_id 0
		.amdhsa_user_sgpr_flat_scratch_init 0
		.amdhsa_user_sgpr_private_segment_size 0
		.amdhsa_uses_dynamic_stack 0
		.amdhsa_system_sgpr_private_segment_wavefront_offset 1
		.amdhsa_system_sgpr_workgroup_id_x 1
		.amdhsa_system_sgpr_workgroup_id_y 0
		.amdhsa_system_sgpr_workgroup_id_z 0
		.amdhsa_system_sgpr_workgroup_info 0
		.amdhsa_system_vgpr_workitem_id 0
		.amdhsa_next_free_vgpr 76
		.amdhsa_next_free_sgpr 46
		.amdhsa_reserve_vcc 1
		.amdhsa_reserve_flat_scratch 0
		.amdhsa_float_round_mode_32 0
		.amdhsa_float_round_mode_16_64 0
		.amdhsa_float_denorm_mode_32 3
		.amdhsa_float_denorm_mode_16_64 3
		.amdhsa_dx10_clamp 1
		.amdhsa_ieee_mode 1
		.amdhsa_fp16_overflow 0
		.amdhsa_exception_fp_ieee_invalid_op 0
		.amdhsa_exception_fp_denorm_src 0
		.amdhsa_exception_fp_ieee_div_zero 0
		.amdhsa_exception_fp_ieee_overflow 0
		.amdhsa_exception_fp_ieee_underflow 0
		.amdhsa_exception_fp_ieee_inexact 0
		.amdhsa_exception_int_div_zero 0
	.end_amdhsa_kernel
	.section	.text._ZN9rocsolver6v33100L18trti2_kernel_smallILi33EfPKPfEEv13rocblas_fill_17rocblas_diagonal_T1_iil,"axG",@progbits,_ZN9rocsolver6v33100L18trti2_kernel_smallILi33EfPKPfEEv13rocblas_fill_17rocblas_diagonal_T1_iil,comdat
.Lfunc_end96:
	.size	_ZN9rocsolver6v33100L18trti2_kernel_smallILi33EfPKPfEEv13rocblas_fill_17rocblas_diagonal_T1_iil, .Lfunc_end96-_ZN9rocsolver6v33100L18trti2_kernel_smallILi33EfPKPfEEv13rocblas_fill_17rocblas_diagonal_T1_iil
                                        ; -- End function
	.set _ZN9rocsolver6v33100L18trti2_kernel_smallILi33EfPKPfEEv13rocblas_fill_17rocblas_diagonal_T1_iil.num_vgpr, 76
	.set _ZN9rocsolver6v33100L18trti2_kernel_smallILi33EfPKPfEEv13rocblas_fill_17rocblas_diagonal_T1_iil.num_agpr, 0
	.set _ZN9rocsolver6v33100L18trti2_kernel_smallILi33EfPKPfEEv13rocblas_fill_17rocblas_diagonal_T1_iil.numbered_sgpr, 46
	.set _ZN9rocsolver6v33100L18trti2_kernel_smallILi33EfPKPfEEv13rocblas_fill_17rocblas_diagonal_T1_iil.num_named_barrier, 0
	.set _ZN9rocsolver6v33100L18trti2_kernel_smallILi33EfPKPfEEv13rocblas_fill_17rocblas_diagonal_T1_iil.private_seg_size, 144
	.set _ZN9rocsolver6v33100L18trti2_kernel_smallILi33EfPKPfEEv13rocblas_fill_17rocblas_diagonal_T1_iil.uses_vcc, 1
	.set _ZN9rocsolver6v33100L18trti2_kernel_smallILi33EfPKPfEEv13rocblas_fill_17rocblas_diagonal_T1_iil.uses_flat_scratch, 0
	.set _ZN9rocsolver6v33100L18trti2_kernel_smallILi33EfPKPfEEv13rocblas_fill_17rocblas_diagonal_T1_iil.has_dyn_sized_stack, 0
	.set _ZN9rocsolver6v33100L18trti2_kernel_smallILi33EfPKPfEEv13rocblas_fill_17rocblas_diagonal_T1_iil.has_recursion, 0
	.set _ZN9rocsolver6v33100L18trti2_kernel_smallILi33EfPKPfEEv13rocblas_fill_17rocblas_diagonal_T1_iil.has_indirect_call, 0
	.section	.AMDGPU.csdata,"",@progbits
; Kernel info:
; codeLenInByte = 15856
; TotalNumSgprs: 50
; NumVgprs: 76
; ScratchSize: 144
; MemoryBound: 0
; FloatMode: 240
; IeeeMode: 1
; LDSByteSize: 276 bytes/workgroup (compile time only)
; SGPRBlocks: 6
; VGPRBlocks: 18
; NumSGPRsForWavesPerEU: 50
; NumVGPRsForWavesPerEU: 76
; Occupancy: 3
; WaveLimiterHint : 1
; COMPUTE_PGM_RSRC2:SCRATCH_EN: 1
; COMPUTE_PGM_RSRC2:USER_SGPR: 6
; COMPUTE_PGM_RSRC2:TRAP_HANDLER: 0
; COMPUTE_PGM_RSRC2:TGID_X_EN: 1
; COMPUTE_PGM_RSRC2:TGID_Y_EN: 0
; COMPUTE_PGM_RSRC2:TGID_Z_EN: 0
; COMPUTE_PGM_RSRC2:TIDIG_COMP_CNT: 0
	.section	.text._ZN9rocsolver6v33100L18trti2_kernel_smallILi34EfPKPfEEv13rocblas_fill_17rocblas_diagonal_T1_iil,"axG",@progbits,_ZN9rocsolver6v33100L18trti2_kernel_smallILi34EfPKPfEEv13rocblas_fill_17rocblas_diagonal_T1_iil,comdat
	.globl	_ZN9rocsolver6v33100L18trti2_kernel_smallILi34EfPKPfEEv13rocblas_fill_17rocblas_diagonal_T1_iil ; -- Begin function _ZN9rocsolver6v33100L18trti2_kernel_smallILi34EfPKPfEEv13rocblas_fill_17rocblas_diagonal_T1_iil
	.p2align	8
	.type	_ZN9rocsolver6v33100L18trti2_kernel_smallILi34EfPKPfEEv13rocblas_fill_17rocblas_diagonal_T1_iil,@function
_ZN9rocsolver6v33100L18trti2_kernel_smallILi34EfPKPfEEv13rocblas_fill_17rocblas_diagonal_T1_iil: ; @_ZN9rocsolver6v33100L18trti2_kernel_smallILi34EfPKPfEEv13rocblas_fill_17rocblas_diagonal_T1_iil
; %bb.0:
	s_add_u32 s0, s0, s7
	s_addc_u32 s1, s1, 0
	v_cmp_gt_u32_e32 vcc, 34, v0
	s_and_saveexec_b64 s[8:9], vcc
	s_cbranch_execz .LBB97_650
; %bb.1:
	s_load_dwordx2 s[12:13], s[4:5], 0x10
	s_load_dwordx4 s[8:11], s[4:5], 0x0
	s_ashr_i32 s7, s6, 31
	s_lshl_b64 s[6:7], s[6:7], 3
	v_lshlrev_b32_e32 v69, 2, v0
	s_waitcnt lgkmcnt(0)
	s_ashr_i32 s5, s12, 31
	s_add_u32 s6, s10, s6
	s_addc_u32 s7, s11, s7
	s_load_dwordx2 s[6:7], s[6:7], 0x0
	s_mov_b32 s4, s12
	s_lshl_b64 s[4:5], s[4:5], 2
	s_waitcnt lgkmcnt(0)
	s_add_u32 s4, s6, s4
	s_addc_u32 s5, s7, s5
	v_mov_b32_e32 v2, s5
	v_add_co_u32_e32 v1, vcc, s4, v69
	v_addc_co_u32_e32 v2, vcc, 0, v2, vcc
	flat_load_dword v5, v[1:2]
	s_mov_b32 s6, s13
	s_ashr_i32 s7, s13, 31
	s_lshl_b64 s[6:7], s[6:7], 2
	v_mov_b32_e32 v4, s7
	v_add_co_u32_e32 v3, vcc, s6, v1
	v_addc_co_u32_e32 v4, vcc, v2, v4, vcc
	s_add_i32 s6, s13, s13
	v_add_u32_e32 v7, s6, v0
	v_ashrrev_i32_e32 v8, 31, v7
	v_mov_b32_e32 v10, s5
	v_mov_b32_e32 v12, s5
	;; [unrolled: 1-line block ×31, first 2 shown]
	s_cmpk_lg_i32 s9, 0x84
	s_cselect_b64 s[10:11], -1, 0
	s_cmpk_eq_i32 s9, 0x84
	s_waitcnt vmcnt(0) lgkmcnt(0)
	buffer_store_dword v5, off, s[0:3], 0
	flat_load_dword v9, v[3:4]
	v_lshlrev_b64 v[5:6], 2, v[7:8]
	v_add_co_u32_e32 v5, vcc, s4, v5
	v_addc_co_u32_e32 v6, vcc, v10, v6, vcc
	s_waitcnt vmcnt(0) lgkmcnt(0)
	buffer_store_dword v9, off, s[0:3], 0 offset:4
	flat_load_dword v11, v[5:6]
	v_add_u32_e32 v9, s13, v7
	v_ashrrev_i32_e32 v10, 31, v9
	v_lshlrev_b64 v[7:8], 2, v[9:10]
	v_add_co_u32_e32 v7, vcc, s4, v7
	v_addc_co_u32_e32 v8, vcc, v12, v8, vcc
	s_waitcnt vmcnt(0) lgkmcnt(0)
	buffer_store_dword v11, off, s[0:3], 0 offset:8
	flat_load_dword v13, v[7:8]
	v_add_u32_e32 v11, s13, v9
	v_ashrrev_i32_e32 v12, 31, v11
	;; [unrolled: 8-line block ×30, first 2 shown]
	v_lshlrev_b64 v[65:66], 2, v[67:68]
	v_add_u32_e32 v67, s13, v67
	v_add_co_u32_e32 v65, vcc, s4, v65
	v_addc_co_u32_e32 v66, vcc, v71, v66, vcc
	v_ashrrev_i32_e32 v68, 31, v67
	v_lshlrev_b64 v[67:68], 2, v[67:68]
	v_add_co_u32_e32 v67, vcc, s4, v67
	v_addc_co_u32_e32 v68, vcc, v71, v68, vcc
	s_waitcnt vmcnt(0) lgkmcnt(0)
	buffer_store_dword v70, off, s[0:3], 0 offset:124
	flat_load_dword v70, v[65:66]
	s_waitcnt vmcnt(0) lgkmcnt(0)
	buffer_store_dword v70, off, s[0:3], 0 offset:128
	flat_load_dword v70, v[67:68]
	s_waitcnt vmcnt(0) lgkmcnt(0)
	buffer_store_dword v70, off, s[0:3], 0 offset:132
	v_mov_b32_e32 v70, -1.0
	s_cbranch_scc1 .LBB97_3
; %bb.2:
	v_mov_b32_e32 v70, 0
	v_lshl_add_u32 v70, v0, 2, v70
	buffer_load_dword v71, v70, s[0:3], 0 offen
	s_waitcnt vmcnt(0)
	v_div_scale_f32 v72, s[4:5], v71, v71, 1.0
	v_div_scale_f32 v73, vcc, 1.0, v71, 1.0
	v_rcp_f32_e32 v74, v72
	v_fma_f32 v75, -v72, v74, 1.0
	v_fmac_f32_e32 v74, v75, v74
	v_mul_f32_e32 v75, v73, v74
	v_fma_f32 v76, -v72, v75, v73
	v_fmac_f32_e32 v75, v76, v74
	v_fma_f32 v72, -v72, v75, v73
	v_div_fmas_f32 v72, v72, v74, v75
	v_div_fixup_f32 v71, v72, v71, 1.0
	buffer_store_dword v71, v70, s[0:3], 0 offen
	v_xor_b32_e32 v70, 0x80000000, v71
.LBB97_3:
	ds_write_b32 v69, v70
	s_cmpk_eq_i32 s8, 0x79
	v_add_u32_e32 v70, 0x90, v69
	v_mov_b32_e32 v71, v69
	s_mov_b64 s[4:5], -1
	s_cbranch_scc1 .LBB97_327
; %bb.4:
	buffer_load_dword v72, off, s[0:3], 0 offset:128
	s_movk_i32 s12, 0x44
	s_movk_i32 s13, 0x48
	;; [unrolled: 1-line block ×15, first 2 shown]
	v_cmp_eq_u32_e64 s[4:5], 33, v0
	s_waitcnt vmcnt(0)
	ds_write_b32 v70, v72
	s_waitcnt lgkmcnt(0)
	; wave barrier
	s_and_saveexec_b64 s[6:7], s[4:5]
	s_cbranch_execz .LBB97_10
; %bb.5:
	s_and_b64 vcc, exec, s[10:11]
	s_cbranch_vccz .LBB97_7
; %bb.6:
	buffer_load_dword v72, v71, s[0:3], 0 offen
	ds_read_b32 v73, v70
	s_waitcnt vmcnt(0) lgkmcnt(0)
	v_mul_f32_e32 v72, v72, v73
	s_cbranch_execz .LBB97_8
	s_branch .LBB97_9
.LBB97_7:
                                        ; implicit-def: $vgpr72
.LBB97_8:
	ds_read_b32 v72, v70
.LBB97_9:
	v_mov_b32_e32 v73, 0
	ds_read_b32 v73, v73 offset:128
	s_waitcnt lgkmcnt(0)
	v_mul_f32_e32 v72, v72, v73
	buffer_store_dword v72, off, s[0:3], 0 offset:128
.LBB97_10:
	s_or_b64 exec, exec, s[6:7]
	buffer_load_dword v72, off, s[0:3], 0 offset:124
	s_or_b32 s14, 0, 4
	s_or_b32 s15, 0, 8
	;; [unrolled: 1-line block ×3, first 2 shown]
	s_mov_b32 s17, 16
	s_mov_b32 s18, 20
	;; [unrolled: 1-line block ×15, first 2 shown]
	v_cmp_lt_u32_e64 s[6:7], 31, v0
	s_waitcnt vmcnt(0)
	ds_write_b32 v70, v72
	s_waitcnt lgkmcnt(0)
	; wave barrier
	s_and_saveexec_b64 s[8:9], s[6:7]
	s_cbranch_execz .LBB97_16
; %bb.11:
	s_andn2_b64 vcc, exec, s[10:11]
	s_cbranch_vccnz .LBB97_13
; %bb.12:
	buffer_load_dword v72, v71, s[0:3], 0 offen
	ds_read_b32 v73, v70
	s_waitcnt vmcnt(0) lgkmcnt(0)
	v_mul_f32_e32 v72, v72, v73
	s_cbranch_execz .LBB97_14
	s_branch .LBB97_15
.LBB97_13:
                                        ; implicit-def: $vgpr72
.LBB97_14:
	ds_read_b32 v72, v70
.LBB97_15:
	buffer_load_dword v75, off, s[0:3], 0 offset:128
	v_mov_b32_e32 v73, 0
	ds_read2_b32 v[73:74], v73 offset0:31 offset1:68
	s_waitcnt vmcnt(0) lgkmcnt(0)
	v_fma_f32 v74, v75, v74, v72
	v_cndmask_b32_e64 v72, v72, v74, s[4:5]
	v_mul_f32_e32 v72, v72, v73
	buffer_store_dword v72, off, s[0:3], 0 offset:124
.LBB97_16:
	s_or_b64 exec, exec, s[8:9]
	buffer_load_dword v72, off, s[0:3], 0 offset:120
	v_cmp_lt_u32_e64 s[4:5], 30, v0
	s_waitcnt vmcnt(0)
	ds_write_b32 v70, v72
	s_waitcnt lgkmcnt(0)
	; wave barrier
	s_and_saveexec_b64 s[8:9], s[4:5]
	s_cbranch_execz .LBB97_26
; %bb.17:
	s_andn2_b64 vcc, exec, s[10:11]
	s_cbranch_vccnz .LBB97_19
; %bb.18:
	buffer_load_dword v72, v71, s[0:3], 0 offen
	ds_read_b32 v73, v70
	s_waitcnt vmcnt(0) lgkmcnt(0)
	v_mul_f32_e32 v72, v72, v73
	s_cbranch_execz .LBB97_20
	s_branch .LBB97_21
.LBB97_19:
                                        ; implicit-def: $vgpr72
.LBB97_20:
	ds_read_b32 v72, v70
.LBB97_21:
	s_and_saveexec_b64 s[12:13], s[6:7]
	s_cbranch_execz .LBB97_25
; %bb.22:
	v_subrev_u32_e32 v73, 31, v0
	s_movk_i32 s46, 0x10c
	s_mov_b64 s[6:7], 0
.LBB97_23:                              ; =>This Inner Loop Header: Depth=1
	v_mov_b32_e32 v74, s45
	buffer_load_dword v74, v74, s[0:3], 0 offen
	v_mov_b32_e32 v75, s46
	ds_read_b32 v75, v75
	v_add_u32_e32 v73, -1, v73
	s_add_i32 s46, s46, 4
	s_add_i32 s45, s45, 4
	v_cmp_eq_u32_e32 vcc, 0, v73
	s_or_b64 s[6:7], vcc, s[6:7]
	s_waitcnt vmcnt(0) lgkmcnt(0)
	v_fmac_f32_e32 v72, v74, v75
	s_andn2_b64 exec, exec, s[6:7]
	s_cbranch_execnz .LBB97_23
; %bb.24:
	s_or_b64 exec, exec, s[6:7]
.LBB97_25:
	s_or_b64 exec, exec, s[12:13]
	v_mov_b32_e32 v73, 0
	ds_read_b32 v73, v73 offset:120
	s_waitcnt lgkmcnt(0)
	v_mul_f32_e32 v72, v72, v73
	buffer_store_dword v72, off, s[0:3], 0 offset:120
.LBB97_26:
	s_or_b64 exec, exec, s[8:9]
	buffer_load_dword v72, off, s[0:3], 0 offset:116
	v_cmp_lt_u32_e64 s[6:7], 29, v0
	s_waitcnt vmcnt(0)
	ds_write_b32 v70, v72
	s_waitcnt lgkmcnt(0)
	; wave barrier
	s_and_saveexec_b64 s[8:9], s[6:7]
	s_cbranch_execz .LBB97_36
; %bb.27:
	s_andn2_b64 vcc, exec, s[10:11]
	s_cbranch_vccnz .LBB97_29
; %bb.28:
	buffer_load_dword v72, v71, s[0:3], 0 offen
	ds_read_b32 v73, v70
	s_waitcnt vmcnt(0) lgkmcnt(0)
	v_mul_f32_e32 v72, v72, v73
	s_cbranch_execz .LBB97_30
	s_branch .LBB97_31
.LBB97_29:
                                        ; implicit-def: $vgpr72
.LBB97_30:
	ds_read_b32 v72, v70
.LBB97_31:
	s_and_saveexec_b64 s[12:13], s[4:5]
	s_cbranch_execz .LBB97_35
; %bb.32:
	v_subrev_u32_e32 v73, 30, v0
	s_movk_i32 s45, 0x108
	s_mov_b64 s[4:5], 0
.LBB97_33:                              ; =>This Inner Loop Header: Depth=1
	v_mov_b32_e32 v74, s44
	buffer_load_dword v74, v74, s[0:3], 0 offen
	v_mov_b32_e32 v75, s45
	ds_read_b32 v75, v75
	v_add_u32_e32 v73, -1, v73
	s_add_i32 s45, s45, 4
	s_add_i32 s44, s44, 4
	v_cmp_eq_u32_e32 vcc, 0, v73
	s_or_b64 s[4:5], vcc, s[4:5]
	s_waitcnt vmcnt(0) lgkmcnt(0)
	v_fmac_f32_e32 v72, v74, v75
	s_andn2_b64 exec, exec, s[4:5]
	s_cbranch_execnz .LBB97_33
; %bb.34:
	s_or_b64 exec, exec, s[4:5]
.LBB97_35:
	s_or_b64 exec, exec, s[12:13]
	v_mov_b32_e32 v73, 0
	ds_read_b32 v73, v73 offset:116
	s_waitcnt lgkmcnt(0)
	v_mul_f32_e32 v72, v72, v73
	buffer_store_dword v72, off, s[0:3], 0 offset:116
.LBB97_36:
	;; [unrolled: 54-line block ×8, first 2 shown]
	s_or_b64 exec, exec, s[8:9]
	buffer_load_dword v72, off, s[0:3], 0 offset:88
	v_cmp_lt_u32_e64 s[4:5], 22, v0
	s_waitcnt vmcnt(0)
	ds_write_b32 v70, v72
	s_waitcnt lgkmcnt(0)
	; wave barrier
	s_and_saveexec_b64 s[8:9], s[4:5]
	s_cbranch_execz .LBB97_106
; %bb.97:
	s_andn2_b64 vcc, exec, s[10:11]
	s_cbranch_vccnz .LBB97_99
; %bb.98:
	buffer_load_dword v72, v71, s[0:3], 0 offen
	ds_read_b32 v73, v70
	s_waitcnt vmcnt(0) lgkmcnt(0)
	v_mul_f32_e32 v72, v72, v73
	s_cbranch_execz .LBB97_100
	s_branch .LBB97_101
.LBB97_99:
                                        ; implicit-def: $vgpr72
.LBB97_100:
	ds_read_b32 v72, v70
.LBB97_101:
	s_and_saveexec_b64 s[12:13], s[6:7]
	s_cbranch_execz .LBB97_105
; %bb.102:
	v_subrev_u32_e32 v73, 23, v0
	s_movk_i32 s38, 0xec
	s_mov_b64 s[6:7], 0
.LBB97_103:                             ; =>This Inner Loop Header: Depth=1
	v_mov_b32_e32 v74, s37
	buffer_load_dword v74, v74, s[0:3], 0 offen
	v_mov_b32_e32 v75, s38
	ds_read_b32 v75, v75
	v_add_u32_e32 v73, -1, v73
	s_add_i32 s38, s38, 4
	s_add_i32 s37, s37, 4
	v_cmp_eq_u32_e32 vcc, 0, v73
	s_or_b64 s[6:7], vcc, s[6:7]
	s_waitcnt vmcnt(0) lgkmcnt(0)
	v_fmac_f32_e32 v72, v74, v75
	s_andn2_b64 exec, exec, s[6:7]
	s_cbranch_execnz .LBB97_103
; %bb.104:
	s_or_b64 exec, exec, s[6:7]
.LBB97_105:
	s_or_b64 exec, exec, s[12:13]
	v_mov_b32_e32 v73, 0
	ds_read_b32 v73, v73 offset:88
	s_waitcnt lgkmcnt(0)
	v_mul_f32_e32 v72, v72, v73
	buffer_store_dword v72, off, s[0:3], 0 offset:88
.LBB97_106:
	s_or_b64 exec, exec, s[8:9]
	buffer_load_dword v72, off, s[0:3], 0 offset:84
	v_cmp_lt_u32_e64 s[6:7], 21, v0
	s_waitcnt vmcnt(0)
	ds_write_b32 v70, v72
	s_waitcnt lgkmcnt(0)
	; wave barrier
	s_and_saveexec_b64 s[8:9], s[6:7]
	s_cbranch_execz .LBB97_116
; %bb.107:
	s_andn2_b64 vcc, exec, s[10:11]
	s_cbranch_vccnz .LBB97_109
; %bb.108:
	buffer_load_dword v72, v71, s[0:3], 0 offen
	ds_read_b32 v73, v70
	s_waitcnt vmcnt(0) lgkmcnt(0)
	v_mul_f32_e32 v72, v72, v73
	s_cbranch_execz .LBB97_110
	s_branch .LBB97_111
.LBB97_109:
                                        ; implicit-def: $vgpr72
.LBB97_110:
	ds_read_b32 v72, v70
.LBB97_111:
	s_and_saveexec_b64 s[12:13], s[4:5]
	s_cbranch_execz .LBB97_115
; %bb.112:
	v_subrev_u32_e32 v73, 22, v0
	s_movk_i32 s37, 0xe8
	s_mov_b64 s[4:5], 0
.LBB97_113:                             ; =>This Inner Loop Header: Depth=1
	v_mov_b32_e32 v74, s36
	buffer_load_dword v74, v74, s[0:3], 0 offen
	v_mov_b32_e32 v75, s37
	ds_read_b32 v75, v75
	v_add_u32_e32 v73, -1, v73
	s_add_i32 s37, s37, 4
	s_add_i32 s36, s36, 4
	v_cmp_eq_u32_e32 vcc, 0, v73
	s_or_b64 s[4:5], vcc, s[4:5]
	s_waitcnt vmcnt(0) lgkmcnt(0)
	v_fmac_f32_e32 v72, v74, v75
	s_andn2_b64 exec, exec, s[4:5]
	s_cbranch_execnz .LBB97_113
; %bb.114:
	s_or_b64 exec, exec, s[4:5]
.LBB97_115:
	s_or_b64 exec, exec, s[12:13]
	v_mov_b32_e32 v73, 0
	ds_read_b32 v73, v73 offset:84
	s_waitcnt lgkmcnt(0)
	v_mul_f32_e32 v72, v72, v73
	buffer_store_dword v72, off, s[0:3], 0 offset:84
.LBB97_116:
	s_or_b64 exec, exec, s[8:9]
	buffer_load_dword v72, off, s[0:3], 0 offset:80
	v_cmp_lt_u32_e64 s[4:5], 20, v0
	s_waitcnt vmcnt(0)
	ds_write_b32 v70, v72
	s_waitcnt lgkmcnt(0)
	; wave barrier
	s_and_saveexec_b64 s[8:9], s[4:5]
	s_cbranch_execz .LBB97_126
; %bb.117:
	s_andn2_b64 vcc, exec, s[10:11]
	s_cbranch_vccnz .LBB97_119
; %bb.118:
	buffer_load_dword v72, v71, s[0:3], 0 offen
	ds_read_b32 v73, v70
	s_waitcnt vmcnt(0) lgkmcnt(0)
	v_mul_f32_e32 v72, v72, v73
	s_cbranch_execz .LBB97_120
	s_branch .LBB97_121
.LBB97_119:
                                        ; implicit-def: $vgpr72
.LBB97_120:
	ds_read_b32 v72, v70
.LBB97_121:
	s_and_saveexec_b64 s[12:13], s[6:7]
	s_cbranch_execz .LBB97_125
; %bb.122:
	v_subrev_u32_e32 v73, 21, v0
	s_movk_i32 s36, 0xe4
	s_mov_b64 s[6:7], 0
.LBB97_123:                             ; =>This Inner Loop Header: Depth=1
	v_mov_b32_e32 v74, s35
	buffer_load_dword v74, v74, s[0:3], 0 offen
	v_mov_b32_e32 v75, s36
	ds_read_b32 v75, v75
	v_add_u32_e32 v73, -1, v73
	s_add_i32 s36, s36, 4
	s_add_i32 s35, s35, 4
	v_cmp_eq_u32_e32 vcc, 0, v73
	s_or_b64 s[6:7], vcc, s[6:7]
	s_waitcnt vmcnt(0) lgkmcnt(0)
	v_fmac_f32_e32 v72, v74, v75
	s_andn2_b64 exec, exec, s[6:7]
	s_cbranch_execnz .LBB97_123
; %bb.124:
	s_or_b64 exec, exec, s[6:7]
.LBB97_125:
	s_or_b64 exec, exec, s[12:13]
	v_mov_b32_e32 v73, 0
	ds_read_b32 v73, v73 offset:80
	s_waitcnt lgkmcnt(0)
	v_mul_f32_e32 v72, v72, v73
	buffer_store_dword v72, off, s[0:3], 0 offset:80
.LBB97_126:
	s_or_b64 exec, exec, s[8:9]
	buffer_load_dword v72, off, s[0:3], 0 offset:76
	v_cmp_lt_u32_e64 s[6:7], 19, v0
	s_waitcnt vmcnt(0)
	ds_write_b32 v70, v72
	s_waitcnt lgkmcnt(0)
	; wave barrier
	s_and_saveexec_b64 s[8:9], s[6:7]
	s_cbranch_execz .LBB97_136
; %bb.127:
	s_andn2_b64 vcc, exec, s[10:11]
	s_cbranch_vccnz .LBB97_129
; %bb.128:
	buffer_load_dword v72, v71, s[0:3], 0 offen
	ds_read_b32 v73, v70
	s_waitcnt vmcnt(0) lgkmcnt(0)
	v_mul_f32_e32 v72, v72, v73
	s_cbranch_execz .LBB97_130
	s_branch .LBB97_131
.LBB97_129:
                                        ; implicit-def: $vgpr72
.LBB97_130:
	ds_read_b32 v72, v70
.LBB97_131:
	s_and_saveexec_b64 s[12:13], s[4:5]
	s_cbranch_execz .LBB97_135
; %bb.132:
	v_subrev_u32_e32 v73, 20, v0
	s_movk_i32 s35, 0xe0
	s_mov_b64 s[4:5], 0
.LBB97_133:                             ; =>This Inner Loop Header: Depth=1
	v_mov_b32_e32 v74, s34
	buffer_load_dword v74, v74, s[0:3], 0 offen
	v_mov_b32_e32 v75, s35
	ds_read_b32 v75, v75
	v_add_u32_e32 v73, -1, v73
	s_add_i32 s35, s35, 4
	s_add_i32 s34, s34, 4
	v_cmp_eq_u32_e32 vcc, 0, v73
	s_or_b64 s[4:5], vcc, s[4:5]
	s_waitcnt vmcnt(0) lgkmcnt(0)
	v_fmac_f32_e32 v72, v74, v75
	s_andn2_b64 exec, exec, s[4:5]
	s_cbranch_execnz .LBB97_133
; %bb.134:
	s_or_b64 exec, exec, s[4:5]
.LBB97_135:
	s_or_b64 exec, exec, s[12:13]
	v_mov_b32_e32 v73, 0
	ds_read_b32 v73, v73 offset:76
	s_waitcnt lgkmcnt(0)
	v_mul_f32_e32 v72, v72, v73
	buffer_store_dword v72, off, s[0:3], 0 offset:76
.LBB97_136:
	s_or_b64 exec, exec, s[8:9]
	buffer_load_dword v72, off, s[0:3], 0 offset:72
	v_cmp_lt_u32_e64 s[4:5], 18, v0
	s_waitcnt vmcnt(0)
	ds_write_b32 v70, v72
	s_waitcnt lgkmcnt(0)
	; wave barrier
	s_and_saveexec_b64 s[8:9], s[4:5]
	s_cbranch_execz .LBB97_146
; %bb.137:
	s_andn2_b64 vcc, exec, s[10:11]
	s_cbranch_vccnz .LBB97_139
; %bb.138:
	buffer_load_dword v72, v71, s[0:3], 0 offen
	ds_read_b32 v73, v70
	s_waitcnt vmcnt(0) lgkmcnt(0)
	v_mul_f32_e32 v72, v72, v73
	s_cbranch_execz .LBB97_140
	s_branch .LBB97_141
.LBB97_139:
                                        ; implicit-def: $vgpr72
.LBB97_140:
	ds_read_b32 v72, v70
.LBB97_141:
	s_and_saveexec_b64 s[12:13], s[6:7]
	s_cbranch_execz .LBB97_145
; %bb.142:
	v_subrev_u32_e32 v73, 19, v0
	s_movk_i32 s34, 0xdc
	s_mov_b64 s[6:7], 0
.LBB97_143:                             ; =>This Inner Loop Header: Depth=1
	v_mov_b32_e32 v74, s33
	buffer_load_dword v74, v74, s[0:3], 0 offen
	v_mov_b32_e32 v75, s34
	ds_read_b32 v75, v75
	v_add_u32_e32 v73, -1, v73
	s_add_i32 s34, s34, 4
	s_add_i32 s33, s33, 4
	v_cmp_eq_u32_e32 vcc, 0, v73
	s_or_b64 s[6:7], vcc, s[6:7]
	s_waitcnt vmcnt(0) lgkmcnt(0)
	v_fmac_f32_e32 v72, v74, v75
	s_andn2_b64 exec, exec, s[6:7]
	s_cbranch_execnz .LBB97_143
; %bb.144:
	s_or_b64 exec, exec, s[6:7]
.LBB97_145:
	s_or_b64 exec, exec, s[12:13]
	v_mov_b32_e32 v73, 0
	ds_read_b32 v73, v73 offset:72
	s_waitcnt lgkmcnt(0)
	v_mul_f32_e32 v72, v72, v73
	buffer_store_dword v72, off, s[0:3], 0 offset:72
.LBB97_146:
	s_or_b64 exec, exec, s[8:9]
	buffer_load_dword v72, off, s[0:3], 0 offset:68
	v_cmp_lt_u32_e64 s[6:7], 17, v0
	s_waitcnt vmcnt(0)
	ds_write_b32 v70, v72
	s_waitcnt lgkmcnt(0)
	; wave barrier
	s_and_saveexec_b64 s[8:9], s[6:7]
	s_cbranch_execz .LBB97_156
; %bb.147:
	s_andn2_b64 vcc, exec, s[10:11]
	s_cbranch_vccnz .LBB97_149
; %bb.148:
	buffer_load_dword v72, v71, s[0:3], 0 offen
	ds_read_b32 v73, v70
	s_waitcnt vmcnt(0) lgkmcnt(0)
	v_mul_f32_e32 v72, v72, v73
	s_cbranch_execz .LBB97_150
	s_branch .LBB97_151
.LBB97_149:
                                        ; implicit-def: $vgpr72
.LBB97_150:
	ds_read_b32 v72, v70
.LBB97_151:
	s_and_saveexec_b64 s[12:13], s[4:5]
	s_cbranch_execz .LBB97_155
; %bb.152:
	v_subrev_u32_e32 v73, 18, v0
	s_movk_i32 s33, 0xd8
	s_mov_b64 s[4:5], 0
.LBB97_153:                             ; =>This Inner Loop Header: Depth=1
	v_mov_b32_e32 v74, s31
	buffer_load_dword v74, v74, s[0:3], 0 offen
	v_mov_b32_e32 v75, s33
	ds_read_b32 v75, v75
	v_add_u32_e32 v73, -1, v73
	s_add_i32 s33, s33, 4
	s_add_i32 s31, s31, 4
	v_cmp_eq_u32_e32 vcc, 0, v73
	s_or_b64 s[4:5], vcc, s[4:5]
	s_waitcnt vmcnt(0) lgkmcnt(0)
	v_fmac_f32_e32 v72, v74, v75
	s_andn2_b64 exec, exec, s[4:5]
	s_cbranch_execnz .LBB97_153
; %bb.154:
	s_or_b64 exec, exec, s[4:5]
.LBB97_155:
	s_or_b64 exec, exec, s[12:13]
	v_mov_b32_e32 v73, 0
	ds_read_b32 v73, v73 offset:68
	s_waitcnt lgkmcnt(0)
	v_mul_f32_e32 v72, v72, v73
	buffer_store_dword v72, off, s[0:3], 0 offset:68
.LBB97_156:
	s_or_b64 exec, exec, s[8:9]
	buffer_load_dword v72, off, s[0:3], 0 offset:64
	v_cmp_lt_u32_e64 s[4:5], 16, v0
	s_waitcnt vmcnt(0)
	ds_write_b32 v70, v72
	s_waitcnt lgkmcnt(0)
	; wave barrier
	s_and_saveexec_b64 s[8:9], s[4:5]
	s_cbranch_execz .LBB97_166
; %bb.157:
	s_andn2_b64 vcc, exec, s[10:11]
	s_cbranch_vccnz .LBB97_159
; %bb.158:
	buffer_load_dword v72, v71, s[0:3], 0 offen
	ds_read_b32 v73, v70
	s_waitcnt vmcnt(0) lgkmcnt(0)
	v_mul_f32_e32 v72, v72, v73
	s_cbranch_execz .LBB97_160
	s_branch .LBB97_161
.LBB97_159:
                                        ; implicit-def: $vgpr72
.LBB97_160:
	ds_read_b32 v72, v70
.LBB97_161:
	s_and_saveexec_b64 s[12:13], s[6:7]
	s_cbranch_execz .LBB97_165
; %bb.162:
	v_subrev_u32_e32 v73, 17, v0
	s_movk_i32 s31, 0xd4
	s_mov_b64 s[6:7], 0
.LBB97_163:                             ; =>This Inner Loop Header: Depth=1
	v_mov_b32_e32 v74, s30
	buffer_load_dword v74, v74, s[0:3], 0 offen
	v_mov_b32_e32 v75, s31
	ds_read_b32 v75, v75
	v_add_u32_e32 v73, -1, v73
	s_add_i32 s31, s31, 4
	s_add_i32 s30, s30, 4
	v_cmp_eq_u32_e32 vcc, 0, v73
	s_or_b64 s[6:7], vcc, s[6:7]
	s_waitcnt vmcnt(0) lgkmcnt(0)
	v_fmac_f32_e32 v72, v74, v75
	s_andn2_b64 exec, exec, s[6:7]
	s_cbranch_execnz .LBB97_163
; %bb.164:
	s_or_b64 exec, exec, s[6:7]
.LBB97_165:
	s_or_b64 exec, exec, s[12:13]
	v_mov_b32_e32 v73, 0
	ds_read_b32 v73, v73 offset:64
	s_waitcnt lgkmcnt(0)
	v_mul_f32_e32 v72, v72, v73
	buffer_store_dword v72, off, s[0:3], 0 offset:64
.LBB97_166:
	s_or_b64 exec, exec, s[8:9]
	buffer_load_dword v72, off, s[0:3], 0 offset:60
	v_cmp_lt_u32_e64 s[6:7], 15, v0
	s_waitcnt vmcnt(0)
	ds_write_b32 v70, v72
	s_waitcnt lgkmcnt(0)
	; wave barrier
	s_and_saveexec_b64 s[8:9], s[6:7]
	s_cbranch_execz .LBB97_176
; %bb.167:
	s_andn2_b64 vcc, exec, s[10:11]
	s_cbranch_vccnz .LBB97_169
; %bb.168:
	buffer_load_dword v72, v71, s[0:3], 0 offen
	ds_read_b32 v73, v70
	s_waitcnt vmcnt(0) lgkmcnt(0)
	v_mul_f32_e32 v72, v72, v73
	s_cbranch_execz .LBB97_170
	s_branch .LBB97_171
.LBB97_169:
                                        ; implicit-def: $vgpr72
.LBB97_170:
	ds_read_b32 v72, v70
.LBB97_171:
	s_and_saveexec_b64 s[12:13], s[4:5]
	s_cbranch_execz .LBB97_175
; %bb.172:
	v_add_u32_e32 v73, -16, v0
	s_movk_i32 s30, 0xd0
	s_mov_b64 s[4:5], 0
.LBB97_173:                             ; =>This Inner Loop Header: Depth=1
	v_mov_b32_e32 v74, s29
	buffer_load_dword v74, v74, s[0:3], 0 offen
	v_mov_b32_e32 v75, s30
	ds_read_b32 v75, v75
	v_add_u32_e32 v73, -1, v73
	s_add_i32 s30, s30, 4
	s_add_i32 s29, s29, 4
	v_cmp_eq_u32_e32 vcc, 0, v73
	s_or_b64 s[4:5], vcc, s[4:5]
	s_waitcnt vmcnt(0) lgkmcnt(0)
	v_fmac_f32_e32 v72, v74, v75
	s_andn2_b64 exec, exec, s[4:5]
	s_cbranch_execnz .LBB97_173
; %bb.174:
	s_or_b64 exec, exec, s[4:5]
.LBB97_175:
	s_or_b64 exec, exec, s[12:13]
	v_mov_b32_e32 v73, 0
	ds_read_b32 v73, v73 offset:60
	s_waitcnt lgkmcnt(0)
	v_mul_f32_e32 v72, v72, v73
	buffer_store_dword v72, off, s[0:3], 0 offset:60
.LBB97_176:
	s_or_b64 exec, exec, s[8:9]
	buffer_load_dword v72, off, s[0:3], 0 offset:56
	v_cmp_lt_u32_e64 s[4:5], 14, v0
	s_waitcnt vmcnt(0)
	ds_write_b32 v70, v72
	s_waitcnt lgkmcnt(0)
	; wave barrier
	s_and_saveexec_b64 s[8:9], s[4:5]
	s_cbranch_execz .LBB97_186
; %bb.177:
	s_andn2_b64 vcc, exec, s[10:11]
	s_cbranch_vccnz .LBB97_179
; %bb.178:
	buffer_load_dword v72, v71, s[0:3], 0 offen
	ds_read_b32 v73, v70
	s_waitcnt vmcnt(0) lgkmcnt(0)
	v_mul_f32_e32 v72, v72, v73
	s_cbranch_execz .LBB97_180
	s_branch .LBB97_181
.LBB97_179:
                                        ; implicit-def: $vgpr72
.LBB97_180:
	ds_read_b32 v72, v70
.LBB97_181:
	s_and_saveexec_b64 s[12:13], s[6:7]
	s_cbranch_execz .LBB97_185
; %bb.182:
	v_add_u32_e32 v73, -15, v0
	s_movk_i32 s29, 0xcc
	s_mov_b64 s[6:7], 0
.LBB97_183:                             ; =>This Inner Loop Header: Depth=1
	v_mov_b32_e32 v74, s28
	buffer_load_dword v74, v74, s[0:3], 0 offen
	v_mov_b32_e32 v75, s29
	ds_read_b32 v75, v75
	v_add_u32_e32 v73, -1, v73
	s_add_i32 s29, s29, 4
	s_add_i32 s28, s28, 4
	v_cmp_eq_u32_e32 vcc, 0, v73
	s_or_b64 s[6:7], vcc, s[6:7]
	s_waitcnt vmcnt(0) lgkmcnt(0)
	v_fmac_f32_e32 v72, v74, v75
	s_andn2_b64 exec, exec, s[6:7]
	s_cbranch_execnz .LBB97_183
; %bb.184:
	s_or_b64 exec, exec, s[6:7]
.LBB97_185:
	s_or_b64 exec, exec, s[12:13]
	v_mov_b32_e32 v73, 0
	ds_read_b32 v73, v73 offset:56
	s_waitcnt lgkmcnt(0)
	v_mul_f32_e32 v72, v72, v73
	buffer_store_dword v72, off, s[0:3], 0 offset:56
.LBB97_186:
	;; [unrolled: 54-line block ×15, first 2 shown]
	s_or_b64 exec, exec, s[8:9]
	buffer_load_dword v72, off, s[0:3], 0
	v_cmp_ne_u32_e32 vcc, 0, v0
	s_waitcnt vmcnt(0)
	ds_write_b32 v70, v72
	s_waitcnt lgkmcnt(0)
	; wave barrier
	s_and_saveexec_b64 s[4:5], vcc
	s_cbranch_execz .LBB97_326
; %bb.317:
	s_andn2_b64 vcc, exec, s[10:11]
	s_cbranch_vccnz .LBB97_319
; %bb.318:
	buffer_load_dword v72, v71, s[0:3], 0 offen
	ds_read_b32 v73, v70
	s_waitcnt vmcnt(0) lgkmcnt(0)
	v_mul_f32_e32 v72, v72, v73
	s_cbranch_execz .LBB97_320
	s_branch .LBB97_321
.LBB97_319:
                                        ; implicit-def: $vgpr72
.LBB97_320:
	ds_read_b32 v72, v70
.LBB97_321:
	s_and_saveexec_b64 s[8:9], s[6:7]
	s_cbranch_execz .LBB97_325
; %bb.322:
	v_add_u32_e32 v73, -1, v0
	s_movk_i32 s12, 0x94
	s_mov_b64 s[6:7], 0
.LBB97_323:                             ; =>This Inner Loop Header: Depth=1
	v_mov_b32_e32 v74, s14
	buffer_load_dword v74, v74, s[0:3], 0 offen
	v_mov_b32_e32 v75, s12
	ds_read_b32 v75, v75
	v_add_u32_e32 v73, -1, v73
	s_add_i32 s12, s12, 4
	s_add_i32 s14, s14, 4
	v_cmp_eq_u32_e32 vcc, 0, v73
	s_or_b64 s[6:7], vcc, s[6:7]
	s_waitcnt vmcnt(0) lgkmcnt(0)
	v_fmac_f32_e32 v72, v74, v75
	s_andn2_b64 exec, exec, s[6:7]
	s_cbranch_execnz .LBB97_323
; %bb.324:
	s_or_b64 exec, exec, s[6:7]
.LBB97_325:
	s_or_b64 exec, exec, s[8:9]
	v_mov_b32_e32 v73, 0
	ds_read_b32 v73, v73
	s_waitcnt lgkmcnt(0)
	v_mul_f32_e32 v72, v72, v73
	buffer_store_dword v72, off, s[0:3], 0
.LBB97_326:
	s_or_b64 exec, exec, s[4:5]
	s_mov_b64 s[4:5], 0
.LBB97_327:
	s_and_b64 vcc, exec, s[4:5]
	s_cbranch_vccz .LBB97_649
; %bb.328:
	buffer_load_dword v72, off, s[0:3], 0 offset:4
	v_cmp_eq_u32_e64 s[6:7], 0, v0
	s_waitcnt vmcnt(0)
	ds_write_b32 v70, v72
	s_waitcnt lgkmcnt(0)
	; wave barrier
	s_and_saveexec_b64 s[4:5], s[6:7]
	s_cbranch_execz .LBB97_334
; %bb.329:
	s_and_b64 vcc, exec, s[10:11]
	s_cbranch_vccz .LBB97_331
; %bb.330:
	buffer_load_dword v72, v71, s[0:3], 0 offen
	ds_read_b32 v73, v70
	s_waitcnt vmcnt(0) lgkmcnt(0)
	v_mul_f32_e32 v72, v72, v73
	s_cbranch_execz .LBB97_332
	s_branch .LBB97_333
.LBB97_331:
                                        ; implicit-def: $vgpr72
.LBB97_332:
	ds_read_b32 v72, v70
.LBB97_333:
	v_mov_b32_e32 v73, 0
	ds_read_b32 v73, v73 offset:4
	s_waitcnt lgkmcnt(0)
	v_mul_f32_e32 v72, v72, v73
	buffer_store_dword v72, off, s[0:3], 0 offset:4
.LBB97_334:
	s_or_b64 exec, exec, s[4:5]
	buffer_load_dword v72, off, s[0:3], 0 offset:8
	v_cndmask_b32_e64 v73, 0, 1, s[10:11]
	v_cmp_gt_u32_e32 vcc, 2, v0
	v_cmp_ne_u32_e64 s[4:5], 1, v73
	s_waitcnt vmcnt(0)
	ds_write_b32 v70, v72
	s_waitcnt lgkmcnt(0)
	; wave barrier
	s_and_saveexec_b64 s[8:9], vcc
	s_cbranch_execz .LBB97_340
; %bb.335:
	s_and_b64 vcc, exec, s[4:5]
	s_cbranch_vccnz .LBB97_337
; %bb.336:
	buffer_load_dword v72, v71, s[0:3], 0 offen
	ds_read_b32 v73, v70
	s_waitcnt vmcnt(0) lgkmcnt(0)
	v_mul_f32_e32 v72, v72, v73
	s_cbranch_execz .LBB97_338
	s_branch .LBB97_339
.LBB97_337:
                                        ; implicit-def: $vgpr72
.LBB97_338:
	ds_read_b32 v72, v70
.LBB97_339:
	buffer_load_dword v75, off, s[0:3], 0 offset:4
	v_mov_b32_e32 v73, 0
	ds_read2_b32 v[73:74], v73 offset0:2 offset1:37
	s_waitcnt vmcnt(0) lgkmcnt(0)
	v_fma_f32 v74, v75, v74, v72
	v_cndmask_b32_e64 v72, v72, v74, s[6:7]
	v_mul_f32_e32 v72, v72, v73
	buffer_store_dword v72, off, s[0:3], 0 offset:8
.LBB97_340:
	s_or_b64 exec, exec, s[8:9]
	buffer_load_dword v72, off, s[0:3], 0 offset:12
	v_cmp_gt_u32_e32 vcc, 3, v0
	s_waitcnt vmcnt(0)
	ds_write_b32 v70, v72
	s_waitcnt lgkmcnt(0)
	; wave barrier
	s_and_saveexec_b64 s[8:9], vcc
	s_cbranch_execz .LBB97_348
; %bb.341:
	s_and_b64 vcc, exec, s[4:5]
	s_cbranch_vccnz .LBB97_343
; %bb.342:
	buffer_load_dword v72, v71, s[0:3], 0 offen
	ds_read_b32 v73, v70
	s_waitcnt vmcnt(0) lgkmcnt(0)
	v_mul_f32_e32 v72, v72, v73
	s_cbranch_execz .LBB97_344
	s_branch .LBB97_345
.LBB97_343:
                                        ; implicit-def: $vgpr72
.LBB97_344:
	ds_read_b32 v72, v70
.LBB97_345:
	v_cmp_ne_u32_e32 vcc, 2, v0
	s_and_saveexec_b64 s[10:11], vcc
	s_cbranch_execz .LBB97_347
; %bb.346:
	buffer_load_dword v73, v71, s[0:3], 0 offen offset:4
	buffer_load_dword v74, off, s[0:3], 0 offset:8
	v_mov_b32_e32 v75, 0
	ds_read_b32 v76, v70 offset:4
	ds_read_b32 v75, v75 offset:152
	s_waitcnt vmcnt(1) lgkmcnt(1)
	v_fmac_f32_e32 v72, v73, v76
	s_waitcnt vmcnt(0) lgkmcnt(0)
	v_fma_f32 v73, v74, v75, v72
	v_cndmask_b32_e64 v72, v72, v73, s[6:7]
.LBB97_347:
	s_or_b64 exec, exec, s[10:11]
	v_mov_b32_e32 v73, 0
	ds_read_b32 v73, v73 offset:12
	s_waitcnt lgkmcnt(0)
	v_mul_f32_e32 v72, v72, v73
	buffer_store_dword v72, off, s[0:3], 0 offset:12
.LBB97_348:
	s_or_b64 exec, exec, s[8:9]
	buffer_load_dword v72, off, s[0:3], 0 offset:16
	v_cmp_gt_u32_e32 vcc, 4, v0
	s_waitcnt vmcnt(0)
	ds_write_b32 v70, v72
	s_waitcnt lgkmcnt(0)
	; wave barrier
	s_and_saveexec_b64 s[6:7], vcc
	s_cbranch_execz .LBB97_358
; %bb.349:
	s_and_b64 vcc, exec, s[4:5]
	s_cbranch_vccnz .LBB97_351
; %bb.350:
	buffer_load_dword v72, v71, s[0:3], 0 offen
	ds_read_b32 v73, v70
	s_waitcnt vmcnt(0) lgkmcnt(0)
	v_mul_f32_e32 v72, v72, v73
	s_cbranch_execz .LBB97_352
	s_branch .LBB97_353
.LBB97_351:
                                        ; implicit-def: $vgpr72
.LBB97_352:
	ds_read_b32 v72, v70
.LBB97_353:
	v_cmp_ne_u32_e32 vcc, 3, v0
	s_and_saveexec_b64 s[8:9], vcc
	s_cbranch_execz .LBB97_357
; %bb.354:
	s_mov_b32 s10, 0
	v_add_u32_e32 v73, 0x94, v69
	v_add3_u32 v74, v69, s10, 4
	s_mov_b64 s[10:11], 0
	v_mov_b32_e32 v75, v0
.LBB97_355:                             ; =>This Inner Loop Header: Depth=1
	buffer_load_dword v76, v74, s[0:3], 0 offen
	ds_read_b32 v77, v73
	v_add_u32_e32 v75, 1, v75
	v_cmp_lt_u32_e32 vcc, 2, v75
	v_add_u32_e32 v73, 4, v73
	v_add_u32_e32 v74, 4, v74
	s_or_b64 s[10:11], vcc, s[10:11]
	s_waitcnt vmcnt(0) lgkmcnt(0)
	v_fmac_f32_e32 v72, v76, v77
	s_andn2_b64 exec, exec, s[10:11]
	s_cbranch_execnz .LBB97_355
; %bb.356:
	s_or_b64 exec, exec, s[10:11]
.LBB97_357:
	s_or_b64 exec, exec, s[8:9]
	v_mov_b32_e32 v73, 0
	ds_read_b32 v73, v73 offset:16
	s_waitcnt lgkmcnt(0)
	v_mul_f32_e32 v72, v72, v73
	buffer_store_dword v72, off, s[0:3], 0 offset:16
.LBB97_358:
	s_or_b64 exec, exec, s[6:7]
	buffer_load_dword v72, off, s[0:3], 0 offset:20
	v_cmp_gt_u32_e32 vcc, 5, v0
	s_waitcnt vmcnt(0)
	ds_write_b32 v70, v72
	s_waitcnt lgkmcnt(0)
	; wave barrier
	s_and_saveexec_b64 s[6:7], vcc
	s_cbranch_execz .LBB97_368
; %bb.359:
	s_and_b64 vcc, exec, s[4:5]
	s_cbranch_vccnz .LBB97_361
; %bb.360:
	buffer_load_dword v72, v71, s[0:3], 0 offen
	ds_read_b32 v73, v70
	s_waitcnt vmcnt(0) lgkmcnt(0)
	v_mul_f32_e32 v72, v72, v73
	s_cbranch_execz .LBB97_362
	s_branch .LBB97_363
.LBB97_361:
                                        ; implicit-def: $vgpr72
.LBB97_362:
	ds_read_b32 v72, v70
.LBB97_363:
	v_cmp_ne_u32_e32 vcc, 4, v0
	s_and_saveexec_b64 s[8:9], vcc
	s_cbranch_execz .LBB97_367
; %bb.364:
	s_mov_b32 s10, 0
	v_add_u32_e32 v73, 0x94, v69
	v_add3_u32 v74, v69, s10, 4
	s_mov_b64 s[10:11], 0
	v_mov_b32_e32 v75, v0
.LBB97_365:                             ; =>This Inner Loop Header: Depth=1
	buffer_load_dword v76, v74, s[0:3], 0 offen
	ds_read_b32 v77, v73
	v_add_u32_e32 v75, 1, v75
	v_cmp_lt_u32_e32 vcc, 3, v75
	v_add_u32_e32 v73, 4, v73
	v_add_u32_e32 v74, 4, v74
	s_or_b64 s[10:11], vcc, s[10:11]
	s_waitcnt vmcnt(0) lgkmcnt(0)
	v_fmac_f32_e32 v72, v76, v77
	s_andn2_b64 exec, exec, s[10:11]
	s_cbranch_execnz .LBB97_365
; %bb.366:
	s_or_b64 exec, exec, s[10:11]
.LBB97_367:
	s_or_b64 exec, exec, s[8:9]
	v_mov_b32_e32 v73, 0
	ds_read_b32 v73, v73 offset:20
	s_waitcnt lgkmcnt(0)
	v_mul_f32_e32 v72, v72, v73
	buffer_store_dword v72, off, s[0:3], 0 offset:20
.LBB97_368:
	;; [unrolled: 55-line block ×28, first 2 shown]
	s_or_b64 exec, exec, s[6:7]
	buffer_load_dword v72, off, s[0:3], 0 offset:128
	v_cmp_gt_u32_e64 s[6:7], 32, v0
	s_waitcnt vmcnt(0)
	ds_write_b32 v70, v72
	s_waitcnt lgkmcnt(0)
	; wave barrier
	s_and_saveexec_b64 s[8:9], s[6:7]
	s_cbranch_execz .LBB97_638
; %bb.629:
	s_and_b64 vcc, exec, s[4:5]
	s_cbranch_vccnz .LBB97_631
; %bb.630:
	buffer_load_dword v72, v71, s[0:3], 0 offen
	ds_read_b32 v73, v70
	s_waitcnt vmcnt(0) lgkmcnt(0)
	v_mul_f32_e32 v72, v72, v73
	s_cbranch_execz .LBB97_632
	s_branch .LBB97_633
.LBB97_631:
                                        ; implicit-def: $vgpr72
.LBB97_632:
	ds_read_b32 v72, v70
.LBB97_633:
	v_cmp_ne_u32_e32 vcc, 31, v0
	s_and_saveexec_b64 s[10:11], vcc
	s_cbranch_execz .LBB97_637
; %bb.634:
	s_mov_b32 s12, 0
	v_add_u32_e32 v73, 0x94, v69
	v_add3_u32 v74, v69, s12, 4
	s_mov_b64 s[12:13], 0
	v_mov_b32_e32 v75, v0
.LBB97_635:                             ; =>This Inner Loop Header: Depth=1
	buffer_load_dword v76, v74, s[0:3], 0 offen
	ds_read_b32 v77, v73
	v_add_u32_e32 v75, 1, v75
	v_cmp_lt_u32_e32 vcc, 30, v75
	v_add_u32_e32 v73, 4, v73
	v_add_u32_e32 v74, 4, v74
	s_or_b64 s[12:13], vcc, s[12:13]
	s_waitcnt vmcnt(0) lgkmcnt(0)
	v_fmac_f32_e32 v72, v76, v77
	s_andn2_b64 exec, exec, s[12:13]
	s_cbranch_execnz .LBB97_635
; %bb.636:
	s_or_b64 exec, exec, s[12:13]
.LBB97_637:
	s_or_b64 exec, exec, s[10:11]
	v_mov_b32_e32 v73, 0
	ds_read_b32 v73, v73 offset:128
	s_waitcnt lgkmcnt(0)
	v_mul_f32_e32 v72, v72, v73
	buffer_store_dword v72, off, s[0:3], 0 offset:128
.LBB97_638:
	s_or_b64 exec, exec, s[8:9]
	buffer_load_dword v72, off, s[0:3], 0 offset:132
	v_cmp_ne_u32_e32 vcc, 33, v0
	s_waitcnt vmcnt(0)
	ds_write_b32 v70, v72
	s_waitcnt lgkmcnt(0)
	; wave barrier
	s_and_saveexec_b64 s[8:9], vcc
	s_cbranch_execz .LBB97_648
; %bb.639:
	s_and_b64 vcc, exec, s[4:5]
	s_cbranch_vccnz .LBB97_641
; %bb.640:
	buffer_load_dword v71, v71, s[0:3], 0 offen
	ds_read_b32 v72, v70
	s_waitcnt vmcnt(0) lgkmcnt(0)
	v_mul_f32_e32 v71, v71, v72
	s_cbranch_execz .LBB97_642
	s_branch .LBB97_643
.LBB97_641:
                                        ; implicit-def: $vgpr71
.LBB97_642:
	ds_read_b32 v71, v70
.LBB97_643:
	s_and_saveexec_b64 s[4:5], s[6:7]
	s_cbranch_execz .LBB97_647
; %bb.644:
	s_mov_b32 s6, 0
	v_add_u32_e32 v70, 0x94, v69
	v_add3_u32 v69, v69, s6, 4
	s_mov_b64 s[6:7], 0
.LBB97_645:                             ; =>This Inner Loop Header: Depth=1
	buffer_load_dword v72, v69, s[0:3], 0 offen
	ds_read_b32 v73, v70
	v_add_u32_e32 v0, 1, v0
	v_cmp_lt_u32_e32 vcc, 31, v0
	v_add_u32_e32 v70, 4, v70
	v_add_u32_e32 v69, 4, v69
	s_or_b64 s[6:7], vcc, s[6:7]
	s_waitcnt vmcnt(0) lgkmcnt(0)
	v_fmac_f32_e32 v71, v72, v73
	s_andn2_b64 exec, exec, s[6:7]
	s_cbranch_execnz .LBB97_645
; %bb.646:
	s_or_b64 exec, exec, s[6:7]
.LBB97_647:
	s_or_b64 exec, exec, s[4:5]
	v_mov_b32_e32 v0, 0
	ds_read_b32 v0, v0 offset:132
	s_waitcnt lgkmcnt(0)
	v_mul_f32_e32 v0, v71, v0
	buffer_store_dword v0, off, s[0:3], 0 offset:132
.LBB97_648:
	s_or_b64 exec, exec, s[8:9]
.LBB97_649:
	buffer_load_dword v0, off, s[0:3], 0
	s_waitcnt vmcnt(0)
	flat_store_dword v[1:2], v0
	buffer_load_dword v0, off, s[0:3], 0 offset:4
	s_waitcnt vmcnt(0)
	flat_store_dword v[3:4], v0
	buffer_load_dword v0, off, s[0:3], 0 offset:8
	;; [unrolled: 3-line block ×33, first 2 shown]
	s_waitcnt vmcnt(0)
	flat_store_dword v[67:68], v0
.LBB97_650:
	s_endpgm
	.section	.rodata,"a",@progbits
	.p2align	6, 0x0
	.amdhsa_kernel _ZN9rocsolver6v33100L18trti2_kernel_smallILi34EfPKPfEEv13rocblas_fill_17rocblas_diagonal_T1_iil
		.amdhsa_group_segment_fixed_size 280
		.amdhsa_private_segment_fixed_size 144
		.amdhsa_kernarg_size 32
		.amdhsa_user_sgpr_count 6
		.amdhsa_user_sgpr_private_segment_buffer 1
		.amdhsa_user_sgpr_dispatch_ptr 0
		.amdhsa_user_sgpr_queue_ptr 0
		.amdhsa_user_sgpr_kernarg_segment_ptr 1
		.amdhsa_user_sgpr_dispatch_id 0
		.amdhsa_user_sgpr_flat_scratch_init 0
		.amdhsa_user_sgpr_private_segment_size 0
		.amdhsa_uses_dynamic_stack 0
		.amdhsa_system_sgpr_private_segment_wavefront_offset 1
		.amdhsa_system_sgpr_workgroup_id_x 1
		.amdhsa_system_sgpr_workgroup_id_y 0
		.amdhsa_system_sgpr_workgroup_id_z 0
		.amdhsa_system_sgpr_workgroup_info 0
		.amdhsa_system_vgpr_workitem_id 0
		.amdhsa_next_free_vgpr 78
		.amdhsa_next_free_sgpr 47
		.amdhsa_reserve_vcc 1
		.amdhsa_reserve_flat_scratch 0
		.amdhsa_float_round_mode_32 0
		.amdhsa_float_round_mode_16_64 0
		.amdhsa_float_denorm_mode_32 3
		.amdhsa_float_denorm_mode_16_64 3
		.amdhsa_dx10_clamp 1
		.amdhsa_ieee_mode 1
		.amdhsa_fp16_overflow 0
		.amdhsa_exception_fp_ieee_invalid_op 0
		.amdhsa_exception_fp_denorm_src 0
		.amdhsa_exception_fp_ieee_div_zero 0
		.amdhsa_exception_fp_ieee_overflow 0
		.amdhsa_exception_fp_ieee_underflow 0
		.amdhsa_exception_fp_ieee_inexact 0
		.amdhsa_exception_int_div_zero 0
	.end_amdhsa_kernel
	.section	.text._ZN9rocsolver6v33100L18trti2_kernel_smallILi34EfPKPfEEv13rocblas_fill_17rocblas_diagonal_T1_iil,"axG",@progbits,_ZN9rocsolver6v33100L18trti2_kernel_smallILi34EfPKPfEEv13rocblas_fill_17rocblas_diagonal_T1_iil,comdat
.Lfunc_end97:
	.size	_ZN9rocsolver6v33100L18trti2_kernel_smallILi34EfPKPfEEv13rocblas_fill_17rocblas_diagonal_T1_iil, .Lfunc_end97-_ZN9rocsolver6v33100L18trti2_kernel_smallILi34EfPKPfEEv13rocblas_fill_17rocblas_diagonal_T1_iil
                                        ; -- End function
	.set _ZN9rocsolver6v33100L18trti2_kernel_smallILi34EfPKPfEEv13rocblas_fill_17rocblas_diagonal_T1_iil.num_vgpr, 78
	.set _ZN9rocsolver6v33100L18trti2_kernel_smallILi34EfPKPfEEv13rocblas_fill_17rocblas_diagonal_T1_iil.num_agpr, 0
	.set _ZN9rocsolver6v33100L18trti2_kernel_smallILi34EfPKPfEEv13rocblas_fill_17rocblas_diagonal_T1_iil.numbered_sgpr, 47
	.set _ZN9rocsolver6v33100L18trti2_kernel_smallILi34EfPKPfEEv13rocblas_fill_17rocblas_diagonal_T1_iil.num_named_barrier, 0
	.set _ZN9rocsolver6v33100L18trti2_kernel_smallILi34EfPKPfEEv13rocblas_fill_17rocblas_diagonal_T1_iil.private_seg_size, 144
	.set _ZN9rocsolver6v33100L18trti2_kernel_smallILi34EfPKPfEEv13rocblas_fill_17rocblas_diagonal_T1_iil.uses_vcc, 1
	.set _ZN9rocsolver6v33100L18trti2_kernel_smallILi34EfPKPfEEv13rocblas_fill_17rocblas_diagonal_T1_iil.uses_flat_scratch, 0
	.set _ZN9rocsolver6v33100L18trti2_kernel_smallILi34EfPKPfEEv13rocblas_fill_17rocblas_diagonal_T1_iil.has_dyn_sized_stack, 0
	.set _ZN9rocsolver6v33100L18trti2_kernel_smallILi34EfPKPfEEv13rocblas_fill_17rocblas_diagonal_T1_iil.has_recursion, 0
	.set _ZN9rocsolver6v33100L18trti2_kernel_smallILi34EfPKPfEEv13rocblas_fill_17rocblas_diagonal_T1_iil.has_indirect_call, 0
	.section	.AMDGPU.csdata,"",@progbits
; Kernel info:
; codeLenInByte = 16352
; TotalNumSgprs: 51
; NumVgprs: 78
; ScratchSize: 144
; MemoryBound: 0
; FloatMode: 240
; IeeeMode: 1
; LDSByteSize: 280 bytes/workgroup (compile time only)
; SGPRBlocks: 6
; VGPRBlocks: 19
; NumSGPRsForWavesPerEU: 51
; NumVGPRsForWavesPerEU: 78
; Occupancy: 3
; WaveLimiterHint : 1
; COMPUTE_PGM_RSRC2:SCRATCH_EN: 1
; COMPUTE_PGM_RSRC2:USER_SGPR: 6
; COMPUTE_PGM_RSRC2:TRAP_HANDLER: 0
; COMPUTE_PGM_RSRC2:TGID_X_EN: 1
; COMPUTE_PGM_RSRC2:TGID_Y_EN: 0
; COMPUTE_PGM_RSRC2:TGID_Z_EN: 0
; COMPUTE_PGM_RSRC2:TIDIG_COMP_CNT: 0
	.section	.text._ZN9rocsolver6v33100L18trti2_kernel_smallILi35EfPKPfEEv13rocblas_fill_17rocblas_diagonal_T1_iil,"axG",@progbits,_ZN9rocsolver6v33100L18trti2_kernel_smallILi35EfPKPfEEv13rocblas_fill_17rocblas_diagonal_T1_iil,comdat
	.globl	_ZN9rocsolver6v33100L18trti2_kernel_smallILi35EfPKPfEEv13rocblas_fill_17rocblas_diagonal_T1_iil ; -- Begin function _ZN9rocsolver6v33100L18trti2_kernel_smallILi35EfPKPfEEv13rocblas_fill_17rocblas_diagonal_T1_iil
	.p2align	8
	.type	_ZN9rocsolver6v33100L18trti2_kernel_smallILi35EfPKPfEEv13rocblas_fill_17rocblas_diagonal_T1_iil,@function
_ZN9rocsolver6v33100L18trti2_kernel_smallILi35EfPKPfEEv13rocblas_fill_17rocblas_diagonal_T1_iil: ; @_ZN9rocsolver6v33100L18trti2_kernel_smallILi35EfPKPfEEv13rocblas_fill_17rocblas_diagonal_T1_iil
; %bb.0:
	s_add_u32 s0, s0, s7
	s_addc_u32 s1, s1, 0
	v_cmp_gt_u32_e32 vcc, 35, v0
	s_and_saveexec_b64 s[8:9], vcc
	s_cbranch_execz .LBB98_670
; %bb.1:
	s_load_dwordx2 s[12:13], s[4:5], 0x10
	s_load_dwordx4 s[8:11], s[4:5], 0x0
	s_ashr_i32 s7, s6, 31
	s_lshl_b64 s[6:7], s[6:7], 3
	v_lshlrev_b32_e32 v71, 2, v0
	s_waitcnt lgkmcnt(0)
	s_ashr_i32 s5, s12, 31
	s_add_u32 s6, s10, s6
	s_addc_u32 s7, s11, s7
	s_load_dwordx2 s[6:7], s[6:7], 0x0
	s_mov_b32 s4, s12
	s_lshl_b64 s[4:5], s[4:5], 2
	s_waitcnt lgkmcnt(0)
	s_add_u32 s4, s6, s4
	s_addc_u32 s5, s7, s5
	v_mov_b32_e32 v2, s5
	v_add_co_u32_e32 v1, vcc, s4, v71
	v_addc_co_u32_e32 v2, vcc, 0, v2, vcc
	flat_load_dword v5, v[1:2]
	s_mov_b32 s6, s13
	s_ashr_i32 s7, s13, 31
	s_lshl_b64 s[6:7], s[6:7], 2
	v_mov_b32_e32 v4, s7
	v_add_co_u32_e32 v3, vcc, s6, v1
	v_addc_co_u32_e32 v4, vcc, v2, v4, vcc
	s_add_i32 s6, s13, s13
	v_add_u32_e32 v7, s6, v0
	v_ashrrev_i32_e32 v8, 31, v7
	v_mov_b32_e32 v10, s5
	v_mov_b32_e32 v12, s5
	;; [unrolled: 1-line block ×32, first 2 shown]
	s_cmpk_lg_i32 s9, 0x84
	s_cselect_b64 s[10:11], -1, 0
	s_cmpk_eq_i32 s9, 0x84
	s_waitcnt vmcnt(0) lgkmcnt(0)
	buffer_store_dword v5, off, s[0:3], 0
	flat_load_dword v9, v[3:4]
	v_lshlrev_b64 v[5:6], 2, v[7:8]
	v_add_co_u32_e32 v5, vcc, s4, v5
	v_addc_co_u32_e32 v6, vcc, v10, v6, vcc
	s_waitcnt vmcnt(0) lgkmcnt(0)
	buffer_store_dword v9, off, s[0:3], 0 offset:4
	flat_load_dword v11, v[5:6]
	v_add_u32_e32 v9, s13, v7
	v_ashrrev_i32_e32 v10, 31, v9
	v_lshlrev_b64 v[7:8], 2, v[9:10]
	v_add_co_u32_e32 v7, vcc, s4, v7
	v_addc_co_u32_e32 v8, vcc, v12, v8, vcc
	s_waitcnt vmcnt(0) lgkmcnt(0)
	buffer_store_dword v11, off, s[0:3], 0 offset:8
	flat_load_dword v13, v[7:8]
	v_add_u32_e32 v11, s13, v9
	v_ashrrev_i32_e32 v12, 31, v11
	;; [unrolled: 8-line block ×31, first 2 shown]
	v_lshlrev_b64 v[67:68], 2, v[69:70]
	v_add_u32_e32 v69, s13, v69
	v_add_co_u32_e32 v67, vcc, s4, v67
	v_addc_co_u32_e32 v68, vcc, v73, v68, vcc
	v_ashrrev_i32_e32 v70, 31, v69
	v_lshlrev_b64 v[69:70], 2, v[69:70]
	v_add_co_u32_e32 v69, vcc, s4, v69
	v_addc_co_u32_e32 v70, vcc, v73, v70, vcc
	s_waitcnt vmcnt(0) lgkmcnt(0)
	buffer_store_dword v72, off, s[0:3], 0 offset:128
	flat_load_dword v72, v[67:68]
	s_waitcnt vmcnt(0) lgkmcnt(0)
	buffer_store_dword v72, off, s[0:3], 0 offset:132
	flat_load_dword v72, v[69:70]
	s_waitcnt vmcnt(0) lgkmcnt(0)
	buffer_store_dword v72, off, s[0:3], 0 offset:136
	v_mov_b32_e32 v72, -1.0
	s_cbranch_scc1 .LBB98_3
; %bb.2:
	v_mov_b32_e32 v72, 0
	v_lshl_add_u32 v72, v0, 2, v72
	buffer_load_dword v73, v72, s[0:3], 0 offen
	s_waitcnt vmcnt(0)
	v_div_scale_f32 v74, s[4:5], v73, v73, 1.0
	v_div_scale_f32 v75, vcc, 1.0, v73, 1.0
	v_rcp_f32_e32 v76, v74
	v_fma_f32 v77, -v74, v76, 1.0
	v_fmac_f32_e32 v76, v77, v76
	v_mul_f32_e32 v77, v75, v76
	v_fma_f32 v78, -v74, v77, v75
	v_fmac_f32_e32 v77, v78, v76
	v_fma_f32 v74, -v74, v77, v75
	v_div_fmas_f32 v74, v74, v76, v77
	v_div_fixup_f32 v73, v74, v73, 1.0
	buffer_store_dword v73, v72, s[0:3], 0 offen
	v_xor_b32_e32 v72, 0x80000000, v73
.LBB98_3:
	ds_write_b32 v71, v72
	s_cmpk_eq_i32 s8, 0x79
	v_add_u32_e32 v72, 0x90, v71
	v_mov_b32_e32 v73, v71
	s_mov_b64 s[4:5], -1
	s_cbranch_scc1 .LBB98_337
; %bb.4:
	buffer_load_dword v74, off, s[0:3], 0 offset:132
	s_movk_i32 s12, 0x44
	s_movk_i32 s13, 0x48
	;; [unrolled: 1-line block ×16, first 2 shown]
	v_cmp_eq_u32_e64 s[4:5], 34, v0
	s_waitcnt vmcnt(0)
	ds_write_b32 v72, v74
	s_waitcnt lgkmcnt(0)
	; wave barrier
	s_and_saveexec_b64 s[6:7], s[4:5]
	s_cbranch_execz .LBB98_10
; %bb.5:
	s_and_b64 vcc, exec, s[10:11]
	s_cbranch_vccz .LBB98_7
; %bb.6:
	buffer_load_dword v74, v73, s[0:3], 0 offen
	ds_read_b32 v75, v72
	s_waitcnt vmcnt(0) lgkmcnt(0)
	v_mul_f32_e32 v74, v74, v75
	s_cbranch_execz .LBB98_8
	s_branch .LBB98_9
.LBB98_7:
                                        ; implicit-def: $vgpr74
.LBB98_8:
	ds_read_b32 v74, v72
.LBB98_9:
	v_mov_b32_e32 v75, 0
	ds_read_b32 v75, v75 offset:132
	s_waitcnt lgkmcnt(0)
	v_mul_f32_e32 v74, v74, v75
	buffer_store_dword v74, off, s[0:3], 0 offset:132
.LBB98_10:
	s_or_b64 exec, exec, s[6:7]
	buffer_load_dword v74, off, s[0:3], 0 offset:128
	s_or_b32 s14, 0, 4
	s_or_b32 s15, 0, 8
	;; [unrolled: 1-line block ×3, first 2 shown]
	s_mov_b32 s17, 16
	s_mov_b32 s18, 20
	;; [unrolled: 1-line block ×15, first 2 shown]
	v_cmp_lt_u32_e64 s[6:7], 32, v0
	s_waitcnt vmcnt(0)
	ds_write_b32 v72, v74
	s_waitcnt lgkmcnt(0)
	; wave barrier
	s_and_saveexec_b64 s[8:9], s[6:7]
	s_cbranch_execz .LBB98_16
; %bb.11:
	s_andn2_b64 vcc, exec, s[10:11]
	s_cbranch_vccnz .LBB98_13
; %bb.12:
	buffer_load_dword v74, v73, s[0:3], 0 offen
	ds_read_b32 v75, v72
	s_waitcnt vmcnt(0) lgkmcnt(0)
	v_mul_f32_e32 v74, v74, v75
	s_cbranch_execz .LBB98_14
	s_branch .LBB98_15
.LBB98_13:
                                        ; implicit-def: $vgpr74
.LBB98_14:
	ds_read_b32 v74, v72
.LBB98_15:
	buffer_load_dword v77, off, s[0:3], 0 offset:132
	v_mov_b32_e32 v75, 0
	ds_read2_b32 v[75:76], v75 offset0:32 offset1:69
	s_waitcnt vmcnt(0) lgkmcnt(0)
	v_fma_f32 v76, v77, v76, v74
	v_cndmask_b32_e64 v74, v74, v76, s[4:5]
	v_mul_f32_e32 v74, v74, v75
	buffer_store_dword v74, off, s[0:3], 0 offset:128
.LBB98_16:
	s_or_b64 exec, exec, s[8:9]
	buffer_load_dword v74, off, s[0:3], 0 offset:124
	v_cmp_lt_u32_e64 s[4:5], 31, v0
	s_waitcnt vmcnt(0)
	ds_write_b32 v72, v74
	s_waitcnt lgkmcnt(0)
	; wave barrier
	s_and_saveexec_b64 s[8:9], s[4:5]
	s_cbranch_execz .LBB98_26
; %bb.17:
	s_andn2_b64 vcc, exec, s[10:11]
	s_cbranch_vccnz .LBB98_19
; %bb.18:
	buffer_load_dword v74, v73, s[0:3], 0 offen
	ds_read_b32 v75, v72
	s_waitcnt vmcnt(0) lgkmcnt(0)
	v_mul_f32_e32 v74, v74, v75
	s_cbranch_execz .LBB98_20
	s_branch .LBB98_21
.LBB98_19:
                                        ; implicit-def: $vgpr74
.LBB98_20:
	ds_read_b32 v74, v72
.LBB98_21:
	s_and_saveexec_b64 s[12:13], s[6:7]
	s_cbranch_execz .LBB98_25
; %bb.22:
	v_subrev_u32_e32 v75, 32, v0
	s_movk_i32 s47, 0x110
	s_mov_b64 s[6:7], 0
.LBB98_23:                              ; =>This Inner Loop Header: Depth=1
	v_mov_b32_e32 v76, s46
	buffer_load_dword v76, v76, s[0:3], 0 offen
	v_mov_b32_e32 v77, s47
	ds_read_b32 v77, v77
	v_add_u32_e32 v75, -1, v75
	s_add_i32 s47, s47, 4
	s_add_i32 s46, s46, 4
	v_cmp_eq_u32_e32 vcc, 0, v75
	s_or_b64 s[6:7], vcc, s[6:7]
	s_waitcnt vmcnt(0) lgkmcnt(0)
	v_fmac_f32_e32 v74, v76, v77
	s_andn2_b64 exec, exec, s[6:7]
	s_cbranch_execnz .LBB98_23
; %bb.24:
	s_or_b64 exec, exec, s[6:7]
.LBB98_25:
	s_or_b64 exec, exec, s[12:13]
	v_mov_b32_e32 v75, 0
	ds_read_b32 v75, v75 offset:124
	s_waitcnt lgkmcnt(0)
	v_mul_f32_e32 v74, v74, v75
	buffer_store_dword v74, off, s[0:3], 0 offset:124
.LBB98_26:
	s_or_b64 exec, exec, s[8:9]
	buffer_load_dword v74, off, s[0:3], 0 offset:120
	v_cmp_lt_u32_e64 s[6:7], 30, v0
	s_waitcnt vmcnt(0)
	ds_write_b32 v72, v74
	s_waitcnt lgkmcnt(0)
	; wave barrier
	s_and_saveexec_b64 s[8:9], s[6:7]
	s_cbranch_execz .LBB98_36
; %bb.27:
	s_andn2_b64 vcc, exec, s[10:11]
	s_cbranch_vccnz .LBB98_29
; %bb.28:
	buffer_load_dword v74, v73, s[0:3], 0 offen
	ds_read_b32 v75, v72
	s_waitcnt vmcnt(0) lgkmcnt(0)
	v_mul_f32_e32 v74, v74, v75
	s_cbranch_execz .LBB98_30
	s_branch .LBB98_31
.LBB98_29:
                                        ; implicit-def: $vgpr74
.LBB98_30:
	ds_read_b32 v74, v72
.LBB98_31:
	s_and_saveexec_b64 s[12:13], s[4:5]
	s_cbranch_execz .LBB98_35
; %bb.32:
	v_subrev_u32_e32 v75, 31, v0
	s_movk_i32 s46, 0x10c
	s_mov_b64 s[4:5], 0
.LBB98_33:                              ; =>This Inner Loop Header: Depth=1
	v_mov_b32_e32 v76, s45
	buffer_load_dword v76, v76, s[0:3], 0 offen
	v_mov_b32_e32 v77, s46
	ds_read_b32 v77, v77
	v_add_u32_e32 v75, -1, v75
	s_add_i32 s46, s46, 4
	s_add_i32 s45, s45, 4
	v_cmp_eq_u32_e32 vcc, 0, v75
	s_or_b64 s[4:5], vcc, s[4:5]
	s_waitcnt vmcnt(0) lgkmcnt(0)
	v_fmac_f32_e32 v74, v76, v77
	s_andn2_b64 exec, exec, s[4:5]
	s_cbranch_execnz .LBB98_33
; %bb.34:
	s_or_b64 exec, exec, s[4:5]
.LBB98_35:
	s_or_b64 exec, exec, s[12:13]
	v_mov_b32_e32 v75, 0
	ds_read_b32 v75, v75 offset:120
	s_waitcnt lgkmcnt(0)
	v_mul_f32_e32 v74, v74, v75
	buffer_store_dword v74, off, s[0:3], 0 offset:120
.LBB98_36:
	;; [unrolled: 54-line block ×8, first 2 shown]
	s_or_b64 exec, exec, s[8:9]
	buffer_load_dword v74, off, s[0:3], 0 offset:92
	v_cmp_lt_u32_e64 s[4:5], 23, v0
	s_waitcnt vmcnt(0)
	ds_write_b32 v72, v74
	s_waitcnt lgkmcnt(0)
	; wave barrier
	s_and_saveexec_b64 s[8:9], s[4:5]
	s_cbranch_execz .LBB98_106
; %bb.97:
	s_andn2_b64 vcc, exec, s[10:11]
	s_cbranch_vccnz .LBB98_99
; %bb.98:
	buffer_load_dword v74, v73, s[0:3], 0 offen
	ds_read_b32 v75, v72
	s_waitcnt vmcnt(0) lgkmcnt(0)
	v_mul_f32_e32 v74, v74, v75
	s_cbranch_execz .LBB98_100
	s_branch .LBB98_101
.LBB98_99:
                                        ; implicit-def: $vgpr74
.LBB98_100:
	ds_read_b32 v74, v72
.LBB98_101:
	s_and_saveexec_b64 s[12:13], s[6:7]
	s_cbranch_execz .LBB98_105
; %bb.102:
	v_subrev_u32_e32 v75, 24, v0
	s_movk_i32 s39, 0xf0
	s_mov_b64 s[6:7], 0
.LBB98_103:                             ; =>This Inner Loop Header: Depth=1
	v_mov_b32_e32 v76, s38
	buffer_load_dword v76, v76, s[0:3], 0 offen
	v_mov_b32_e32 v77, s39
	ds_read_b32 v77, v77
	v_add_u32_e32 v75, -1, v75
	s_add_i32 s39, s39, 4
	s_add_i32 s38, s38, 4
	v_cmp_eq_u32_e32 vcc, 0, v75
	s_or_b64 s[6:7], vcc, s[6:7]
	s_waitcnt vmcnt(0) lgkmcnt(0)
	v_fmac_f32_e32 v74, v76, v77
	s_andn2_b64 exec, exec, s[6:7]
	s_cbranch_execnz .LBB98_103
; %bb.104:
	s_or_b64 exec, exec, s[6:7]
.LBB98_105:
	s_or_b64 exec, exec, s[12:13]
	v_mov_b32_e32 v75, 0
	ds_read_b32 v75, v75 offset:92
	s_waitcnt lgkmcnt(0)
	v_mul_f32_e32 v74, v74, v75
	buffer_store_dword v74, off, s[0:3], 0 offset:92
.LBB98_106:
	s_or_b64 exec, exec, s[8:9]
	buffer_load_dword v74, off, s[0:3], 0 offset:88
	v_cmp_lt_u32_e64 s[6:7], 22, v0
	s_waitcnt vmcnt(0)
	ds_write_b32 v72, v74
	s_waitcnt lgkmcnt(0)
	; wave barrier
	s_and_saveexec_b64 s[8:9], s[6:7]
	s_cbranch_execz .LBB98_116
; %bb.107:
	s_andn2_b64 vcc, exec, s[10:11]
	s_cbranch_vccnz .LBB98_109
; %bb.108:
	buffer_load_dword v74, v73, s[0:3], 0 offen
	ds_read_b32 v75, v72
	s_waitcnt vmcnt(0) lgkmcnt(0)
	v_mul_f32_e32 v74, v74, v75
	s_cbranch_execz .LBB98_110
	s_branch .LBB98_111
.LBB98_109:
                                        ; implicit-def: $vgpr74
.LBB98_110:
	ds_read_b32 v74, v72
.LBB98_111:
	s_and_saveexec_b64 s[12:13], s[4:5]
	s_cbranch_execz .LBB98_115
; %bb.112:
	v_subrev_u32_e32 v75, 23, v0
	s_movk_i32 s38, 0xec
	s_mov_b64 s[4:5], 0
.LBB98_113:                             ; =>This Inner Loop Header: Depth=1
	v_mov_b32_e32 v76, s37
	buffer_load_dword v76, v76, s[0:3], 0 offen
	v_mov_b32_e32 v77, s38
	ds_read_b32 v77, v77
	v_add_u32_e32 v75, -1, v75
	s_add_i32 s38, s38, 4
	s_add_i32 s37, s37, 4
	v_cmp_eq_u32_e32 vcc, 0, v75
	s_or_b64 s[4:5], vcc, s[4:5]
	s_waitcnt vmcnt(0) lgkmcnt(0)
	v_fmac_f32_e32 v74, v76, v77
	s_andn2_b64 exec, exec, s[4:5]
	s_cbranch_execnz .LBB98_113
; %bb.114:
	s_or_b64 exec, exec, s[4:5]
.LBB98_115:
	s_or_b64 exec, exec, s[12:13]
	v_mov_b32_e32 v75, 0
	ds_read_b32 v75, v75 offset:88
	s_waitcnt lgkmcnt(0)
	v_mul_f32_e32 v74, v74, v75
	buffer_store_dword v74, off, s[0:3], 0 offset:88
.LBB98_116:
	;; [unrolled: 54-line block ×8, first 2 shown]
	s_or_b64 exec, exec, s[8:9]
	buffer_load_dword v74, off, s[0:3], 0 offset:60
	v_cmp_lt_u32_e64 s[4:5], 15, v0
	s_waitcnt vmcnt(0)
	ds_write_b32 v72, v74
	s_waitcnt lgkmcnt(0)
	; wave barrier
	s_and_saveexec_b64 s[8:9], s[4:5]
	s_cbranch_execz .LBB98_186
; %bb.177:
	s_andn2_b64 vcc, exec, s[10:11]
	s_cbranch_vccnz .LBB98_179
; %bb.178:
	buffer_load_dword v74, v73, s[0:3], 0 offen
	ds_read_b32 v75, v72
	s_waitcnt vmcnt(0) lgkmcnt(0)
	v_mul_f32_e32 v74, v74, v75
	s_cbranch_execz .LBB98_180
	s_branch .LBB98_181
.LBB98_179:
                                        ; implicit-def: $vgpr74
.LBB98_180:
	ds_read_b32 v74, v72
.LBB98_181:
	s_and_saveexec_b64 s[12:13], s[6:7]
	s_cbranch_execz .LBB98_185
; %bb.182:
	v_add_u32_e32 v75, -16, v0
	s_movk_i32 s30, 0xd0
	s_mov_b64 s[6:7], 0
.LBB98_183:                             ; =>This Inner Loop Header: Depth=1
	v_mov_b32_e32 v76, s29
	buffer_load_dword v76, v76, s[0:3], 0 offen
	v_mov_b32_e32 v77, s30
	ds_read_b32 v77, v77
	v_add_u32_e32 v75, -1, v75
	s_add_i32 s30, s30, 4
	s_add_i32 s29, s29, 4
	v_cmp_eq_u32_e32 vcc, 0, v75
	s_or_b64 s[6:7], vcc, s[6:7]
	s_waitcnt vmcnt(0) lgkmcnt(0)
	v_fmac_f32_e32 v74, v76, v77
	s_andn2_b64 exec, exec, s[6:7]
	s_cbranch_execnz .LBB98_183
; %bb.184:
	s_or_b64 exec, exec, s[6:7]
.LBB98_185:
	s_or_b64 exec, exec, s[12:13]
	v_mov_b32_e32 v75, 0
	ds_read_b32 v75, v75 offset:60
	s_waitcnt lgkmcnt(0)
	v_mul_f32_e32 v74, v74, v75
	buffer_store_dword v74, off, s[0:3], 0 offset:60
.LBB98_186:
	s_or_b64 exec, exec, s[8:9]
	buffer_load_dword v74, off, s[0:3], 0 offset:56
	v_cmp_lt_u32_e64 s[6:7], 14, v0
	s_waitcnt vmcnt(0)
	ds_write_b32 v72, v74
	s_waitcnt lgkmcnt(0)
	; wave barrier
	s_and_saveexec_b64 s[8:9], s[6:7]
	s_cbranch_execz .LBB98_196
; %bb.187:
	s_andn2_b64 vcc, exec, s[10:11]
	s_cbranch_vccnz .LBB98_189
; %bb.188:
	buffer_load_dword v74, v73, s[0:3], 0 offen
	ds_read_b32 v75, v72
	s_waitcnt vmcnt(0) lgkmcnt(0)
	v_mul_f32_e32 v74, v74, v75
	s_cbranch_execz .LBB98_190
	s_branch .LBB98_191
.LBB98_189:
                                        ; implicit-def: $vgpr74
.LBB98_190:
	ds_read_b32 v74, v72
.LBB98_191:
	s_and_saveexec_b64 s[12:13], s[4:5]
	s_cbranch_execz .LBB98_195
; %bb.192:
	v_add_u32_e32 v75, -15, v0
	s_movk_i32 s29, 0xcc
	s_mov_b64 s[4:5], 0
.LBB98_193:                             ; =>This Inner Loop Header: Depth=1
	v_mov_b32_e32 v76, s28
	buffer_load_dword v76, v76, s[0:3], 0 offen
	v_mov_b32_e32 v77, s29
	ds_read_b32 v77, v77
	v_add_u32_e32 v75, -1, v75
	s_add_i32 s29, s29, 4
	s_add_i32 s28, s28, 4
	v_cmp_eq_u32_e32 vcc, 0, v75
	s_or_b64 s[4:5], vcc, s[4:5]
	s_waitcnt vmcnt(0) lgkmcnt(0)
	v_fmac_f32_e32 v74, v76, v77
	s_andn2_b64 exec, exec, s[4:5]
	s_cbranch_execnz .LBB98_193
; %bb.194:
	s_or_b64 exec, exec, s[4:5]
.LBB98_195:
	s_or_b64 exec, exec, s[12:13]
	v_mov_b32_e32 v75, 0
	ds_read_b32 v75, v75 offset:56
	s_waitcnt lgkmcnt(0)
	v_mul_f32_e32 v74, v74, v75
	buffer_store_dword v74, off, s[0:3], 0 offset:56
.LBB98_196:
	;; [unrolled: 54-line block ×15, first 2 shown]
	s_or_b64 exec, exec, s[8:9]
	buffer_load_dword v74, off, s[0:3], 0
	v_cmp_ne_u32_e32 vcc, 0, v0
	s_waitcnt vmcnt(0)
	ds_write_b32 v72, v74
	s_waitcnt lgkmcnt(0)
	; wave barrier
	s_and_saveexec_b64 s[6:7], vcc
	s_cbranch_execz .LBB98_336
; %bb.327:
	s_andn2_b64 vcc, exec, s[10:11]
	s_cbranch_vccnz .LBB98_329
; %bb.328:
	buffer_load_dword v74, v73, s[0:3], 0 offen
	ds_read_b32 v75, v72
	s_waitcnt vmcnt(0) lgkmcnt(0)
	v_mul_f32_e32 v74, v74, v75
	s_cbranch_execz .LBB98_330
	s_branch .LBB98_331
.LBB98_329:
                                        ; implicit-def: $vgpr74
.LBB98_330:
	ds_read_b32 v74, v72
.LBB98_331:
	s_and_saveexec_b64 s[8:9], s[4:5]
	s_cbranch_execz .LBB98_335
; %bb.332:
	v_add_u32_e32 v75, -1, v0
	s_movk_i32 s12, 0x94
	s_mov_b64 s[4:5], 0
.LBB98_333:                             ; =>This Inner Loop Header: Depth=1
	v_mov_b32_e32 v76, s14
	buffer_load_dword v76, v76, s[0:3], 0 offen
	v_mov_b32_e32 v77, s12
	ds_read_b32 v77, v77
	v_add_u32_e32 v75, -1, v75
	s_add_i32 s12, s12, 4
	s_add_i32 s14, s14, 4
	v_cmp_eq_u32_e32 vcc, 0, v75
	s_or_b64 s[4:5], vcc, s[4:5]
	s_waitcnt vmcnt(0) lgkmcnt(0)
	v_fmac_f32_e32 v74, v76, v77
	s_andn2_b64 exec, exec, s[4:5]
	s_cbranch_execnz .LBB98_333
; %bb.334:
	s_or_b64 exec, exec, s[4:5]
.LBB98_335:
	s_or_b64 exec, exec, s[8:9]
	v_mov_b32_e32 v75, 0
	ds_read_b32 v75, v75
	s_waitcnt lgkmcnt(0)
	v_mul_f32_e32 v74, v74, v75
	buffer_store_dword v74, off, s[0:3], 0
.LBB98_336:
	s_or_b64 exec, exec, s[6:7]
	s_mov_b64 s[4:5], 0
.LBB98_337:
	s_and_b64 vcc, exec, s[4:5]
	s_cbranch_vccz .LBB98_669
; %bb.338:
	buffer_load_dword v74, off, s[0:3], 0 offset:4
	v_cmp_eq_u32_e64 s[6:7], 0, v0
	s_waitcnt vmcnt(0)
	ds_write_b32 v72, v74
	s_waitcnt lgkmcnt(0)
	; wave barrier
	s_and_saveexec_b64 s[4:5], s[6:7]
	s_cbranch_execz .LBB98_344
; %bb.339:
	s_and_b64 vcc, exec, s[10:11]
	s_cbranch_vccz .LBB98_341
; %bb.340:
	buffer_load_dword v74, v73, s[0:3], 0 offen
	ds_read_b32 v75, v72
	s_waitcnt vmcnt(0) lgkmcnt(0)
	v_mul_f32_e32 v74, v74, v75
	s_cbranch_execz .LBB98_342
	s_branch .LBB98_343
.LBB98_341:
                                        ; implicit-def: $vgpr74
.LBB98_342:
	ds_read_b32 v74, v72
.LBB98_343:
	v_mov_b32_e32 v75, 0
	ds_read_b32 v75, v75 offset:4
	s_waitcnt lgkmcnt(0)
	v_mul_f32_e32 v74, v74, v75
	buffer_store_dword v74, off, s[0:3], 0 offset:4
.LBB98_344:
	s_or_b64 exec, exec, s[4:5]
	buffer_load_dword v74, off, s[0:3], 0 offset:8
	v_cndmask_b32_e64 v75, 0, 1, s[10:11]
	v_cmp_gt_u32_e32 vcc, 2, v0
	v_cmp_ne_u32_e64 s[4:5], 1, v75
	s_waitcnt vmcnt(0)
	ds_write_b32 v72, v74
	s_waitcnt lgkmcnt(0)
	; wave barrier
	s_and_saveexec_b64 s[8:9], vcc
	s_cbranch_execz .LBB98_350
; %bb.345:
	s_and_b64 vcc, exec, s[4:5]
	s_cbranch_vccnz .LBB98_347
; %bb.346:
	buffer_load_dword v74, v73, s[0:3], 0 offen
	ds_read_b32 v75, v72
	s_waitcnt vmcnt(0) lgkmcnt(0)
	v_mul_f32_e32 v74, v74, v75
	s_cbranch_execz .LBB98_348
	s_branch .LBB98_349
.LBB98_347:
                                        ; implicit-def: $vgpr74
.LBB98_348:
	ds_read_b32 v74, v72
.LBB98_349:
	buffer_load_dword v77, off, s[0:3], 0 offset:4
	v_mov_b32_e32 v75, 0
	ds_read2_b32 v[75:76], v75 offset0:2 offset1:37
	s_waitcnt vmcnt(0) lgkmcnt(0)
	v_fma_f32 v76, v77, v76, v74
	v_cndmask_b32_e64 v74, v74, v76, s[6:7]
	v_mul_f32_e32 v74, v74, v75
	buffer_store_dword v74, off, s[0:3], 0 offset:8
.LBB98_350:
	s_or_b64 exec, exec, s[8:9]
	buffer_load_dword v74, off, s[0:3], 0 offset:12
	v_cmp_gt_u32_e32 vcc, 3, v0
	s_waitcnt vmcnt(0)
	ds_write_b32 v72, v74
	s_waitcnt lgkmcnt(0)
	; wave barrier
	s_and_saveexec_b64 s[8:9], vcc
	s_cbranch_execz .LBB98_358
; %bb.351:
	s_and_b64 vcc, exec, s[4:5]
	s_cbranch_vccnz .LBB98_353
; %bb.352:
	buffer_load_dword v74, v73, s[0:3], 0 offen
	ds_read_b32 v75, v72
	s_waitcnt vmcnt(0) lgkmcnt(0)
	v_mul_f32_e32 v74, v74, v75
	s_cbranch_execz .LBB98_354
	s_branch .LBB98_355
.LBB98_353:
                                        ; implicit-def: $vgpr74
.LBB98_354:
	ds_read_b32 v74, v72
.LBB98_355:
	v_cmp_ne_u32_e32 vcc, 2, v0
	s_and_saveexec_b64 s[10:11], vcc
	s_cbranch_execz .LBB98_357
; %bb.356:
	buffer_load_dword v75, v73, s[0:3], 0 offen offset:4
	buffer_load_dword v76, off, s[0:3], 0 offset:8
	v_mov_b32_e32 v77, 0
	ds_read_b32 v78, v72 offset:4
	ds_read_b32 v77, v77 offset:152
	s_waitcnt vmcnt(1) lgkmcnt(1)
	v_fmac_f32_e32 v74, v75, v78
	s_waitcnt vmcnt(0) lgkmcnt(0)
	v_fma_f32 v75, v76, v77, v74
	v_cndmask_b32_e64 v74, v74, v75, s[6:7]
.LBB98_357:
	s_or_b64 exec, exec, s[10:11]
	v_mov_b32_e32 v75, 0
	ds_read_b32 v75, v75 offset:12
	s_waitcnt lgkmcnt(0)
	v_mul_f32_e32 v74, v74, v75
	buffer_store_dword v74, off, s[0:3], 0 offset:12
.LBB98_358:
	s_or_b64 exec, exec, s[8:9]
	buffer_load_dword v74, off, s[0:3], 0 offset:16
	v_cmp_gt_u32_e32 vcc, 4, v0
	s_waitcnt vmcnt(0)
	ds_write_b32 v72, v74
	s_waitcnt lgkmcnt(0)
	; wave barrier
	s_and_saveexec_b64 s[6:7], vcc
	s_cbranch_execz .LBB98_368
; %bb.359:
	s_and_b64 vcc, exec, s[4:5]
	s_cbranch_vccnz .LBB98_361
; %bb.360:
	buffer_load_dword v74, v73, s[0:3], 0 offen
	ds_read_b32 v75, v72
	s_waitcnt vmcnt(0) lgkmcnt(0)
	v_mul_f32_e32 v74, v74, v75
	s_cbranch_execz .LBB98_362
	s_branch .LBB98_363
.LBB98_361:
                                        ; implicit-def: $vgpr74
.LBB98_362:
	ds_read_b32 v74, v72
.LBB98_363:
	v_cmp_ne_u32_e32 vcc, 3, v0
	s_and_saveexec_b64 s[8:9], vcc
	s_cbranch_execz .LBB98_367
; %bb.364:
	s_mov_b32 s10, 0
	v_add_u32_e32 v75, 0x94, v71
	v_add3_u32 v76, v71, s10, 4
	s_mov_b64 s[10:11], 0
	v_mov_b32_e32 v77, v0
.LBB98_365:                             ; =>This Inner Loop Header: Depth=1
	buffer_load_dword v78, v76, s[0:3], 0 offen
	ds_read_b32 v79, v75
	v_add_u32_e32 v77, 1, v77
	v_cmp_lt_u32_e32 vcc, 2, v77
	v_add_u32_e32 v75, 4, v75
	v_add_u32_e32 v76, 4, v76
	s_or_b64 s[10:11], vcc, s[10:11]
	s_waitcnt vmcnt(0) lgkmcnt(0)
	v_fmac_f32_e32 v74, v78, v79
	s_andn2_b64 exec, exec, s[10:11]
	s_cbranch_execnz .LBB98_365
; %bb.366:
	s_or_b64 exec, exec, s[10:11]
.LBB98_367:
	s_or_b64 exec, exec, s[8:9]
	v_mov_b32_e32 v75, 0
	ds_read_b32 v75, v75 offset:16
	s_waitcnt lgkmcnt(0)
	v_mul_f32_e32 v74, v74, v75
	buffer_store_dword v74, off, s[0:3], 0 offset:16
.LBB98_368:
	s_or_b64 exec, exec, s[6:7]
	buffer_load_dword v74, off, s[0:3], 0 offset:20
	v_cmp_gt_u32_e32 vcc, 5, v0
	s_waitcnt vmcnt(0)
	ds_write_b32 v72, v74
	s_waitcnt lgkmcnt(0)
	; wave barrier
	s_and_saveexec_b64 s[6:7], vcc
	s_cbranch_execz .LBB98_378
; %bb.369:
	s_and_b64 vcc, exec, s[4:5]
	s_cbranch_vccnz .LBB98_371
; %bb.370:
	buffer_load_dword v74, v73, s[0:3], 0 offen
	ds_read_b32 v75, v72
	s_waitcnt vmcnt(0) lgkmcnt(0)
	v_mul_f32_e32 v74, v74, v75
	s_cbranch_execz .LBB98_372
	s_branch .LBB98_373
.LBB98_371:
                                        ; implicit-def: $vgpr74
.LBB98_372:
	ds_read_b32 v74, v72
.LBB98_373:
	v_cmp_ne_u32_e32 vcc, 4, v0
	s_and_saveexec_b64 s[8:9], vcc
	s_cbranch_execz .LBB98_377
; %bb.374:
	s_mov_b32 s10, 0
	v_add_u32_e32 v75, 0x94, v71
	v_add3_u32 v76, v71, s10, 4
	s_mov_b64 s[10:11], 0
	v_mov_b32_e32 v77, v0
.LBB98_375:                             ; =>This Inner Loop Header: Depth=1
	buffer_load_dword v78, v76, s[0:3], 0 offen
	ds_read_b32 v79, v75
	v_add_u32_e32 v77, 1, v77
	v_cmp_lt_u32_e32 vcc, 3, v77
	v_add_u32_e32 v75, 4, v75
	v_add_u32_e32 v76, 4, v76
	s_or_b64 s[10:11], vcc, s[10:11]
	s_waitcnt vmcnt(0) lgkmcnt(0)
	v_fmac_f32_e32 v74, v78, v79
	s_andn2_b64 exec, exec, s[10:11]
	s_cbranch_execnz .LBB98_375
; %bb.376:
	s_or_b64 exec, exec, s[10:11]
.LBB98_377:
	s_or_b64 exec, exec, s[8:9]
	v_mov_b32_e32 v75, 0
	ds_read_b32 v75, v75 offset:20
	s_waitcnt lgkmcnt(0)
	v_mul_f32_e32 v74, v74, v75
	buffer_store_dword v74, off, s[0:3], 0 offset:20
.LBB98_378:
	;; [unrolled: 55-line block ×29, first 2 shown]
	s_or_b64 exec, exec, s[6:7]
	buffer_load_dword v74, off, s[0:3], 0 offset:132
	v_cmp_gt_u32_e64 s[6:7], 33, v0
	s_waitcnt vmcnt(0)
	ds_write_b32 v72, v74
	s_waitcnt lgkmcnt(0)
	; wave barrier
	s_and_saveexec_b64 s[8:9], s[6:7]
	s_cbranch_execz .LBB98_658
; %bb.649:
	s_and_b64 vcc, exec, s[4:5]
	s_cbranch_vccnz .LBB98_651
; %bb.650:
	buffer_load_dword v74, v73, s[0:3], 0 offen
	ds_read_b32 v75, v72
	s_waitcnt vmcnt(0) lgkmcnt(0)
	v_mul_f32_e32 v74, v74, v75
	s_cbranch_execz .LBB98_652
	s_branch .LBB98_653
.LBB98_651:
                                        ; implicit-def: $vgpr74
.LBB98_652:
	ds_read_b32 v74, v72
.LBB98_653:
	v_cmp_ne_u32_e32 vcc, 32, v0
	s_and_saveexec_b64 s[10:11], vcc
	s_cbranch_execz .LBB98_657
; %bb.654:
	s_mov_b32 s12, 0
	v_add_u32_e32 v75, 0x94, v71
	v_add3_u32 v76, v71, s12, 4
	s_mov_b64 s[12:13], 0
	v_mov_b32_e32 v77, v0
.LBB98_655:                             ; =>This Inner Loop Header: Depth=1
	buffer_load_dword v78, v76, s[0:3], 0 offen
	ds_read_b32 v79, v75
	v_add_u32_e32 v77, 1, v77
	v_cmp_lt_u32_e32 vcc, 31, v77
	v_add_u32_e32 v75, 4, v75
	v_add_u32_e32 v76, 4, v76
	s_or_b64 s[12:13], vcc, s[12:13]
	s_waitcnt vmcnt(0) lgkmcnt(0)
	v_fmac_f32_e32 v74, v78, v79
	s_andn2_b64 exec, exec, s[12:13]
	s_cbranch_execnz .LBB98_655
; %bb.656:
	s_or_b64 exec, exec, s[12:13]
.LBB98_657:
	s_or_b64 exec, exec, s[10:11]
	v_mov_b32_e32 v75, 0
	ds_read_b32 v75, v75 offset:132
	s_waitcnt lgkmcnt(0)
	v_mul_f32_e32 v74, v74, v75
	buffer_store_dword v74, off, s[0:3], 0 offset:132
.LBB98_658:
	s_or_b64 exec, exec, s[8:9]
	buffer_load_dword v74, off, s[0:3], 0 offset:136
	v_cmp_ne_u32_e32 vcc, 34, v0
	s_waitcnt vmcnt(0)
	ds_write_b32 v72, v74
	s_waitcnt lgkmcnt(0)
	; wave barrier
	s_and_saveexec_b64 s[8:9], vcc
	s_cbranch_execz .LBB98_668
; %bb.659:
	s_and_b64 vcc, exec, s[4:5]
	s_cbranch_vccnz .LBB98_661
; %bb.660:
	buffer_load_dword v73, v73, s[0:3], 0 offen
	ds_read_b32 v74, v72
	s_waitcnt vmcnt(0) lgkmcnt(0)
	v_mul_f32_e32 v73, v73, v74
	s_cbranch_execz .LBB98_662
	s_branch .LBB98_663
.LBB98_661:
                                        ; implicit-def: $vgpr73
.LBB98_662:
	ds_read_b32 v73, v72
.LBB98_663:
	s_and_saveexec_b64 s[4:5], s[6:7]
	s_cbranch_execz .LBB98_667
; %bb.664:
	s_mov_b32 s6, 0
	v_add_u32_e32 v72, 0x94, v71
	v_add3_u32 v71, v71, s6, 4
	s_mov_b64 s[6:7], 0
.LBB98_665:                             ; =>This Inner Loop Header: Depth=1
	buffer_load_dword v74, v71, s[0:3], 0 offen
	ds_read_b32 v75, v72
	v_add_u32_e32 v0, 1, v0
	v_cmp_lt_u32_e32 vcc, 32, v0
	v_add_u32_e32 v72, 4, v72
	v_add_u32_e32 v71, 4, v71
	s_or_b64 s[6:7], vcc, s[6:7]
	s_waitcnt vmcnt(0) lgkmcnt(0)
	v_fmac_f32_e32 v73, v74, v75
	s_andn2_b64 exec, exec, s[6:7]
	s_cbranch_execnz .LBB98_665
; %bb.666:
	s_or_b64 exec, exec, s[6:7]
.LBB98_667:
	s_or_b64 exec, exec, s[4:5]
	v_mov_b32_e32 v0, 0
	ds_read_b32 v0, v0 offset:136
	s_waitcnt lgkmcnt(0)
	v_mul_f32_e32 v0, v73, v0
	buffer_store_dword v0, off, s[0:3], 0 offset:136
.LBB98_668:
	s_or_b64 exec, exec, s[8:9]
.LBB98_669:
	buffer_load_dword v0, off, s[0:3], 0
	s_waitcnt vmcnt(0)
	flat_store_dword v[1:2], v0
	buffer_load_dword v0, off, s[0:3], 0 offset:4
	s_waitcnt vmcnt(0)
	flat_store_dword v[3:4], v0
	buffer_load_dword v0, off, s[0:3], 0 offset:8
	;; [unrolled: 3-line block ×34, first 2 shown]
	s_waitcnt vmcnt(0)
	flat_store_dword v[69:70], v0
.LBB98_670:
	s_endpgm
	.section	.rodata,"a",@progbits
	.p2align	6, 0x0
	.amdhsa_kernel _ZN9rocsolver6v33100L18trti2_kernel_smallILi35EfPKPfEEv13rocblas_fill_17rocblas_diagonal_T1_iil
		.amdhsa_group_segment_fixed_size 284
		.amdhsa_private_segment_fixed_size 144
		.amdhsa_kernarg_size 32
		.amdhsa_user_sgpr_count 6
		.amdhsa_user_sgpr_private_segment_buffer 1
		.amdhsa_user_sgpr_dispatch_ptr 0
		.amdhsa_user_sgpr_queue_ptr 0
		.amdhsa_user_sgpr_kernarg_segment_ptr 1
		.amdhsa_user_sgpr_dispatch_id 0
		.amdhsa_user_sgpr_flat_scratch_init 0
		.amdhsa_user_sgpr_private_segment_size 0
		.amdhsa_uses_dynamic_stack 0
		.amdhsa_system_sgpr_private_segment_wavefront_offset 1
		.amdhsa_system_sgpr_workgroup_id_x 1
		.amdhsa_system_sgpr_workgroup_id_y 0
		.amdhsa_system_sgpr_workgroup_id_z 0
		.amdhsa_system_sgpr_workgroup_info 0
		.amdhsa_system_vgpr_workitem_id 0
		.amdhsa_next_free_vgpr 80
		.amdhsa_next_free_sgpr 48
		.amdhsa_reserve_vcc 1
		.amdhsa_reserve_flat_scratch 0
		.amdhsa_float_round_mode_32 0
		.amdhsa_float_round_mode_16_64 0
		.amdhsa_float_denorm_mode_32 3
		.amdhsa_float_denorm_mode_16_64 3
		.amdhsa_dx10_clamp 1
		.amdhsa_ieee_mode 1
		.amdhsa_fp16_overflow 0
		.amdhsa_exception_fp_ieee_invalid_op 0
		.amdhsa_exception_fp_denorm_src 0
		.amdhsa_exception_fp_ieee_div_zero 0
		.amdhsa_exception_fp_ieee_overflow 0
		.amdhsa_exception_fp_ieee_underflow 0
		.amdhsa_exception_fp_ieee_inexact 0
		.amdhsa_exception_int_div_zero 0
	.end_amdhsa_kernel
	.section	.text._ZN9rocsolver6v33100L18trti2_kernel_smallILi35EfPKPfEEv13rocblas_fill_17rocblas_diagonal_T1_iil,"axG",@progbits,_ZN9rocsolver6v33100L18trti2_kernel_smallILi35EfPKPfEEv13rocblas_fill_17rocblas_diagonal_T1_iil,comdat
.Lfunc_end98:
	.size	_ZN9rocsolver6v33100L18trti2_kernel_smallILi35EfPKPfEEv13rocblas_fill_17rocblas_diagonal_T1_iil, .Lfunc_end98-_ZN9rocsolver6v33100L18trti2_kernel_smallILi35EfPKPfEEv13rocblas_fill_17rocblas_diagonal_T1_iil
                                        ; -- End function
	.set _ZN9rocsolver6v33100L18trti2_kernel_smallILi35EfPKPfEEv13rocblas_fill_17rocblas_diagonal_T1_iil.num_vgpr, 80
	.set _ZN9rocsolver6v33100L18trti2_kernel_smallILi35EfPKPfEEv13rocblas_fill_17rocblas_diagonal_T1_iil.num_agpr, 0
	.set _ZN9rocsolver6v33100L18trti2_kernel_smallILi35EfPKPfEEv13rocblas_fill_17rocblas_diagonal_T1_iil.numbered_sgpr, 48
	.set _ZN9rocsolver6v33100L18trti2_kernel_smallILi35EfPKPfEEv13rocblas_fill_17rocblas_diagonal_T1_iil.num_named_barrier, 0
	.set _ZN9rocsolver6v33100L18trti2_kernel_smallILi35EfPKPfEEv13rocblas_fill_17rocblas_diagonal_T1_iil.private_seg_size, 144
	.set _ZN9rocsolver6v33100L18trti2_kernel_smallILi35EfPKPfEEv13rocblas_fill_17rocblas_diagonal_T1_iil.uses_vcc, 1
	.set _ZN9rocsolver6v33100L18trti2_kernel_smallILi35EfPKPfEEv13rocblas_fill_17rocblas_diagonal_T1_iil.uses_flat_scratch, 0
	.set _ZN9rocsolver6v33100L18trti2_kernel_smallILi35EfPKPfEEv13rocblas_fill_17rocblas_diagonal_T1_iil.has_dyn_sized_stack, 0
	.set _ZN9rocsolver6v33100L18trti2_kernel_smallILi35EfPKPfEEv13rocblas_fill_17rocblas_diagonal_T1_iil.has_recursion, 0
	.set _ZN9rocsolver6v33100L18trti2_kernel_smallILi35EfPKPfEEv13rocblas_fill_17rocblas_diagonal_T1_iil.has_indirect_call, 0
	.section	.AMDGPU.csdata,"",@progbits
; Kernel info:
; codeLenInByte = 16848
; TotalNumSgprs: 52
; NumVgprs: 80
; ScratchSize: 144
; MemoryBound: 0
; FloatMode: 240
; IeeeMode: 1
; LDSByteSize: 284 bytes/workgroup (compile time only)
; SGPRBlocks: 6
; VGPRBlocks: 19
; NumSGPRsForWavesPerEU: 52
; NumVGPRsForWavesPerEU: 80
; Occupancy: 3
; WaveLimiterHint : 1
; COMPUTE_PGM_RSRC2:SCRATCH_EN: 1
; COMPUTE_PGM_RSRC2:USER_SGPR: 6
; COMPUTE_PGM_RSRC2:TRAP_HANDLER: 0
; COMPUTE_PGM_RSRC2:TGID_X_EN: 1
; COMPUTE_PGM_RSRC2:TGID_Y_EN: 0
; COMPUTE_PGM_RSRC2:TGID_Z_EN: 0
; COMPUTE_PGM_RSRC2:TIDIG_COMP_CNT: 0
	.section	.text._ZN9rocsolver6v33100L18trti2_kernel_smallILi36EfPKPfEEv13rocblas_fill_17rocblas_diagonal_T1_iil,"axG",@progbits,_ZN9rocsolver6v33100L18trti2_kernel_smallILi36EfPKPfEEv13rocblas_fill_17rocblas_diagonal_T1_iil,comdat
	.globl	_ZN9rocsolver6v33100L18trti2_kernel_smallILi36EfPKPfEEv13rocblas_fill_17rocblas_diagonal_T1_iil ; -- Begin function _ZN9rocsolver6v33100L18trti2_kernel_smallILi36EfPKPfEEv13rocblas_fill_17rocblas_diagonal_T1_iil
	.p2align	8
	.type	_ZN9rocsolver6v33100L18trti2_kernel_smallILi36EfPKPfEEv13rocblas_fill_17rocblas_diagonal_T1_iil,@function
_ZN9rocsolver6v33100L18trti2_kernel_smallILi36EfPKPfEEv13rocblas_fill_17rocblas_diagonal_T1_iil: ; @_ZN9rocsolver6v33100L18trti2_kernel_smallILi36EfPKPfEEv13rocblas_fill_17rocblas_diagonal_T1_iil
; %bb.0:
	s_add_u32 s0, s0, s7
	s_addc_u32 s1, s1, 0
	v_cmp_gt_u32_e32 vcc, 36, v0
	s_and_saveexec_b64 s[8:9], vcc
	s_cbranch_execz .LBB99_690
; %bb.1:
	s_load_dwordx2 s[12:13], s[4:5], 0x10
	s_load_dwordx4 s[8:11], s[4:5], 0x0
	s_ashr_i32 s7, s6, 31
	s_lshl_b64 s[6:7], s[6:7], 3
	v_lshlrev_b32_e32 v73, 2, v0
	s_waitcnt lgkmcnt(0)
	s_ashr_i32 s5, s12, 31
	s_add_u32 s6, s10, s6
	s_addc_u32 s7, s11, s7
	s_load_dwordx2 s[6:7], s[6:7], 0x0
	s_mov_b32 s4, s12
	s_lshl_b64 s[4:5], s[4:5], 2
	s_movk_i32 s12, 0x84
	s_waitcnt lgkmcnt(0)
	s_add_u32 s4, s6, s4
	s_addc_u32 s5, s7, s5
	v_mov_b32_e32 v2, s5
	v_add_co_u32_e32 v1, vcc, s4, v73
	v_addc_co_u32_e32 v2, vcc, 0, v2, vcc
	flat_load_dword v5, v[1:2]
	s_mov_b32 s6, s13
	s_ashr_i32 s7, s13, 31
	s_lshl_b64 s[6:7], s[6:7], 2
	v_mov_b32_e32 v4, s7
	v_add_co_u32_e32 v3, vcc, s6, v1
	v_addc_co_u32_e32 v4, vcc, v2, v4, vcc
	s_add_i32 s6, s13, s13
	v_add_u32_e32 v7, s6, v0
	v_ashrrev_i32_e32 v8, 31, v7
	v_mov_b32_e32 v10, s5
	v_mov_b32_e32 v12, s5
	;; [unrolled: 1-line block ×33, first 2 shown]
	s_cmpk_lg_i32 s9, 0x84
	s_cselect_b64 s[10:11], -1, 0
	s_cmpk_eq_i32 s9, 0x84
	s_waitcnt vmcnt(0) lgkmcnt(0)
	buffer_store_dword v5, off, s[0:3], 0
	flat_load_dword v9, v[3:4]
	v_lshlrev_b64 v[5:6], 2, v[7:8]
	v_add_co_u32_e32 v5, vcc, s4, v5
	v_addc_co_u32_e32 v6, vcc, v10, v6, vcc
	s_waitcnt vmcnt(0) lgkmcnt(0)
	buffer_store_dword v9, off, s[0:3], 0 offset:4
	flat_load_dword v11, v[5:6]
	v_add_u32_e32 v9, s13, v7
	v_ashrrev_i32_e32 v10, 31, v9
	v_lshlrev_b64 v[7:8], 2, v[9:10]
	v_add_co_u32_e32 v7, vcc, s4, v7
	v_addc_co_u32_e32 v8, vcc, v12, v8, vcc
	s_waitcnt vmcnt(0) lgkmcnt(0)
	buffer_store_dword v11, off, s[0:3], 0 offset:8
	flat_load_dword v13, v[7:8]
	v_add_u32_e32 v11, s13, v9
	v_ashrrev_i32_e32 v12, 31, v11
	;; [unrolled: 8-line block ×32, first 2 shown]
	v_lshlrev_b64 v[69:70], 2, v[71:72]
	v_add_u32_e32 v71, s13, v71
	v_add_co_u32_e32 v69, vcc, s4, v69
	v_addc_co_u32_e32 v70, vcc, v75, v70, vcc
	v_ashrrev_i32_e32 v72, 31, v71
	v_lshlrev_b64 v[71:72], 2, v[71:72]
	v_add_co_u32_e32 v71, vcc, s4, v71
	v_addc_co_u32_e32 v72, vcc, v75, v72, vcc
	s_waitcnt vmcnt(0) lgkmcnt(0)
	buffer_store_dword v74, off, s[0:3], 0 offset:132
	flat_load_dword v74, v[69:70]
	s_waitcnt vmcnt(0) lgkmcnt(0)
	buffer_store_dword v74, off, s[0:3], 0 offset:136
	flat_load_dword v74, v[71:72]
	s_waitcnt vmcnt(0) lgkmcnt(0)
	buffer_store_dword v74, off, s[0:3], 0 offset:140
	v_mov_b32_e32 v74, -1.0
	s_cbranch_scc1 .LBB99_3
; %bb.2:
	v_mov_b32_e32 v74, 0
	v_lshl_add_u32 v74, v0, 2, v74
	buffer_load_dword v75, v74, s[0:3], 0 offen
	s_waitcnt vmcnt(0)
	v_div_scale_f32 v76, s[4:5], v75, v75, 1.0
	v_div_scale_f32 v77, vcc, 1.0, v75, 1.0
	v_rcp_f32_e32 v78, v76
	v_fma_f32 v79, -v76, v78, 1.0
	v_fmac_f32_e32 v78, v79, v78
	v_mul_f32_e32 v79, v77, v78
	v_fma_f32 v80, -v76, v79, v77
	v_fmac_f32_e32 v79, v80, v78
	v_fma_f32 v76, -v76, v79, v77
	v_div_fmas_f32 v76, v76, v78, v79
	v_div_fixup_f32 v75, v76, v75, 1.0
	buffer_store_dword v75, v74, s[0:3], 0 offen
	v_xor_b32_e32 v74, 0x80000000, v75
.LBB99_3:
	ds_write_b32 v73, v74
	s_cmpk_eq_i32 s8, 0x79
	v_add_u32_e32 v74, 0x90, v73
	v_mov_b32_e32 v75, v73
	s_mov_b64 s[4:5], -1
	s_cbranch_scc1 .LBB99_347
; %bb.4:
	buffer_load_dword v76, off, s[0:3], 0 offset:136
	s_movk_i32 s13, 0x44
	s_movk_i32 s31, 0x48
	;; [unrolled: 1-line block ×16, first 2 shown]
	v_cmp_eq_u32_e64 s[4:5], 35, v0
	s_waitcnt vmcnt(0)
	ds_write_b32 v74, v76
	s_waitcnt lgkmcnt(0)
	; wave barrier
	s_and_saveexec_b64 s[6:7], s[4:5]
	s_cbranch_execz .LBB99_10
; %bb.5:
	s_and_b64 vcc, exec, s[10:11]
	s_cbranch_vccz .LBB99_7
; %bb.6:
	buffer_load_dword v76, v75, s[0:3], 0 offen
	ds_read_b32 v77, v74
	s_waitcnt vmcnt(0) lgkmcnt(0)
	v_mul_f32_e32 v76, v76, v77
	s_cbranch_execz .LBB99_8
	s_branch .LBB99_9
.LBB99_7:
                                        ; implicit-def: $vgpr76
.LBB99_8:
	ds_read_b32 v76, v74
.LBB99_9:
	v_mov_b32_e32 v77, 0
	ds_read_b32 v77, v77 offset:136
	s_waitcnt lgkmcnt(0)
	v_mul_f32_e32 v76, v76, v77
	buffer_store_dword v76, off, s[0:3], 0 offset:136
.LBB99_10:
	s_or_b64 exec, exec, s[6:7]
	buffer_load_dword v76, off, s[0:3], 0 offset:132
	s_or_b32 s14, 0, 4
	s_or_b32 s15, 0, 8
	;; [unrolled: 1-line block ×3, first 2 shown]
	s_mov_b32 s17, 16
	s_mov_b32 s18, 20
	;; [unrolled: 1-line block ×15, first 2 shown]
	v_cmp_lt_u32_e64 s[6:7], 33, v0
	s_waitcnt vmcnt(0)
	ds_write_b32 v74, v76
	s_waitcnt lgkmcnt(0)
	; wave barrier
	s_and_saveexec_b64 s[8:9], s[6:7]
	s_cbranch_execz .LBB99_16
; %bb.11:
	s_andn2_b64 vcc, exec, s[10:11]
	s_cbranch_vccnz .LBB99_13
; %bb.12:
	buffer_load_dword v76, v75, s[0:3], 0 offen
	ds_read_b32 v77, v74
	s_waitcnt vmcnt(0) lgkmcnt(0)
	v_mul_f32_e32 v76, v76, v77
	s_cbranch_execz .LBB99_14
	s_branch .LBB99_15
.LBB99_13:
                                        ; implicit-def: $vgpr76
.LBB99_14:
	ds_read_b32 v76, v74
.LBB99_15:
	buffer_load_dword v79, off, s[0:3], 0 offset:136
	v_mov_b32_e32 v77, 0
	ds_read2_b32 v[77:78], v77 offset0:33 offset1:70
	s_waitcnt vmcnt(0) lgkmcnt(0)
	v_fma_f32 v78, v79, v78, v76
	v_cndmask_b32_e64 v76, v76, v78, s[4:5]
	v_mul_f32_e32 v76, v76, v77
	buffer_store_dword v76, off, s[0:3], 0 offset:132
.LBB99_16:
	s_or_b64 exec, exec, s[8:9]
	buffer_load_dword v76, off, s[0:3], 0 offset:128
	v_cmp_lt_u32_e64 s[4:5], 32, v0
	s_waitcnt vmcnt(0)
	ds_write_b32 v74, v76
	s_waitcnt lgkmcnt(0)
	; wave barrier
	s_and_saveexec_b64 s[8:9], s[4:5]
	s_cbranch_execz .LBB99_26
; %bb.17:
	s_andn2_b64 vcc, exec, s[10:11]
	s_cbranch_vccnz .LBB99_19
; %bb.18:
	buffer_load_dword v76, v75, s[0:3], 0 offen
	ds_read_b32 v77, v74
	s_waitcnt vmcnt(0) lgkmcnt(0)
	v_mul_f32_e32 v76, v76, v77
	s_cbranch_execz .LBB99_20
	s_branch .LBB99_21
.LBB99_19:
                                        ; implicit-def: $vgpr76
.LBB99_20:
	ds_read_b32 v76, v74
.LBB99_21:
	s_and_saveexec_b64 s[12:13], s[6:7]
	s_cbranch_execz .LBB99_25
; %bb.22:
	v_subrev_u32_e32 v77, 33, v0
	s_movk_i32 s48, 0x114
	s_mov_b64 s[6:7], 0
.LBB99_23:                              ; =>This Inner Loop Header: Depth=1
	v_mov_b32_e32 v78, s47
	buffer_load_dword v78, v78, s[0:3], 0 offen
	v_mov_b32_e32 v79, s48
	ds_read_b32 v79, v79
	v_add_u32_e32 v77, -1, v77
	s_add_i32 s48, s48, 4
	s_add_i32 s47, s47, 4
	v_cmp_eq_u32_e32 vcc, 0, v77
	s_or_b64 s[6:7], vcc, s[6:7]
	s_waitcnt vmcnt(0) lgkmcnt(0)
	v_fmac_f32_e32 v76, v78, v79
	s_andn2_b64 exec, exec, s[6:7]
	s_cbranch_execnz .LBB99_23
; %bb.24:
	s_or_b64 exec, exec, s[6:7]
.LBB99_25:
	s_or_b64 exec, exec, s[12:13]
	v_mov_b32_e32 v77, 0
	ds_read_b32 v77, v77 offset:128
	s_waitcnt lgkmcnt(0)
	v_mul_f32_e32 v76, v76, v77
	buffer_store_dword v76, off, s[0:3], 0 offset:128
.LBB99_26:
	s_or_b64 exec, exec, s[8:9]
	buffer_load_dword v76, off, s[0:3], 0 offset:124
	v_cmp_lt_u32_e64 s[6:7], 31, v0
	s_waitcnt vmcnt(0)
	ds_write_b32 v74, v76
	s_waitcnt lgkmcnt(0)
	; wave barrier
	s_and_saveexec_b64 s[8:9], s[6:7]
	s_cbranch_execz .LBB99_36
; %bb.27:
	s_andn2_b64 vcc, exec, s[10:11]
	s_cbranch_vccnz .LBB99_29
; %bb.28:
	buffer_load_dword v76, v75, s[0:3], 0 offen
	ds_read_b32 v77, v74
	s_waitcnt vmcnt(0) lgkmcnt(0)
	v_mul_f32_e32 v76, v76, v77
	s_cbranch_execz .LBB99_30
	s_branch .LBB99_31
.LBB99_29:
                                        ; implicit-def: $vgpr76
.LBB99_30:
	ds_read_b32 v76, v74
.LBB99_31:
	s_and_saveexec_b64 s[12:13], s[4:5]
	s_cbranch_execz .LBB99_35
; %bb.32:
	v_subrev_u32_e32 v77, 32, v0
	s_movk_i32 s47, 0x110
	s_mov_b64 s[4:5], 0
.LBB99_33:                              ; =>This Inner Loop Header: Depth=1
	v_mov_b32_e32 v78, s46
	buffer_load_dword v78, v78, s[0:3], 0 offen
	v_mov_b32_e32 v79, s47
	ds_read_b32 v79, v79
	v_add_u32_e32 v77, -1, v77
	s_add_i32 s47, s47, 4
	s_add_i32 s46, s46, 4
	v_cmp_eq_u32_e32 vcc, 0, v77
	s_or_b64 s[4:5], vcc, s[4:5]
	s_waitcnt vmcnt(0) lgkmcnt(0)
	v_fmac_f32_e32 v76, v78, v79
	s_andn2_b64 exec, exec, s[4:5]
	s_cbranch_execnz .LBB99_33
; %bb.34:
	s_or_b64 exec, exec, s[4:5]
.LBB99_35:
	s_or_b64 exec, exec, s[12:13]
	v_mov_b32_e32 v77, 0
	ds_read_b32 v77, v77 offset:124
	s_waitcnt lgkmcnt(0)
	v_mul_f32_e32 v76, v76, v77
	buffer_store_dword v76, off, s[0:3], 0 offset:124
.LBB99_36:
	;; [unrolled: 54-line block ×8, first 2 shown]
	s_or_b64 exec, exec, s[8:9]
	buffer_load_dword v76, off, s[0:3], 0 offset:96
	v_cmp_lt_u32_e64 s[4:5], 24, v0
	s_waitcnt vmcnt(0)
	ds_write_b32 v74, v76
	s_waitcnt lgkmcnt(0)
	; wave barrier
	s_and_saveexec_b64 s[8:9], s[4:5]
	s_cbranch_execz .LBB99_106
; %bb.97:
	s_andn2_b64 vcc, exec, s[10:11]
	s_cbranch_vccnz .LBB99_99
; %bb.98:
	buffer_load_dword v76, v75, s[0:3], 0 offen
	ds_read_b32 v77, v74
	s_waitcnt vmcnt(0) lgkmcnt(0)
	v_mul_f32_e32 v76, v76, v77
	s_cbranch_execz .LBB99_100
	s_branch .LBB99_101
.LBB99_99:
                                        ; implicit-def: $vgpr76
.LBB99_100:
	ds_read_b32 v76, v74
.LBB99_101:
	s_and_saveexec_b64 s[12:13], s[6:7]
	s_cbranch_execz .LBB99_105
; %bb.102:
	v_subrev_u32_e32 v77, 25, v0
	s_movk_i32 s40, 0xf4
	s_mov_b64 s[6:7], 0
.LBB99_103:                             ; =>This Inner Loop Header: Depth=1
	v_mov_b32_e32 v78, s39
	buffer_load_dword v78, v78, s[0:3], 0 offen
	v_mov_b32_e32 v79, s40
	ds_read_b32 v79, v79
	v_add_u32_e32 v77, -1, v77
	s_add_i32 s40, s40, 4
	s_add_i32 s39, s39, 4
	v_cmp_eq_u32_e32 vcc, 0, v77
	s_or_b64 s[6:7], vcc, s[6:7]
	s_waitcnt vmcnt(0) lgkmcnt(0)
	v_fmac_f32_e32 v76, v78, v79
	s_andn2_b64 exec, exec, s[6:7]
	s_cbranch_execnz .LBB99_103
; %bb.104:
	s_or_b64 exec, exec, s[6:7]
.LBB99_105:
	s_or_b64 exec, exec, s[12:13]
	v_mov_b32_e32 v77, 0
	ds_read_b32 v77, v77 offset:96
	s_waitcnt lgkmcnt(0)
	v_mul_f32_e32 v76, v76, v77
	buffer_store_dword v76, off, s[0:3], 0 offset:96
.LBB99_106:
	s_or_b64 exec, exec, s[8:9]
	buffer_load_dword v76, off, s[0:3], 0 offset:92
	v_cmp_lt_u32_e64 s[6:7], 23, v0
	s_waitcnt vmcnt(0)
	ds_write_b32 v74, v76
	s_waitcnt lgkmcnt(0)
	; wave barrier
	s_and_saveexec_b64 s[8:9], s[6:7]
	s_cbranch_execz .LBB99_116
; %bb.107:
	s_andn2_b64 vcc, exec, s[10:11]
	s_cbranch_vccnz .LBB99_109
; %bb.108:
	buffer_load_dword v76, v75, s[0:3], 0 offen
	ds_read_b32 v77, v74
	s_waitcnt vmcnt(0) lgkmcnt(0)
	v_mul_f32_e32 v76, v76, v77
	s_cbranch_execz .LBB99_110
	s_branch .LBB99_111
.LBB99_109:
                                        ; implicit-def: $vgpr76
.LBB99_110:
	ds_read_b32 v76, v74
.LBB99_111:
	s_and_saveexec_b64 s[12:13], s[4:5]
	s_cbranch_execz .LBB99_115
; %bb.112:
	v_subrev_u32_e32 v77, 24, v0
	s_movk_i32 s39, 0xf0
	s_mov_b64 s[4:5], 0
.LBB99_113:                             ; =>This Inner Loop Header: Depth=1
	v_mov_b32_e32 v78, s38
	buffer_load_dword v78, v78, s[0:3], 0 offen
	v_mov_b32_e32 v79, s39
	ds_read_b32 v79, v79
	v_add_u32_e32 v77, -1, v77
	s_add_i32 s39, s39, 4
	s_add_i32 s38, s38, 4
	v_cmp_eq_u32_e32 vcc, 0, v77
	s_or_b64 s[4:5], vcc, s[4:5]
	s_waitcnt vmcnt(0) lgkmcnt(0)
	v_fmac_f32_e32 v76, v78, v79
	s_andn2_b64 exec, exec, s[4:5]
	s_cbranch_execnz .LBB99_113
; %bb.114:
	s_or_b64 exec, exec, s[4:5]
.LBB99_115:
	s_or_b64 exec, exec, s[12:13]
	v_mov_b32_e32 v77, 0
	ds_read_b32 v77, v77 offset:92
	s_waitcnt lgkmcnt(0)
	v_mul_f32_e32 v76, v76, v77
	buffer_store_dword v76, off, s[0:3], 0 offset:92
.LBB99_116:
	;; [unrolled: 54-line block ×9, first 2 shown]
	s_or_b64 exec, exec, s[8:9]
	buffer_load_dword v76, off, s[0:3], 0 offset:60
	v_cmp_lt_u32_e64 s[6:7], 15, v0
	s_waitcnt vmcnt(0)
	ds_write_b32 v74, v76
	s_waitcnt lgkmcnt(0)
	; wave barrier
	s_and_saveexec_b64 s[8:9], s[6:7]
	s_cbranch_execz .LBB99_196
; %bb.187:
	s_andn2_b64 vcc, exec, s[10:11]
	s_cbranch_vccnz .LBB99_189
; %bb.188:
	buffer_load_dword v76, v75, s[0:3], 0 offen
	ds_read_b32 v77, v74
	s_waitcnt vmcnt(0) lgkmcnt(0)
	v_mul_f32_e32 v76, v76, v77
	s_cbranch_execz .LBB99_190
	s_branch .LBB99_191
.LBB99_189:
                                        ; implicit-def: $vgpr76
.LBB99_190:
	ds_read_b32 v76, v74
.LBB99_191:
	s_and_saveexec_b64 s[12:13], s[4:5]
	s_cbranch_execz .LBB99_195
; %bb.192:
	v_add_u32_e32 v77, -16, v0
	s_movk_i32 s30, 0xd0
	s_mov_b64 s[4:5], 0
.LBB99_193:                             ; =>This Inner Loop Header: Depth=1
	v_mov_b32_e32 v78, s29
	buffer_load_dword v78, v78, s[0:3], 0 offen
	v_mov_b32_e32 v79, s30
	ds_read_b32 v79, v79
	v_add_u32_e32 v77, -1, v77
	s_add_i32 s30, s30, 4
	s_add_i32 s29, s29, 4
	v_cmp_eq_u32_e32 vcc, 0, v77
	s_or_b64 s[4:5], vcc, s[4:5]
	s_waitcnt vmcnt(0) lgkmcnt(0)
	v_fmac_f32_e32 v76, v78, v79
	s_andn2_b64 exec, exec, s[4:5]
	s_cbranch_execnz .LBB99_193
; %bb.194:
	s_or_b64 exec, exec, s[4:5]
.LBB99_195:
	s_or_b64 exec, exec, s[12:13]
	v_mov_b32_e32 v77, 0
	ds_read_b32 v77, v77 offset:60
	s_waitcnt lgkmcnt(0)
	v_mul_f32_e32 v76, v76, v77
	buffer_store_dword v76, off, s[0:3], 0 offset:60
.LBB99_196:
	s_or_b64 exec, exec, s[8:9]
	buffer_load_dword v76, off, s[0:3], 0 offset:56
	v_cmp_lt_u32_e64 s[4:5], 14, v0
	s_waitcnt vmcnt(0)
	ds_write_b32 v74, v76
	s_waitcnt lgkmcnt(0)
	; wave barrier
	s_and_saveexec_b64 s[8:9], s[4:5]
	s_cbranch_execz .LBB99_206
; %bb.197:
	s_andn2_b64 vcc, exec, s[10:11]
	s_cbranch_vccnz .LBB99_199
; %bb.198:
	buffer_load_dword v76, v75, s[0:3], 0 offen
	ds_read_b32 v77, v74
	s_waitcnt vmcnt(0) lgkmcnt(0)
	v_mul_f32_e32 v76, v76, v77
	s_cbranch_execz .LBB99_200
	s_branch .LBB99_201
.LBB99_199:
                                        ; implicit-def: $vgpr76
.LBB99_200:
	ds_read_b32 v76, v74
.LBB99_201:
	s_and_saveexec_b64 s[12:13], s[6:7]
	s_cbranch_execz .LBB99_205
; %bb.202:
	v_add_u32_e32 v77, -15, v0
	s_movk_i32 s29, 0xcc
	s_mov_b64 s[6:7], 0
.LBB99_203:                             ; =>This Inner Loop Header: Depth=1
	v_mov_b32_e32 v78, s28
	buffer_load_dword v78, v78, s[0:3], 0 offen
	v_mov_b32_e32 v79, s29
	ds_read_b32 v79, v79
	v_add_u32_e32 v77, -1, v77
	s_add_i32 s29, s29, 4
	s_add_i32 s28, s28, 4
	v_cmp_eq_u32_e32 vcc, 0, v77
	s_or_b64 s[6:7], vcc, s[6:7]
	s_waitcnt vmcnt(0) lgkmcnt(0)
	v_fmac_f32_e32 v76, v78, v79
	s_andn2_b64 exec, exec, s[6:7]
	s_cbranch_execnz .LBB99_203
; %bb.204:
	s_or_b64 exec, exec, s[6:7]
.LBB99_205:
	s_or_b64 exec, exec, s[12:13]
	v_mov_b32_e32 v77, 0
	ds_read_b32 v77, v77 offset:56
	s_waitcnt lgkmcnt(0)
	v_mul_f32_e32 v76, v76, v77
	buffer_store_dword v76, off, s[0:3], 0 offset:56
.LBB99_206:
	s_or_b64 exec, exec, s[8:9]
	buffer_load_dword v76, off, s[0:3], 0 offset:52
	v_cmp_lt_u32_e64 s[6:7], 13, v0
	s_waitcnt vmcnt(0)
	ds_write_b32 v74, v76
	s_waitcnt lgkmcnt(0)
	; wave barrier
	s_and_saveexec_b64 s[8:9], s[6:7]
	s_cbranch_execz .LBB99_216
; %bb.207:
	s_andn2_b64 vcc, exec, s[10:11]
	s_cbranch_vccnz .LBB99_209
; %bb.208:
	buffer_load_dword v76, v75, s[0:3], 0 offen
	ds_read_b32 v77, v74
	s_waitcnt vmcnt(0) lgkmcnt(0)
	v_mul_f32_e32 v76, v76, v77
	s_cbranch_execz .LBB99_210
	s_branch .LBB99_211
.LBB99_209:
                                        ; implicit-def: $vgpr76
.LBB99_210:
	ds_read_b32 v76, v74
.LBB99_211:
	s_and_saveexec_b64 s[12:13], s[4:5]
	s_cbranch_execz .LBB99_215
; %bb.212:
	v_add_u32_e32 v77, -14, v0
	s_movk_i32 s28, 0xc8
	s_mov_b64 s[4:5], 0
.LBB99_213:                             ; =>This Inner Loop Header: Depth=1
	v_mov_b32_e32 v78, s27
	buffer_load_dword v78, v78, s[0:3], 0 offen
	v_mov_b32_e32 v79, s28
	ds_read_b32 v79, v79
	v_add_u32_e32 v77, -1, v77
	s_add_i32 s28, s28, 4
	s_add_i32 s27, s27, 4
	v_cmp_eq_u32_e32 vcc, 0, v77
	s_or_b64 s[4:5], vcc, s[4:5]
	s_waitcnt vmcnt(0) lgkmcnt(0)
	v_fmac_f32_e32 v76, v78, v79
	s_andn2_b64 exec, exec, s[4:5]
	s_cbranch_execnz .LBB99_213
; %bb.214:
	s_or_b64 exec, exec, s[4:5]
.LBB99_215:
	s_or_b64 exec, exec, s[12:13]
	v_mov_b32_e32 v77, 0
	ds_read_b32 v77, v77 offset:52
	s_waitcnt lgkmcnt(0)
	v_mul_f32_e32 v76, v76, v77
	buffer_store_dword v76, off, s[0:3], 0 offset:52
.LBB99_216:
	s_or_b64 exec, exec, s[8:9]
	buffer_load_dword v76, off, s[0:3], 0 offset:48
	v_cmp_lt_u32_e64 s[4:5], 12, v0
	s_waitcnt vmcnt(0)
	ds_write_b32 v74, v76
	s_waitcnt lgkmcnt(0)
	; wave barrier
	s_and_saveexec_b64 s[8:9], s[4:5]
	s_cbranch_execz .LBB99_226
; %bb.217:
	s_andn2_b64 vcc, exec, s[10:11]
	s_cbranch_vccnz .LBB99_219
; %bb.218:
	buffer_load_dword v76, v75, s[0:3], 0 offen
	ds_read_b32 v77, v74
	s_waitcnt vmcnt(0) lgkmcnt(0)
	v_mul_f32_e32 v76, v76, v77
	s_cbranch_execz .LBB99_220
	s_branch .LBB99_221
.LBB99_219:
                                        ; implicit-def: $vgpr76
.LBB99_220:
	ds_read_b32 v76, v74
.LBB99_221:
	s_and_saveexec_b64 s[12:13], s[6:7]
	s_cbranch_execz .LBB99_225
; %bb.222:
	v_add_u32_e32 v77, -13, v0
	s_movk_i32 s27, 0xc4
	s_mov_b64 s[6:7], 0
.LBB99_223:                             ; =>This Inner Loop Header: Depth=1
	v_mov_b32_e32 v78, s26
	buffer_load_dword v78, v78, s[0:3], 0 offen
	v_mov_b32_e32 v79, s27
	ds_read_b32 v79, v79
	v_add_u32_e32 v77, -1, v77
	s_add_i32 s27, s27, 4
	s_add_i32 s26, s26, 4
	v_cmp_eq_u32_e32 vcc, 0, v77
	s_or_b64 s[6:7], vcc, s[6:7]
	s_waitcnt vmcnt(0) lgkmcnt(0)
	v_fmac_f32_e32 v76, v78, v79
	s_andn2_b64 exec, exec, s[6:7]
	s_cbranch_execnz .LBB99_223
; %bb.224:
	s_or_b64 exec, exec, s[6:7]
.LBB99_225:
	s_or_b64 exec, exec, s[12:13]
	v_mov_b32_e32 v77, 0
	ds_read_b32 v77, v77 offset:48
	s_waitcnt lgkmcnt(0)
	v_mul_f32_e32 v76, v76, v77
	buffer_store_dword v76, off, s[0:3], 0 offset:48
.LBB99_226:
	s_or_b64 exec, exec, s[8:9]
	buffer_load_dword v76, off, s[0:3], 0 offset:44
	v_cmp_lt_u32_e64 s[6:7], 11, v0
	s_waitcnt vmcnt(0)
	ds_write_b32 v74, v76
	s_waitcnt lgkmcnt(0)
	; wave barrier
	s_and_saveexec_b64 s[8:9], s[6:7]
	s_cbranch_execz .LBB99_236
; %bb.227:
	s_andn2_b64 vcc, exec, s[10:11]
	s_cbranch_vccnz .LBB99_229
; %bb.228:
	buffer_load_dword v76, v75, s[0:3], 0 offen
	ds_read_b32 v77, v74
	s_waitcnt vmcnt(0) lgkmcnt(0)
	v_mul_f32_e32 v76, v76, v77
	s_cbranch_execz .LBB99_230
	s_branch .LBB99_231
.LBB99_229:
                                        ; implicit-def: $vgpr76
.LBB99_230:
	ds_read_b32 v76, v74
.LBB99_231:
	s_and_saveexec_b64 s[12:13], s[4:5]
	s_cbranch_execz .LBB99_235
; %bb.232:
	v_add_u32_e32 v77, -12, v0
	s_movk_i32 s26, 0xc0
	s_mov_b64 s[4:5], 0
.LBB99_233:                             ; =>This Inner Loop Header: Depth=1
	v_mov_b32_e32 v78, s25
	buffer_load_dword v78, v78, s[0:3], 0 offen
	v_mov_b32_e32 v79, s26
	ds_read_b32 v79, v79
	v_add_u32_e32 v77, -1, v77
	s_add_i32 s26, s26, 4
	s_add_i32 s25, s25, 4
	v_cmp_eq_u32_e32 vcc, 0, v77
	s_or_b64 s[4:5], vcc, s[4:5]
	s_waitcnt vmcnt(0) lgkmcnt(0)
	v_fmac_f32_e32 v76, v78, v79
	s_andn2_b64 exec, exec, s[4:5]
	s_cbranch_execnz .LBB99_233
; %bb.234:
	s_or_b64 exec, exec, s[4:5]
.LBB99_235:
	s_or_b64 exec, exec, s[12:13]
	v_mov_b32_e32 v77, 0
	ds_read_b32 v77, v77 offset:44
	s_waitcnt lgkmcnt(0)
	v_mul_f32_e32 v76, v76, v77
	buffer_store_dword v76, off, s[0:3], 0 offset:44
.LBB99_236:
	s_or_b64 exec, exec, s[8:9]
	buffer_load_dword v76, off, s[0:3], 0 offset:40
	v_cmp_lt_u32_e64 s[4:5], 10, v0
	s_waitcnt vmcnt(0)
	ds_write_b32 v74, v76
	s_waitcnt lgkmcnt(0)
	; wave barrier
	s_and_saveexec_b64 s[8:9], s[4:5]
	s_cbranch_execz .LBB99_246
; %bb.237:
	s_andn2_b64 vcc, exec, s[10:11]
	s_cbranch_vccnz .LBB99_239
; %bb.238:
	buffer_load_dword v76, v75, s[0:3], 0 offen
	ds_read_b32 v77, v74
	s_waitcnt vmcnt(0) lgkmcnt(0)
	v_mul_f32_e32 v76, v76, v77
	s_cbranch_execz .LBB99_240
	s_branch .LBB99_241
.LBB99_239:
                                        ; implicit-def: $vgpr76
.LBB99_240:
	ds_read_b32 v76, v74
.LBB99_241:
	s_and_saveexec_b64 s[12:13], s[6:7]
	s_cbranch_execz .LBB99_245
; %bb.242:
	v_add_u32_e32 v77, -11, v0
	s_movk_i32 s25, 0xbc
	s_mov_b64 s[6:7], 0
.LBB99_243:                             ; =>This Inner Loop Header: Depth=1
	v_mov_b32_e32 v78, s24
	buffer_load_dword v78, v78, s[0:3], 0 offen
	v_mov_b32_e32 v79, s25
	ds_read_b32 v79, v79
	v_add_u32_e32 v77, -1, v77
	s_add_i32 s25, s25, 4
	s_add_i32 s24, s24, 4
	v_cmp_eq_u32_e32 vcc, 0, v77
	s_or_b64 s[6:7], vcc, s[6:7]
	s_waitcnt vmcnt(0) lgkmcnt(0)
	v_fmac_f32_e32 v76, v78, v79
	s_andn2_b64 exec, exec, s[6:7]
	s_cbranch_execnz .LBB99_243
; %bb.244:
	s_or_b64 exec, exec, s[6:7]
.LBB99_245:
	s_or_b64 exec, exec, s[12:13]
	v_mov_b32_e32 v77, 0
	ds_read_b32 v77, v77 offset:40
	s_waitcnt lgkmcnt(0)
	v_mul_f32_e32 v76, v76, v77
	buffer_store_dword v76, off, s[0:3], 0 offset:40
.LBB99_246:
	s_or_b64 exec, exec, s[8:9]
	buffer_load_dword v76, off, s[0:3], 0 offset:36
	v_cmp_lt_u32_e64 s[6:7], 9, v0
	s_waitcnt vmcnt(0)
	ds_write_b32 v74, v76
	s_waitcnt lgkmcnt(0)
	; wave barrier
	s_and_saveexec_b64 s[8:9], s[6:7]
	s_cbranch_execz .LBB99_256
; %bb.247:
	s_andn2_b64 vcc, exec, s[10:11]
	s_cbranch_vccnz .LBB99_249
; %bb.248:
	buffer_load_dword v76, v75, s[0:3], 0 offen
	ds_read_b32 v77, v74
	s_waitcnt vmcnt(0) lgkmcnt(0)
	v_mul_f32_e32 v76, v76, v77
	s_cbranch_execz .LBB99_250
	s_branch .LBB99_251
.LBB99_249:
                                        ; implicit-def: $vgpr76
.LBB99_250:
	ds_read_b32 v76, v74
.LBB99_251:
	s_and_saveexec_b64 s[12:13], s[4:5]
	s_cbranch_execz .LBB99_255
; %bb.252:
	v_add_u32_e32 v77, -10, v0
	s_movk_i32 s24, 0xb8
	s_mov_b64 s[4:5], 0
.LBB99_253:                             ; =>This Inner Loop Header: Depth=1
	v_mov_b32_e32 v78, s23
	buffer_load_dword v78, v78, s[0:3], 0 offen
	v_mov_b32_e32 v79, s24
	ds_read_b32 v79, v79
	v_add_u32_e32 v77, -1, v77
	s_add_i32 s24, s24, 4
	s_add_i32 s23, s23, 4
	v_cmp_eq_u32_e32 vcc, 0, v77
	s_or_b64 s[4:5], vcc, s[4:5]
	s_waitcnt vmcnt(0) lgkmcnt(0)
	v_fmac_f32_e32 v76, v78, v79
	s_andn2_b64 exec, exec, s[4:5]
	s_cbranch_execnz .LBB99_253
; %bb.254:
	s_or_b64 exec, exec, s[4:5]
.LBB99_255:
	s_or_b64 exec, exec, s[12:13]
	v_mov_b32_e32 v77, 0
	ds_read_b32 v77, v77 offset:36
	s_waitcnt lgkmcnt(0)
	v_mul_f32_e32 v76, v76, v77
	buffer_store_dword v76, off, s[0:3], 0 offset:36
.LBB99_256:
	s_or_b64 exec, exec, s[8:9]
	buffer_load_dword v76, off, s[0:3], 0 offset:32
	v_cmp_lt_u32_e64 s[4:5], 8, v0
	s_waitcnt vmcnt(0)
	ds_write_b32 v74, v76
	s_waitcnt lgkmcnt(0)
	; wave barrier
	s_and_saveexec_b64 s[8:9], s[4:5]
	s_cbranch_execz .LBB99_266
; %bb.257:
	s_andn2_b64 vcc, exec, s[10:11]
	s_cbranch_vccnz .LBB99_259
; %bb.258:
	buffer_load_dword v76, v75, s[0:3], 0 offen
	ds_read_b32 v77, v74
	s_waitcnt vmcnt(0) lgkmcnt(0)
	v_mul_f32_e32 v76, v76, v77
	s_cbranch_execz .LBB99_260
	s_branch .LBB99_261
.LBB99_259:
                                        ; implicit-def: $vgpr76
.LBB99_260:
	ds_read_b32 v76, v74
.LBB99_261:
	s_and_saveexec_b64 s[12:13], s[6:7]
	s_cbranch_execz .LBB99_265
; %bb.262:
	v_add_u32_e32 v77, -9, v0
	s_movk_i32 s23, 0xb4
	s_mov_b64 s[6:7], 0
.LBB99_263:                             ; =>This Inner Loop Header: Depth=1
	v_mov_b32_e32 v78, s22
	buffer_load_dword v78, v78, s[0:3], 0 offen
	v_mov_b32_e32 v79, s23
	ds_read_b32 v79, v79
	v_add_u32_e32 v77, -1, v77
	s_add_i32 s23, s23, 4
	s_add_i32 s22, s22, 4
	v_cmp_eq_u32_e32 vcc, 0, v77
	s_or_b64 s[6:7], vcc, s[6:7]
	s_waitcnt vmcnt(0) lgkmcnt(0)
	v_fmac_f32_e32 v76, v78, v79
	s_andn2_b64 exec, exec, s[6:7]
	s_cbranch_execnz .LBB99_263
; %bb.264:
	s_or_b64 exec, exec, s[6:7]
.LBB99_265:
	s_or_b64 exec, exec, s[12:13]
	v_mov_b32_e32 v77, 0
	ds_read_b32 v77, v77 offset:32
	s_waitcnt lgkmcnt(0)
	v_mul_f32_e32 v76, v76, v77
	buffer_store_dword v76, off, s[0:3], 0 offset:32
.LBB99_266:
	s_or_b64 exec, exec, s[8:9]
	buffer_load_dword v76, off, s[0:3], 0 offset:28
	v_cmp_lt_u32_e64 s[6:7], 7, v0
	s_waitcnt vmcnt(0)
	ds_write_b32 v74, v76
	s_waitcnt lgkmcnt(0)
	; wave barrier
	s_and_saveexec_b64 s[8:9], s[6:7]
	s_cbranch_execz .LBB99_276
; %bb.267:
	s_andn2_b64 vcc, exec, s[10:11]
	s_cbranch_vccnz .LBB99_269
; %bb.268:
	buffer_load_dword v76, v75, s[0:3], 0 offen
	ds_read_b32 v77, v74
	s_waitcnt vmcnt(0) lgkmcnt(0)
	v_mul_f32_e32 v76, v76, v77
	s_cbranch_execz .LBB99_270
	s_branch .LBB99_271
.LBB99_269:
                                        ; implicit-def: $vgpr76
.LBB99_270:
	ds_read_b32 v76, v74
.LBB99_271:
	s_and_saveexec_b64 s[12:13], s[4:5]
	s_cbranch_execz .LBB99_275
; %bb.272:
	v_add_u32_e32 v77, -8, v0
	s_movk_i32 s22, 0xb0
	s_mov_b64 s[4:5], 0
.LBB99_273:                             ; =>This Inner Loop Header: Depth=1
	v_mov_b32_e32 v78, s21
	buffer_load_dword v78, v78, s[0:3], 0 offen
	v_mov_b32_e32 v79, s22
	ds_read_b32 v79, v79
	v_add_u32_e32 v77, -1, v77
	s_add_i32 s22, s22, 4
	s_add_i32 s21, s21, 4
	v_cmp_eq_u32_e32 vcc, 0, v77
	s_or_b64 s[4:5], vcc, s[4:5]
	s_waitcnt vmcnt(0) lgkmcnt(0)
	v_fmac_f32_e32 v76, v78, v79
	s_andn2_b64 exec, exec, s[4:5]
	s_cbranch_execnz .LBB99_273
; %bb.274:
	s_or_b64 exec, exec, s[4:5]
.LBB99_275:
	s_or_b64 exec, exec, s[12:13]
	v_mov_b32_e32 v77, 0
	ds_read_b32 v77, v77 offset:28
	s_waitcnt lgkmcnt(0)
	v_mul_f32_e32 v76, v76, v77
	buffer_store_dword v76, off, s[0:3], 0 offset:28
.LBB99_276:
	s_or_b64 exec, exec, s[8:9]
	buffer_load_dword v76, off, s[0:3], 0 offset:24
	v_cmp_lt_u32_e64 s[4:5], 6, v0
	s_waitcnt vmcnt(0)
	ds_write_b32 v74, v76
	s_waitcnt lgkmcnt(0)
	; wave barrier
	s_and_saveexec_b64 s[8:9], s[4:5]
	s_cbranch_execz .LBB99_286
; %bb.277:
	s_andn2_b64 vcc, exec, s[10:11]
	s_cbranch_vccnz .LBB99_279
; %bb.278:
	buffer_load_dword v76, v75, s[0:3], 0 offen
	ds_read_b32 v77, v74
	s_waitcnt vmcnt(0) lgkmcnt(0)
	v_mul_f32_e32 v76, v76, v77
	s_cbranch_execz .LBB99_280
	s_branch .LBB99_281
.LBB99_279:
                                        ; implicit-def: $vgpr76
.LBB99_280:
	ds_read_b32 v76, v74
.LBB99_281:
	s_and_saveexec_b64 s[12:13], s[6:7]
	s_cbranch_execz .LBB99_285
; %bb.282:
	v_add_u32_e32 v77, -7, v0
	s_movk_i32 s21, 0xac
	s_mov_b64 s[6:7], 0
.LBB99_283:                             ; =>This Inner Loop Header: Depth=1
	v_mov_b32_e32 v78, s20
	buffer_load_dword v78, v78, s[0:3], 0 offen
	v_mov_b32_e32 v79, s21
	ds_read_b32 v79, v79
	v_add_u32_e32 v77, -1, v77
	s_add_i32 s21, s21, 4
	s_add_i32 s20, s20, 4
	v_cmp_eq_u32_e32 vcc, 0, v77
	s_or_b64 s[6:7], vcc, s[6:7]
	s_waitcnt vmcnt(0) lgkmcnt(0)
	v_fmac_f32_e32 v76, v78, v79
	s_andn2_b64 exec, exec, s[6:7]
	s_cbranch_execnz .LBB99_283
; %bb.284:
	s_or_b64 exec, exec, s[6:7]
.LBB99_285:
	s_or_b64 exec, exec, s[12:13]
	v_mov_b32_e32 v77, 0
	ds_read_b32 v77, v77 offset:24
	s_waitcnt lgkmcnt(0)
	v_mul_f32_e32 v76, v76, v77
	buffer_store_dword v76, off, s[0:3], 0 offset:24
.LBB99_286:
	s_or_b64 exec, exec, s[8:9]
	buffer_load_dword v76, off, s[0:3], 0 offset:20
	v_cmp_lt_u32_e64 s[6:7], 5, v0
	s_waitcnt vmcnt(0)
	ds_write_b32 v74, v76
	s_waitcnt lgkmcnt(0)
	; wave barrier
	s_and_saveexec_b64 s[8:9], s[6:7]
	s_cbranch_execz .LBB99_296
; %bb.287:
	s_andn2_b64 vcc, exec, s[10:11]
	s_cbranch_vccnz .LBB99_289
; %bb.288:
	buffer_load_dword v76, v75, s[0:3], 0 offen
	ds_read_b32 v77, v74
	s_waitcnt vmcnt(0) lgkmcnt(0)
	v_mul_f32_e32 v76, v76, v77
	s_cbranch_execz .LBB99_290
	s_branch .LBB99_291
.LBB99_289:
                                        ; implicit-def: $vgpr76
.LBB99_290:
	ds_read_b32 v76, v74
.LBB99_291:
	s_and_saveexec_b64 s[12:13], s[4:5]
	s_cbranch_execz .LBB99_295
; %bb.292:
	v_add_u32_e32 v77, -6, v0
	s_movk_i32 s20, 0xa8
	s_mov_b64 s[4:5], 0
.LBB99_293:                             ; =>This Inner Loop Header: Depth=1
	v_mov_b32_e32 v78, s19
	buffer_load_dword v78, v78, s[0:3], 0 offen
	v_mov_b32_e32 v79, s20
	ds_read_b32 v79, v79
	v_add_u32_e32 v77, -1, v77
	s_add_i32 s20, s20, 4
	s_add_i32 s19, s19, 4
	v_cmp_eq_u32_e32 vcc, 0, v77
	s_or_b64 s[4:5], vcc, s[4:5]
	s_waitcnt vmcnt(0) lgkmcnt(0)
	v_fmac_f32_e32 v76, v78, v79
	s_andn2_b64 exec, exec, s[4:5]
	s_cbranch_execnz .LBB99_293
; %bb.294:
	s_or_b64 exec, exec, s[4:5]
.LBB99_295:
	s_or_b64 exec, exec, s[12:13]
	v_mov_b32_e32 v77, 0
	ds_read_b32 v77, v77 offset:20
	s_waitcnt lgkmcnt(0)
	v_mul_f32_e32 v76, v76, v77
	buffer_store_dword v76, off, s[0:3], 0 offset:20
.LBB99_296:
	s_or_b64 exec, exec, s[8:9]
	buffer_load_dword v76, off, s[0:3], 0 offset:16
	v_cmp_lt_u32_e64 s[4:5], 4, v0
	s_waitcnt vmcnt(0)
	ds_write_b32 v74, v76
	s_waitcnt lgkmcnt(0)
	; wave barrier
	s_and_saveexec_b64 s[8:9], s[4:5]
	s_cbranch_execz .LBB99_306
; %bb.297:
	s_andn2_b64 vcc, exec, s[10:11]
	s_cbranch_vccnz .LBB99_299
; %bb.298:
	buffer_load_dword v76, v75, s[0:3], 0 offen
	ds_read_b32 v77, v74
	s_waitcnt vmcnt(0) lgkmcnt(0)
	v_mul_f32_e32 v76, v76, v77
	s_cbranch_execz .LBB99_300
	s_branch .LBB99_301
.LBB99_299:
                                        ; implicit-def: $vgpr76
.LBB99_300:
	ds_read_b32 v76, v74
.LBB99_301:
	s_and_saveexec_b64 s[12:13], s[6:7]
	s_cbranch_execz .LBB99_305
; %bb.302:
	v_add_u32_e32 v77, -5, v0
	s_movk_i32 s19, 0xa4
	s_mov_b64 s[6:7], 0
.LBB99_303:                             ; =>This Inner Loop Header: Depth=1
	v_mov_b32_e32 v78, s18
	buffer_load_dword v78, v78, s[0:3], 0 offen
	v_mov_b32_e32 v79, s19
	ds_read_b32 v79, v79
	v_add_u32_e32 v77, -1, v77
	s_add_i32 s19, s19, 4
	s_add_i32 s18, s18, 4
	v_cmp_eq_u32_e32 vcc, 0, v77
	s_or_b64 s[6:7], vcc, s[6:7]
	s_waitcnt vmcnt(0) lgkmcnt(0)
	v_fmac_f32_e32 v76, v78, v79
	s_andn2_b64 exec, exec, s[6:7]
	s_cbranch_execnz .LBB99_303
; %bb.304:
	s_or_b64 exec, exec, s[6:7]
.LBB99_305:
	s_or_b64 exec, exec, s[12:13]
	v_mov_b32_e32 v77, 0
	ds_read_b32 v77, v77 offset:16
	s_waitcnt lgkmcnt(0)
	v_mul_f32_e32 v76, v76, v77
	buffer_store_dword v76, off, s[0:3], 0 offset:16
.LBB99_306:
	s_or_b64 exec, exec, s[8:9]
	buffer_load_dword v76, off, s[0:3], 0 offset:12
	v_cmp_lt_u32_e64 s[6:7], 3, v0
	s_waitcnt vmcnt(0)
	ds_write_b32 v74, v76
	s_waitcnt lgkmcnt(0)
	; wave barrier
	s_and_saveexec_b64 s[8:9], s[6:7]
	s_cbranch_execz .LBB99_316
; %bb.307:
	s_andn2_b64 vcc, exec, s[10:11]
	s_cbranch_vccnz .LBB99_309
; %bb.308:
	buffer_load_dword v76, v75, s[0:3], 0 offen
	ds_read_b32 v77, v74
	s_waitcnt vmcnt(0) lgkmcnt(0)
	v_mul_f32_e32 v76, v76, v77
	s_cbranch_execz .LBB99_310
	s_branch .LBB99_311
.LBB99_309:
                                        ; implicit-def: $vgpr76
.LBB99_310:
	ds_read_b32 v76, v74
.LBB99_311:
	s_and_saveexec_b64 s[12:13], s[4:5]
	s_cbranch_execz .LBB99_315
; %bb.312:
	v_add_u32_e32 v77, -4, v0
	s_movk_i32 s18, 0xa0
	s_mov_b64 s[4:5], 0
.LBB99_313:                             ; =>This Inner Loop Header: Depth=1
	v_mov_b32_e32 v78, s17
	buffer_load_dword v78, v78, s[0:3], 0 offen
	v_mov_b32_e32 v79, s18
	ds_read_b32 v79, v79
	v_add_u32_e32 v77, -1, v77
	s_add_i32 s18, s18, 4
	s_add_i32 s17, s17, 4
	v_cmp_eq_u32_e32 vcc, 0, v77
	s_or_b64 s[4:5], vcc, s[4:5]
	s_waitcnt vmcnt(0) lgkmcnt(0)
	v_fmac_f32_e32 v76, v78, v79
	s_andn2_b64 exec, exec, s[4:5]
	s_cbranch_execnz .LBB99_313
; %bb.314:
	s_or_b64 exec, exec, s[4:5]
.LBB99_315:
	s_or_b64 exec, exec, s[12:13]
	v_mov_b32_e32 v77, 0
	ds_read_b32 v77, v77 offset:12
	s_waitcnt lgkmcnt(0)
	v_mul_f32_e32 v76, v76, v77
	buffer_store_dword v76, off, s[0:3], 0 offset:12
.LBB99_316:
	s_or_b64 exec, exec, s[8:9]
	buffer_load_dword v76, off, s[0:3], 0 offset:8
	v_cmp_lt_u32_e64 s[4:5], 2, v0
	s_waitcnt vmcnt(0)
	ds_write_b32 v74, v76
	s_waitcnt lgkmcnt(0)
	; wave barrier
	s_and_saveexec_b64 s[8:9], s[4:5]
	s_cbranch_execz .LBB99_326
; %bb.317:
	s_andn2_b64 vcc, exec, s[10:11]
	s_cbranch_vccnz .LBB99_319
; %bb.318:
	buffer_load_dword v76, v75, s[0:3], 0 offen
	ds_read_b32 v77, v74
	s_waitcnt vmcnt(0) lgkmcnt(0)
	v_mul_f32_e32 v76, v76, v77
	s_cbranch_execz .LBB99_320
	s_branch .LBB99_321
.LBB99_319:
                                        ; implicit-def: $vgpr76
.LBB99_320:
	ds_read_b32 v76, v74
.LBB99_321:
	s_and_saveexec_b64 s[12:13], s[6:7]
	s_cbranch_execz .LBB99_325
; %bb.322:
	v_add_u32_e32 v77, -3, v0
	s_movk_i32 s17, 0x9c
	s_mov_b64 s[6:7], 0
.LBB99_323:                             ; =>This Inner Loop Header: Depth=1
	v_mov_b32_e32 v78, s16
	buffer_load_dword v78, v78, s[0:3], 0 offen
	v_mov_b32_e32 v79, s17
	ds_read_b32 v79, v79
	v_add_u32_e32 v77, -1, v77
	s_add_i32 s17, s17, 4
	s_add_i32 s16, s16, 4
	v_cmp_eq_u32_e32 vcc, 0, v77
	s_or_b64 s[6:7], vcc, s[6:7]
	s_waitcnt vmcnt(0) lgkmcnt(0)
	v_fmac_f32_e32 v76, v78, v79
	s_andn2_b64 exec, exec, s[6:7]
	s_cbranch_execnz .LBB99_323
; %bb.324:
	s_or_b64 exec, exec, s[6:7]
.LBB99_325:
	s_or_b64 exec, exec, s[12:13]
	v_mov_b32_e32 v77, 0
	ds_read_b32 v77, v77 offset:8
	s_waitcnt lgkmcnt(0)
	v_mul_f32_e32 v76, v76, v77
	buffer_store_dword v76, off, s[0:3], 0 offset:8
.LBB99_326:
	s_or_b64 exec, exec, s[8:9]
	buffer_load_dword v76, off, s[0:3], 0 offset:4
	v_cmp_lt_u32_e64 s[6:7], 1, v0
	s_waitcnt vmcnt(0)
	ds_write_b32 v74, v76
	s_waitcnt lgkmcnt(0)
	; wave barrier
	s_and_saveexec_b64 s[8:9], s[6:7]
	s_cbranch_execz .LBB99_336
; %bb.327:
	s_andn2_b64 vcc, exec, s[10:11]
	s_cbranch_vccnz .LBB99_329
; %bb.328:
	buffer_load_dword v76, v75, s[0:3], 0 offen
	ds_read_b32 v77, v74
	s_waitcnt vmcnt(0) lgkmcnt(0)
	v_mul_f32_e32 v76, v76, v77
	s_cbranch_execz .LBB99_330
	s_branch .LBB99_331
.LBB99_329:
                                        ; implicit-def: $vgpr76
.LBB99_330:
	ds_read_b32 v76, v74
.LBB99_331:
	s_and_saveexec_b64 s[12:13], s[4:5]
	s_cbranch_execz .LBB99_335
; %bb.332:
	v_add_u32_e32 v77, -2, v0
	s_movk_i32 s16, 0x98
	s_mov_b64 s[4:5], 0
.LBB99_333:                             ; =>This Inner Loop Header: Depth=1
	v_mov_b32_e32 v78, s15
	buffer_load_dword v78, v78, s[0:3], 0 offen
	v_mov_b32_e32 v79, s16
	ds_read_b32 v79, v79
	v_add_u32_e32 v77, -1, v77
	s_add_i32 s16, s16, 4
	s_add_i32 s15, s15, 4
	v_cmp_eq_u32_e32 vcc, 0, v77
	s_or_b64 s[4:5], vcc, s[4:5]
	s_waitcnt vmcnt(0) lgkmcnt(0)
	v_fmac_f32_e32 v76, v78, v79
	s_andn2_b64 exec, exec, s[4:5]
	s_cbranch_execnz .LBB99_333
; %bb.334:
	s_or_b64 exec, exec, s[4:5]
.LBB99_335:
	s_or_b64 exec, exec, s[12:13]
	v_mov_b32_e32 v77, 0
	ds_read_b32 v77, v77 offset:4
	s_waitcnt lgkmcnt(0)
	v_mul_f32_e32 v76, v76, v77
	buffer_store_dword v76, off, s[0:3], 0 offset:4
.LBB99_336:
	s_or_b64 exec, exec, s[8:9]
	buffer_load_dword v76, off, s[0:3], 0
	v_cmp_ne_u32_e32 vcc, 0, v0
	s_waitcnt vmcnt(0)
	ds_write_b32 v74, v76
	s_waitcnt lgkmcnt(0)
	; wave barrier
	s_and_saveexec_b64 s[4:5], vcc
	s_cbranch_execz .LBB99_346
; %bb.337:
	s_andn2_b64 vcc, exec, s[10:11]
	s_cbranch_vccnz .LBB99_339
; %bb.338:
	buffer_load_dword v76, v75, s[0:3], 0 offen
	ds_read_b32 v77, v74
	s_waitcnt vmcnt(0) lgkmcnt(0)
	v_mul_f32_e32 v76, v76, v77
	s_cbranch_execz .LBB99_340
	s_branch .LBB99_341
.LBB99_339:
                                        ; implicit-def: $vgpr76
.LBB99_340:
	ds_read_b32 v76, v74
.LBB99_341:
	s_and_saveexec_b64 s[8:9], s[6:7]
	s_cbranch_execz .LBB99_345
; %bb.342:
	v_add_u32_e32 v77, -1, v0
	s_movk_i32 s12, 0x94
	s_mov_b64 s[6:7], 0
.LBB99_343:                             ; =>This Inner Loop Header: Depth=1
	v_mov_b32_e32 v78, s14
	buffer_load_dword v78, v78, s[0:3], 0 offen
	v_mov_b32_e32 v79, s12
	ds_read_b32 v79, v79
	v_add_u32_e32 v77, -1, v77
	s_add_i32 s12, s12, 4
	s_add_i32 s14, s14, 4
	v_cmp_eq_u32_e32 vcc, 0, v77
	s_or_b64 s[6:7], vcc, s[6:7]
	s_waitcnt vmcnt(0) lgkmcnt(0)
	v_fmac_f32_e32 v76, v78, v79
	s_andn2_b64 exec, exec, s[6:7]
	s_cbranch_execnz .LBB99_343
; %bb.344:
	s_or_b64 exec, exec, s[6:7]
.LBB99_345:
	s_or_b64 exec, exec, s[8:9]
	v_mov_b32_e32 v77, 0
	ds_read_b32 v77, v77
	s_waitcnt lgkmcnt(0)
	v_mul_f32_e32 v76, v76, v77
	buffer_store_dword v76, off, s[0:3], 0
.LBB99_346:
	s_or_b64 exec, exec, s[4:5]
	s_mov_b64 s[4:5], 0
.LBB99_347:
	s_and_b64 vcc, exec, s[4:5]
	s_cbranch_vccz .LBB99_689
; %bb.348:
	buffer_load_dword v76, off, s[0:3], 0 offset:4
	v_cmp_eq_u32_e64 s[6:7], 0, v0
	s_waitcnt vmcnt(0)
	ds_write_b32 v74, v76
	s_waitcnt lgkmcnt(0)
	; wave barrier
	s_and_saveexec_b64 s[4:5], s[6:7]
	s_cbranch_execz .LBB99_354
; %bb.349:
	s_and_b64 vcc, exec, s[10:11]
	s_cbranch_vccz .LBB99_351
; %bb.350:
	buffer_load_dword v76, v75, s[0:3], 0 offen
	ds_read_b32 v77, v74
	s_waitcnt vmcnt(0) lgkmcnt(0)
	v_mul_f32_e32 v76, v76, v77
	s_cbranch_execz .LBB99_352
	s_branch .LBB99_353
.LBB99_351:
                                        ; implicit-def: $vgpr76
.LBB99_352:
	ds_read_b32 v76, v74
.LBB99_353:
	v_mov_b32_e32 v77, 0
	ds_read_b32 v77, v77 offset:4
	s_waitcnt lgkmcnt(0)
	v_mul_f32_e32 v76, v76, v77
	buffer_store_dword v76, off, s[0:3], 0 offset:4
.LBB99_354:
	s_or_b64 exec, exec, s[4:5]
	buffer_load_dword v76, off, s[0:3], 0 offset:8
	v_cndmask_b32_e64 v77, 0, 1, s[10:11]
	v_cmp_gt_u32_e32 vcc, 2, v0
	v_cmp_ne_u32_e64 s[4:5], 1, v77
	s_waitcnt vmcnt(0)
	ds_write_b32 v74, v76
	s_waitcnt lgkmcnt(0)
	; wave barrier
	s_and_saveexec_b64 s[8:9], vcc
	s_cbranch_execz .LBB99_360
; %bb.355:
	s_and_b64 vcc, exec, s[4:5]
	s_cbranch_vccnz .LBB99_357
; %bb.356:
	buffer_load_dword v76, v75, s[0:3], 0 offen
	ds_read_b32 v77, v74
	s_waitcnt vmcnt(0) lgkmcnt(0)
	v_mul_f32_e32 v76, v76, v77
	s_cbranch_execz .LBB99_358
	s_branch .LBB99_359
.LBB99_357:
                                        ; implicit-def: $vgpr76
.LBB99_358:
	ds_read_b32 v76, v74
.LBB99_359:
	buffer_load_dword v79, off, s[0:3], 0 offset:4
	v_mov_b32_e32 v77, 0
	ds_read2_b32 v[77:78], v77 offset0:2 offset1:37
	s_waitcnt vmcnt(0) lgkmcnt(0)
	v_fma_f32 v78, v79, v78, v76
	v_cndmask_b32_e64 v76, v76, v78, s[6:7]
	v_mul_f32_e32 v76, v76, v77
	buffer_store_dword v76, off, s[0:3], 0 offset:8
.LBB99_360:
	s_or_b64 exec, exec, s[8:9]
	buffer_load_dword v76, off, s[0:3], 0 offset:12
	v_cmp_gt_u32_e32 vcc, 3, v0
	s_waitcnt vmcnt(0)
	ds_write_b32 v74, v76
	s_waitcnt lgkmcnt(0)
	; wave barrier
	s_and_saveexec_b64 s[8:9], vcc
	s_cbranch_execz .LBB99_368
; %bb.361:
	s_and_b64 vcc, exec, s[4:5]
	s_cbranch_vccnz .LBB99_363
; %bb.362:
	buffer_load_dword v76, v75, s[0:3], 0 offen
	ds_read_b32 v77, v74
	s_waitcnt vmcnt(0) lgkmcnt(0)
	v_mul_f32_e32 v76, v76, v77
	s_cbranch_execz .LBB99_364
	s_branch .LBB99_365
.LBB99_363:
                                        ; implicit-def: $vgpr76
.LBB99_364:
	ds_read_b32 v76, v74
.LBB99_365:
	v_cmp_ne_u32_e32 vcc, 2, v0
	s_and_saveexec_b64 s[10:11], vcc
	s_cbranch_execz .LBB99_367
; %bb.366:
	buffer_load_dword v77, v75, s[0:3], 0 offen offset:4
	buffer_load_dword v78, off, s[0:3], 0 offset:8
	v_mov_b32_e32 v79, 0
	ds_read_b32 v80, v74 offset:4
	ds_read_b32 v79, v79 offset:152
	s_waitcnt vmcnt(1) lgkmcnt(1)
	v_fmac_f32_e32 v76, v77, v80
	s_waitcnt vmcnt(0) lgkmcnt(0)
	v_fma_f32 v77, v78, v79, v76
	v_cndmask_b32_e64 v76, v76, v77, s[6:7]
.LBB99_367:
	s_or_b64 exec, exec, s[10:11]
	v_mov_b32_e32 v77, 0
	ds_read_b32 v77, v77 offset:12
	s_waitcnt lgkmcnt(0)
	v_mul_f32_e32 v76, v76, v77
	buffer_store_dword v76, off, s[0:3], 0 offset:12
.LBB99_368:
	s_or_b64 exec, exec, s[8:9]
	buffer_load_dword v76, off, s[0:3], 0 offset:16
	v_cmp_gt_u32_e32 vcc, 4, v0
	s_waitcnt vmcnt(0)
	ds_write_b32 v74, v76
	s_waitcnt lgkmcnt(0)
	; wave barrier
	s_and_saveexec_b64 s[6:7], vcc
	s_cbranch_execz .LBB99_378
; %bb.369:
	s_and_b64 vcc, exec, s[4:5]
	s_cbranch_vccnz .LBB99_371
; %bb.370:
	buffer_load_dword v76, v75, s[0:3], 0 offen
	ds_read_b32 v77, v74
	s_waitcnt vmcnt(0) lgkmcnt(0)
	v_mul_f32_e32 v76, v76, v77
	s_cbranch_execz .LBB99_372
	s_branch .LBB99_373
.LBB99_371:
                                        ; implicit-def: $vgpr76
.LBB99_372:
	ds_read_b32 v76, v74
.LBB99_373:
	v_cmp_ne_u32_e32 vcc, 3, v0
	s_and_saveexec_b64 s[8:9], vcc
	s_cbranch_execz .LBB99_377
; %bb.374:
	s_mov_b32 s10, 0
	v_add_u32_e32 v77, 0x94, v73
	v_add3_u32 v78, v73, s10, 4
	s_mov_b64 s[10:11], 0
	v_mov_b32_e32 v79, v0
.LBB99_375:                             ; =>This Inner Loop Header: Depth=1
	buffer_load_dword v80, v78, s[0:3], 0 offen
	ds_read_b32 v81, v77
	v_add_u32_e32 v79, 1, v79
	v_cmp_lt_u32_e32 vcc, 2, v79
	v_add_u32_e32 v77, 4, v77
	v_add_u32_e32 v78, 4, v78
	s_or_b64 s[10:11], vcc, s[10:11]
	s_waitcnt vmcnt(0) lgkmcnt(0)
	v_fmac_f32_e32 v76, v80, v81
	s_andn2_b64 exec, exec, s[10:11]
	s_cbranch_execnz .LBB99_375
; %bb.376:
	s_or_b64 exec, exec, s[10:11]
.LBB99_377:
	s_or_b64 exec, exec, s[8:9]
	v_mov_b32_e32 v77, 0
	ds_read_b32 v77, v77 offset:16
	s_waitcnt lgkmcnt(0)
	v_mul_f32_e32 v76, v76, v77
	buffer_store_dword v76, off, s[0:3], 0 offset:16
.LBB99_378:
	s_or_b64 exec, exec, s[6:7]
	buffer_load_dword v76, off, s[0:3], 0 offset:20
	v_cmp_gt_u32_e32 vcc, 5, v0
	s_waitcnt vmcnt(0)
	ds_write_b32 v74, v76
	s_waitcnt lgkmcnt(0)
	; wave barrier
	s_and_saveexec_b64 s[6:7], vcc
	s_cbranch_execz .LBB99_388
; %bb.379:
	s_and_b64 vcc, exec, s[4:5]
	s_cbranch_vccnz .LBB99_381
; %bb.380:
	buffer_load_dword v76, v75, s[0:3], 0 offen
	ds_read_b32 v77, v74
	s_waitcnt vmcnt(0) lgkmcnt(0)
	v_mul_f32_e32 v76, v76, v77
	s_cbranch_execz .LBB99_382
	s_branch .LBB99_383
.LBB99_381:
                                        ; implicit-def: $vgpr76
.LBB99_382:
	ds_read_b32 v76, v74
.LBB99_383:
	v_cmp_ne_u32_e32 vcc, 4, v0
	s_and_saveexec_b64 s[8:9], vcc
	s_cbranch_execz .LBB99_387
; %bb.384:
	s_mov_b32 s10, 0
	v_add_u32_e32 v77, 0x94, v73
	v_add3_u32 v78, v73, s10, 4
	s_mov_b64 s[10:11], 0
	v_mov_b32_e32 v79, v0
.LBB99_385:                             ; =>This Inner Loop Header: Depth=1
	buffer_load_dword v80, v78, s[0:3], 0 offen
	ds_read_b32 v81, v77
	v_add_u32_e32 v79, 1, v79
	v_cmp_lt_u32_e32 vcc, 3, v79
	v_add_u32_e32 v77, 4, v77
	v_add_u32_e32 v78, 4, v78
	s_or_b64 s[10:11], vcc, s[10:11]
	s_waitcnt vmcnt(0) lgkmcnt(0)
	v_fmac_f32_e32 v76, v80, v81
	s_andn2_b64 exec, exec, s[10:11]
	s_cbranch_execnz .LBB99_385
; %bb.386:
	s_or_b64 exec, exec, s[10:11]
.LBB99_387:
	s_or_b64 exec, exec, s[8:9]
	v_mov_b32_e32 v77, 0
	ds_read_b32 v77, v77 offset:20
	s_waitcnt lgkmcnt(0)
	v_mul_f32_e32 v76, v76, v77
	buffer_store_dword v76, off, s[0:3], 0 offset:20
.LBB99_388:
	;; [unrolled: 55-line block ×30, first 2 shown]
	s_or_b64 exec, exec, s[6:7]
	buffer_load_dword v76, off, s[0:3], 0 offset:136
	v_cmp_gt_u32_e64 s[6:7], 34, v0
	s_waitcnt vmcnt(0)
	ds_write_b32 v74, v76
	s_waitcnt lgkmcnt(0)
	; wave barrier
	s_and_saveexec_b64 s[8:9], s[6:7]
	s_cbranch_execz .LBB99_678
; %bb.669:
	s_and_b64 vcc, exec, s[4:5]
	s_cbranch_vccnz .LBB99_671
; %bb.670:
	buffer_load_dword v76, v75, s[0:3], 0 offen
	ds_read_b32 v77, v74
	s_waitcnt vmcnt(0) lgkmcnt(0)
	v_mul_f32_e32 v76, v76, v77
	s_cbranch_execz .LBB99_672
	s_branch .LBB99_673
.LBB99_671:
                                        ; implicit-def: $vgpr76
.LBB99_672:
	ds_read_b32 v76, v74
.LBB99_673:
	v_cmp_ne_u32_e32 vcc, 33, v0
	s_and_saveexec_b64 s[10:11], vcc
	s_cbranch_execz .LBB99_677
; %bb.674:
	s_mov_b32 s12, 0
	v_add_u32_e32 v77, 0x94, v73
	v_add3_u32 v78, v73, s12, 4
	s_mov_b64 s[12:13], 0
	v_mov_b32_e32 v79, v0
.LBB99_675:                             ; =>This Inner Loop Header: Depth=1
	buffer_load_dword v80, v78, s[0:3], 0 offen
	ds_read_b32 v81, v77
	v_add_u32_e32 v79, 1, v79
	v_cmp_lt_u32_e32 vcc, 32, v79
	v_add_u32_e32 v77, 4, v77
	v_add_u32_e32 v78, 4, v78
	s_or_b64 s[12:13], vcc, s[12:13]
	s_waitcnt vmcnt(0) lgkmcnt(0)
	v_fmac_f32_e32 v76, v80, v81
	s_andn2_b64 exec, exec, s[12:13]
	s_cbranch_execnz .LBB99_675
; %bb.676:
	s_or_b64 exec, exec, s[12:13]
.LBB99_677:
	s_or_b64 exec, exec, s[10:11]
	v_mov_b32_e32 v77, 0
	ds_read_b32 v77, v77 offset:136
	s_waitcnt lgkmcnt(0)
	v_mul_f32_e32 v76, v76, v77
	buffer_store_dword v76, off, s[0:3], 0 offset:136
.LBB99_678:
	s_or_b64 exec, exec, s[8:9]
	buffer_load_dword v76, off, s[0:3], 0 offset:140
	v_cmp_ne_u32_e32 vcc, 35, v0
	s_waitcnt vmcnt(0)
	ds_write_b32 v74, v76
	s_waitcnt lgkmcnt(0)
	; wave barrier
	s_and_saveexec_b64 s[8:9], vcc
	s_cbranch_execz .LBB99_688
; %bb.679:
	s_and_b64 vcc, exec, s[4:5]
	s_cbranch_vccnz .LBB99_681
; %bb.680:
	buffer_load_dword v75, v75, s[0:3], 0 offen
	ds_read_b32 v76, v74
	s_waitcnt vmcnt(0) lgkmcnt(0)
	v_mul_f32_e32 v75, v75, v76
	s_cbranch_execz .LBB99_682
	s_branch .LBB99_683
.LBB99_681:
                                        ; implicit-def: $vgpr75
.LBB99_682:
	ds_read_b32 v75, v74
.LBB99_683:
	s_and_saveexec_b64 s[4:5], s[6:7]
	s_cbranch_execz .LBB99_687
; %bb.684:
	s_mov_b32 s6, 0
	v_add_u32_e32 v74, 0x94, v73
	v_add3_u32 v73, v73, s6, 4
	s_mov_b64 s[6:7], 0
.LBB99_685:                             ; =>This Inner Loop Header: Depth=1
	buffer_load_dword v76, v73, s[0:3], 0 offen
	ds_read_b32 v77, v74
	v_add_u32_e32 v0, 1, v0
	v_cmp_lt_u32_e32 vcc, 33, v0
	v_add_u32_e32 v74, 4, v74
	v_add_u32_e32 v73, 4, v73
	s_or_b64 s[6:7], vcc, s[6:7]
	s_waitcnt vmcnt(0) lgkmcnt(0)
	v_fmac_f32_e32 v75, v76, v77
	s_andn2_b64 exec, exec, s[6:7]
	s_cbranch_execnz .LBB99_685
; %bb.686:
	s_or_b64 exec, exec, s[6:7]
.LBB99_687:
	s_or_b64 exec, exec, s[4:5]
	v_mov_b32_e32 v0, 0
	ds_read_b32 v0, v0 offset:140
	s_waitcnt lgkmcnt(0)
	v_mul_f32_e32 v0, v75, v0
	buffer_store_dword v0, off, s[0:3], 0 offset:140
.LBB99_688:
	s_or_b64 exec, exec, s[8:9]
.LBB99_689:
	buffer_load_dword v0, off, s[0:3], 0
	s_waitcnt vmcnt(0)
	flat_store_dword v[1:2], v0
	buffer_load_dword v0, off, s[0:3], 0 offset:4
	s_waitcnt vmcnt(0)
	flat_store_dword v[3:4], v0
	buffer_load_dword v0, off, s[0:3], 0 offset:8
	;; [unrolled: 3-line block ×35, first 2 shown]
	s_waitcnt vmcnt(0)
	flat_store_dword v[71:72], v0
.LBB99_690:
	s_endpgm
	.section	.rodata,"a",@progbits
	.p2align	6, 0x0
	.amdhsa_kernel _ZN9rocsolver6v33100L18trti2_kernel_smallILi36EfPKPfEEv13rocblas_fill_17rocblas_diagonal_T1_iil
		.amdhsa_group_segment_fixed_size 288
		.amdhsa_private_segment_fixed_size 160
		.amdhsa_kernarg_size 32
		.amdhsa_user_sgpr_count 6
		.amdhsa_user_sgpr_private_segment_buffer 1
		.amdhsa_user_sgpr_dispatch_ptr 0
		.amdhsa_user_sgpr_queue_ptr 0
		.amdhsa_user_sgpr_kernarg_segment_ptr 1
		.amdhsa_user_sgpr_dispatch_id 0
		.amdhsa_user_sgpr_flat_scratch_init 0
		.amdhsa_user_sgpr_private_segment_size 0
		.amdhsa_uses_dynamic_stack 0
		.amdhsa_system_sgpr_private_segment_wavefront_offset 1
		.amdhsa_system_sgpr_workgroup_id_x 1
		.amdhsa_system_sgpr_workgroup_id_y 0
		.amdhsa_system_sgpr_workgroup_id_z 0
		.amdhsa_system_sgpr_workgroup_info 0
		.amdhsa_system_vgpr_workitem_id 0
		.amdhsa_next_free_vgpr 82
		.amdhsa_next_free_sgpr 49
		.amdhsa_reserve_vcc 1
		.amdhsa_reserve_flat_scratch 0
		.amdhsa_float_round_mode_32 0
		.amdhsa_float_round_mode_16_64 0
		.amdhsa_float_denorm_mode_32 3
		.amdhsa_float_denorm_mode_16_64 3
		.amdhsa_dx10_clamp 1
		.amdhsa_ieee_mode 1
		.amdhsa_fp16_overflow 0
		.amdhsa_exception_fp_ieee_invalid_op 0
		.amdhsa_exception_fp_denorm_src 0
		.amdhsa_exception_fp_ieee_div_zero 0
		.amdhsa_exception_fp_ieee_overflow 0
		.amdhsa_exception_fp_ieee_underflow 0
		.amdhsa_exception_fp_ieee_inexact 0
		.amdhsa_exception_int_div_zero 0
	.end_amdhsa_kernel
	.section	.text._ZN9rocsolver6v33100L18trti2_kernel_smallILi36EfPKPfEEv13rocblas_fill_17rocblas_diagonal_T1_iil,"axG",@progbits,_ZN9rocsolver6v33100L18trti2_kernel_smallILi36EfPKPfEEv13rocblas_fill_17rocblas_diagonal_T1_iil,comdat
.Lfunc_end99:
	.size	_ZN9rocsolver6v33100L18trti2_kernel_smallILi36EfPKPfEEv13rocblas_fill_17rocblas_diagonal_T1_iil, .Lfunc_end99-_ZN9rocsolver6v33100L18trti2_kernel_smallILi36EfPKPfEEv13rocblas_fill_17rocblas_diagonal_T1_iil
                                        ; -- End function
	.set _ZN9rocsolver6v33100L18trti2_kernel_smallILi36EfPKPfEEv13rocblas_fill_17rocblas_diagonal_T1_iil.num_vgpr, 82
	.set _ZN9rocsolver6v33100L18trti2_kernel_smallILi36EfPKPfEEv13rocblas_fill_17rocblas_diagonal_T1_iil.num_agpr, 0
	.set _ZN9rocsolver6v33100L18trti2_kernel_smallILi36EfPKPfEEv13rocblas_fill_17rocblas_diagonal_T1_iil.numbered_sgpr, 49
	.set _ZN9rocsolver6v33100L18trti2_kernel_smallILi36EfPKPfEEv13rocblas_fill_17rocblas_diagonal_T1_iil.num_named_barrier, 0
	.set _ZN9rocsolver6v33100L18trti2_kernel_smallILi36EfPKPfEEv13rocblas_fill_17rocblas_diagonal_T1_iil.private_seg_size, 160
	.set _ZN9rocsolver6v33100L18trti2_kernel_smallILi36EfPKPfEEv13rocblas_fill_17rocblas_diagonal_T1_iil.uses_vcc, 1
	.set _ZN9rocsolver6v33100L18trti2_kernel_smallILi36EfPKPfEEv13rocblas_fill_17rocblas_diagonal_T1_iil.uses_flat_scratch, 0
	.set _ZN9rocsolver6v33100L18trti2_kernel_smallILi36EfPKPfEEv13rocblas_fill_17rocblas_diagonal_T1_iil.has_dyn_sized_stack, 0
	.set _ZN9rocsolver6v33100L18trti2_kernel_smallILi36EfPKPfEEv13rocblas_fill_17rocblas_diagonal_T1_iil.has_recursion, 0
	.set _ZN9rocsolver6v33100L18trti2_kernel_smallILi36EfPKPfEEv13rocblas_fill_17rocblas_diagonal_T1_iil.has_indirect_call, 0
	.section	.AMDGPU.csdata,"",@progbits
; Kernel info:
; codeLenInByte = 17344
; TotalNumSgprs: 53
; NumVgprs: 82
; ScratchSize: 160
; MemoryBound: 0
; FloatMode: 240
; IeeeMode: 1
; LDSByteSize: 288 bytes/workgroup (compile time only)
; SGPRBlocks: 6
; VGPRBlocks: 20
; NumSGPRsForWavesPerEU: 53
; NumVGPRsForWavesPerEU: 82
; Occupancy: 3
; WaveLimiterHint : 1
; COMPUTE_PGM_RSRC2:SCRATCH_EN: 1
; COMPUTE_PGM_RSRC2:USER_SGPR: 6
; COMPUTE_PGM_RSRC2:TRAP_HANDLER: 0
; COMPUTE_PGM_RSRC2:TGID_X_EN: 1
; COMPUTE_PGM_RSRC2:TGID_Y_EN: 0
; COMPUTE_PGM_RSRC2:TGID_Z_EN: 0
; COMPUTE_PGM_RSRC2:TIDIG_COMP_CNT: 0
	.section	.text._ZN9rocsolver6v33100L18trti2_kernel_smallILi37EfPKPfEEv13rocblas_fill_17rocblas_diagonal_T1_iil,"axG",@progbits,_ZN9rocsolver6v33100L18trti2_kernel_smallILi37EfPKPfEEv13rocblas_fill_17rocblas_diagonal_T1_iil,comdat
	.globl	_ZN9rocsolver6v33100L18trti2_kernel_smallILi37EfPKPfEEv13rocblas_fill_17rocblas_diagonal_T1_iil ; -- Begin function _ZN9rocsolver6v33100L18trti2_kernel_smallILi37EfPKPfEEv13rocblas_fill_17rocblas_diagonal_T1_iil
	.p2align	8
	.type	_ZN9rocsolver6v33100L18trti2_kernel_smallILi37EfPKPfEEv13rocblas_fill_17rocblas_diagonal_T1_iil,@function
_ZN9rocsolver6v33100L18trti2_kernel_smallILi37EfPKPfEEv13rocblas_fill_17rocblas_diagonal_T1_iil: ; @_ZN9rocsolver6v33100L18trti2_kernel_smallILi37EfPKPfEEv13rocblas_fill_17rocblas_diagonal_T1_iil
; %bb.0:
	s_add_u32 s0, s0, s7
	s_addc_u32 s1, s1, 0
	v_cmp_gt_u32_e32 vcc, 37, v0
	s_and_saveexec_b64 s[8:9], vcc
	s_cbranch_execz .LBB100_710
; %bb.1:
	s_load_dwordx2 s[12:13], s[4:5], 0x10
	s_load_dwordx4 s[8:11], s[4:5], 0x0
	s_ashr_i32 s7, s6, 31
	s_lshl_b64 s[6:7], s[6:7], 3
	v_lshlrev_b32_e32 v75, 2, v0
	s_waitcnt lgkmcnt(0)
	s_ashr_i32 s5, s12, 31
	s_add_u32 s6, s10, s6
	s_addc_u32 s7, s11, s7
	s_load_dwordx2 s[6:7], s[6:7], 0x0
	s_mov_b32 s4, s12
	s_lshl_b64 s[4:5], s[4:5], 2
	s_movk_i32 s12, 0x84
	s_waitcnt lgkmcnt(0)
	s_add_u32 s4, s6, s4
	s_addc_u32 s5, s7, s5
	v_mov_b32_e32 v2, s5
	v_add_co_u32_e32 v1, vcc, s4, v75
	v_addc_co_u32_e32 v2, vcc, 0, v2, vcc
	flat_load_dword v5, v[1:2]
	s_mov_b32 s6, s13
	s_ashr_i32 s7, s13, 31
	s_lshl_b64 s[6:7], s[6:7], 2
	v_mov_b32_e32 v4, s7
	v_add_co_u32_e32 v3, vcc, s6, v1
	v_addc_co_u32_e32 v4, vcc, v2, v4, vcc
	s_add_i32 s6, s13, s13
	v_add_u32_e32 v7, s6, v0
	v_ashrrev_i32_e32 v8, 31, v7
	v_mov_b32_e32 v10, s5
	v_mov_b32_e32 v12, s5
	v_mov_b32_e32 v14, s5
	v_mov_b32_e32 v16, s5
	v_mov_b32_e32 v18, s5
	v_mov_b32_e32 v20, s5
	v_mov_b32_e32 v22, s5
	v_mov_b32_e32 v24, s5
	v_mov_b32_e32 v26, s5
	v_mov_b32_e32 v28, s5
	v_mov_b32_e32 v30, s5
	v_mov_b32_e32 v32, s5
	v_mov_b32_e32 v34, s5
	v_mov_b32_e32 v36, s5
	v_mov_b32_e32 v38, s5
	v_mov_b32_e32 v40, s5
	v_mov_b32_e32 v42, s5
	v_mov_b32_e32 v44, s5
	v_mov_b32_e32 v46, s5
	v_mov_b32_e32 v48, s5
	v_mov_b32_e32 v50, s5
	v_mov_b32_e32 v52, s5
	v_mov_b32_e32 v54, s5
	v_mov_b32_e32 v56, s5
	v_mov_b32_e32 v58, s5
	v_mov_b32_e32 v60, s5
	v_mov_b32_e32 v62, s5
	v_mov_b32_e32 v64, s5
	v_mov_b32_e32 v66, s5
	v_mov_b32_e32 v68, s5
	v_mov_b32_e32 v70, s5
	v_mov_b32_e32 v72, s5
	v_mov_b32_e32 v74, s5
	v_mov_b32_e32 v77, s5
	s_cmpk_lg_i32 s9, 0x84
	s_cselect_b64 s[10:11], -1, 0
	s_cmpk_eq_i32 s9, 0x84
	s_waitcnt vmcnt(0) lgkmcnt(0)
	buffer_store_dword v5, off, s[0:3], 0
	flat_load_dword v9, v[3:4]
	v_lshlrev_b64 v[5:6], 2, v[7:8]
	v_add_co_u32_e32 v5, vcc, s4, v5
	v_addc_co_u32_e32 v6, vcc, v10, v6, vcc
	s_waitcnt vmcnt(0) lgkmcnt(0)
	buffer_store_dword v9, off, s[0:3], 0 offset:4
	flat_load_dword v11, v[5:6]
	v_add_u32_e32 v9, s13, v7
	v_ashrrev_i32_e32 v10, 31, v9
	v_lshlrev_b64 v[7:8], 2, v[9:10]
	v_add_co_u32_e32 v7, vcc, s4, v7
	v_addc_co_u32_e32 v8, vcc, v12, v8, vcc
	s_waitcnt vmcnt(0) lgkmcnt(0)
	buffer_store_dword v11, off, s[0:3], 0 offset:8
	flat_load_dword v13, v[7:8]
	v_add_u32_e32 v11, s13, v9
	v_ashrrev_i32_e32 v12, 31, v11
	;; [unrolled: 8-line block ×33, first 2 shown]
	v_lshlrev_b64 v[71:72], 2, v[73:74]
	v_add_u32_e32 v73, s13, v73
	v_add_co_u32_e32 v71, vcc, s4, v71
	v_addc_co_u32_e32 v72, vcc, v77, v72, vcc
	v_ashrrev_i32_e32 v74, 31, v73
	v_lshlrev_b64 v[73:74], 2, v[73:74]
	v_add_co_u32_e32 v73, vcc, s4, v73
	v_addc_co_u32_e32 v74, vcc, v77, v74, vcc
	s_waitcnt vmcnt(0) lgkmcnt(0)
	buffer_store_dword v76, off, s[0:3], 0 offset:136
	flat_load_dword v76, v[71:72]
	s_waitcnt vmcnt(0) lgkmcnt(0)
	buffer_store_dword v76, off, s[0:3], 0 offset:140
	flat_load_dword v76, v[73:74]
	s_waitcnt vmcnt(0) lgkmcnt(0)
	buffer_store_dword v76, off, s[0:3], 0 offset:144
	v_mov_b32_e32 v76, -1.0
	s_cbranch_scc1 .LBB100_3
; %bb.2:
	v_mov_b32_e32 v76, 0
	v_lshl_add_u32 v76, v0, 2, v76
	buffer_load_dword v77, v76, s[0:3], 0 offen
	s_waitcnt vmcnt(0)
	v_div_scale_f32 v78, s[4:5], v77, v77, 1.0
	v_div_scale_f32 v79, vcc, 1.0, v77, 1.0
	v_rcp_f32_e32 v80, v78
	v_fma_f32 v81, -v78, v80, 1.0
	v_fmac_f32_e32 v80, v81, v80
	v_mul_f32_e32 v81, v79, v80
	v_fma_f32 v82, -v78, v81, v79
	v_fmac_f32_e32 v81, v82, v80
	v_fma_f32 v78, -v78, v81, v79
	v_div_fmas_f32 v78, v78, v80, v81
	v_div_fixup_f32 v77, v78, v77, 1.0
	buffer_store_dword v77, v76, s[0:3], 0 offen
	v_xor_b32_e32 v76, 0x80000000, v77
.LBB100_3:
	ds_write_b32 v75, v76
	s_cmpk_eq_i32 s8, 0x79
	v_add_u32_e32 v76, 0xa0, v75
	v_mov_b32_e32 v77, v75
	s_mov_b64 s[4:5], -1
	s_cbranch_scc1 .LBB100_357
; %bb.4:
	buffer_load_dword v78, off, s[0:3], 0 offset:140
	s_movk_i32 s30, 0x44
	s_movk_i32 s31, 0x48
	;; [unrolled: 1-line block ×17, first 2 shown]
	v_cmp_eq_u32_e64 s[4:5], 36, v0
	s_waitcnt vmcnt(0)
	ds_write_b32 v76, v78
	s_waitcnt lgkmcnt(0)
	; wave barrier
	s_and_saveexec_b64 s[6:7], s[4:5]
	s_cbranch_execz .LBB100_10
; %bb.5:
	s_and_b64 vcc, exec, s[10:11]
	s_cbranch_vccz .LBB100_7
; %bb.6:
	buffer_load_dword v78, v77, s[0:3], 0 offen
	ds_read_b32 v79, v76
	s_waitcnt vmcnt(0) lgkmcnt(0)
	v_mul_f32_e32 v78, v78, v79
	s_cbranch_execz .LBB100_8
	s_branch .LBB100_9
.LBB100_7:
                                        ; implicit-def: $vgpr78
.LBB100_8:
	ds_read_b32 v78, v76
.LBB100_9:
	v_mov_b32_e32 v79, 0
	ds_read_b32 v79, v79 offset:140
	s_waitcnt lgkmcnt(0)
	v_mul_f32_e32 v78, v78, v79
	buffer_store_dword v78, off, s[0:3], 0 offset:140
.LBB100_10:
	s_or_b64 exec, exec, s[6:7]
	buffer_load_dword v78, off, s[0:3], 0 offset:136
	s_or_b32 s14, 0, 4
	s_or_b32 s15, 0, 8
	;; [unrolled: 1-line block ×3, first 2 shown]
	s_mov_b32 s17, 16
	s_mov_b32 s18, 20
	;; [unrolled: 1-line block ×15, first 2 shown]
	v_cmp_lt_u32_e64 s[6:7], 34, v0
	s_waitcnt vmcnt(0)
	ds_write_b32 v76, v78
	s_waitcnt lgkmcnt(0)
	; wave barrier
	s_and_saveexec_b64 s[8:9], s[6:7]
	s_cbranch_execz .LBB100_16
; %bb.11:
	s_andn2_b64 vcc, exec, s[10:11]
	s_cbranch_vccnz .LBB100_13
; %bb.12:
	buffer_load_dword v78, v77, s[0:3], 0 offen
	ds_read_b32 v79, v76
	s_waitcnt vmcnt(0) lgkmcnt(0)
	v_mul_f32_e32 v78, v78, v79
	s_cbranch_execz .LBB100_14
	s_branch .LBB100_15
.LBB100_13:
                                        ; implicit-def: $vgpr78
.LBB100_14:
	ds_read_b32 v78, v76
.LBB100_15:
	buffer_load_dword v81, off, s[0:3], 0 offset:140
	v_mov_b32_e32 v79, 0
	ds_read2_b32 v[79:80], v79 offset0:34 offset1:75
	s_waitcnt vmcnt(0) lgkmcnt(0)
	v_fma_f32 v80, v81, v80, v78
	v_cndmask_b32_e64 v78, v78, v80, s[4:5]
	v_mul_f32_e32 v78, v78, v79
	buffer_store_dword v78, off, s[0:3], 0 offset:136
.LBB100_16:
	s_or_b64 exec, exec, s[8:9]
	buffer_load_dword v78, off, s[0:3], 0 offset:132
	v_cmp_lt_u32_e64 s[4:5], 33, v0
	s_waitcnt vmcnt(0)
	ds_write_b32 v76, v78
	s_waitcnt lgkmcnt(0)
	; wave barrier
	s_and_saveexec_b64 s[8:9], s[4:5]
	s_cbranch_execz .LBB100_26
; %bb.17:
	s_andn2_b64 vcc, exec, s[10:11]
	s_cbranch_vccnz .LBB100_19
; %bb.18:
	buffer_load_dword v78, v77, s[0:3], 0 offen
	ds_read_b32 v79, v76
	s_waitcnt vmcnt(0) lgkmcnt(0)
	v_mul_f32_e32 v78, v78, v79
	s_cbranch_execz .LBB100_20
	s_branch .LBB100_21
.LBB100_19:
                                        ; implicit-def: $vgpr78
.LBB100_20:
	ds_read_b32 v78, v76
.LBB100_21:
	s_and_saveexec_b64 s[12:13], s[6:7]
	s_cbranch_execz .LBB100_25
; %bb.22:
	v_subrev_u32_e32 v79, 34, v0
	s_movk_i32 s49, 0x128
	s_mov_b64 s[6:7], 0
.LBB100_23:                             ; =>This Inner Loop Header: Depth=1
	v_mov_b32_e32 v80, s48
	buffer_load_dword v80, v80, s[0:3], 0 offen
	v_mov_b32_e32 v81, s49
	ds_read_b32 v81, v81
	v_add_u32_e32 v79, -1, v79
	s_add_i32 s49, s49, 4
	s_add_i32 s48, s48, 4
	v_cmp_eq_u32_e32 vcc, 0, v79
	s_or_b64 s[6:7], vcc, s[6:7]
	s_waitcnt vmcnt(0) lgkmcnt(0)
	v_fmac_f32_e32 v78, v80, v81
	s_andn2_b64 exec, exec, s[6:7]
	s_cbranch_execnz .LBB100_23
; %bb.24:
	s_or_b64 exec, exec, s[6:7]
.LBB100_25:
	s_or_b64 exec, exec, s[12:13]
	v_mov_b32_e32 v79, 0
	ds_read_b32 v79, v79 offset:132
	s_waitcnt lgkmcnt(0)
	v_mul_f32_e32 v78, v78, v79
	buffer_store_dword v78, off, s[0:3], 0 offset:132
.LBB100_26:
	s_or_b64 exec, exec, s[8:9]
	buffer_load_dword v78, off, s[0:3], 0 offset:128
	v_cmp_lt_u32_e64 s[6:7], 32, v0
	s_waitcnt vmcnt(0)
	ds_write_b32 v76, v78
	s_waitcnt lgkmcnt(0)
	; wave barrier
	s_and_saveexec_b64 s[8:9], s[6:7]
	s_cbranch_execz .LBB100_36
; %bb.27:
	s_andn2_b64 vcc, exec, s[10:11]
	s_cbranch_vccnz .LBB100_29
; %bb.28:
	buffer_load_dword v78, v77, s[0:3], 0 offen
	ds_read_b32 v79, v76
	s_waitcnt vmcnt(0) lgkmcnt(0)
	v_mul_f32_e32 v78, v78, v79
	s_cbranch_execz .LBB100_30
	s_branch .LBB100_31
.LBB100_29:
                                        ; implicit-def: $vgpr78
.LBB100_30:
	ds_read_b32 v78, v76
.LBB100_31:
	s_and_saveexec_b64 s[12:13], s[4:5]
	s_cbranch_execz .LBB100_35
; %bb.32:
	v_subrev_u32_e32 v79, 33, v0
	s_movk_i32 s48, 0x124
	s_mov_b64 s[4:5], 0
.LBB100_33:                             ; =>This Inner Loop Header: Depth=1
	v_mov_b32_e32 v80, s47
	buffer_load_dword v80, v80, s[0:3], 0 offen
	v_mov_b32_e32 v81, s48
	ds_read_b32 v81, v81
	v_add_u32_e32 v79, -1, v79
	s_add_i32 s48, s48, 4
	s_add_i32 s47, s47, 4
	v_cmp_eq_u32_e32 vcc, 0, v79
	s_or_b64 s[4:5], vcc, s[4:5]
	s_waitcnt vmcnt(0) lgkmcnt(0)
	v_fmac_f32_e32 v78, v80, v81
	s_andn2_b64 exec, exec, s[4:5]
	s_cbranch_execnz .LBB100_33
; %bb.34:
	s_or_b64 exec, exec, s[4:5]
.LBB100_35:
	s_or_b64 exec, exec, s[12:13]
	v_mov_b32_e32 v79, 0
	ds_read_b32 v79, v79 offset:128
	s_waitcnt lgkmcnt(0)
	v_mul_f32_e32 v78, v78, v79
	buffer_store_dword v78, off, s[0:3], 0 offset:128
.LBB100_36:
	;; [unrolled: 54-line block ×8, first 2 shown]
	s_or_b64 exec, exec, s[8:9]
	buffer_load_dword v78, off, s[0:3], 0 offset:100
	v_cmp_lt_u32_e64 s[4:5], 25, v0
	s_waitcnt vmcnt(0)
	ds_write_b32 v76, v78
	s_waitcnt lgkmcnt(0)
	; wave barrier
	s_and_saveexec_b64 s[8:9], s[4:5]
	s_cbranch_execz .LBB100_106
; %bb.97:
	s_andn2_b64 vcc, exec, s[10:11]
	s_cbranch_vccnz .LBB100_99
; %bb.98:
	buffer_load_dword v78, v77, s[0:3], 0 offen
	ds_read_b32 v79, v76
	s_waitcnt vmcnt(0) lgkmcnt(0)
	v_mul_f32_e32 v78, v78, v79
	s_cbranch_execz .LBB100_100
	s_branch .LBB100_101
.LBB100_99:
                                        ; implicit-def: $vgpr78
.LBB100_100:
	ds_read_b32 v78, v76
.LBB100_101:
	s_and_saveexec_b64 s[12:13], s[6:7]
	s_cbranch_execz .LBB100_105
; %bb.102:
	v_subrev_u32_e32 v79, 26, v0
	s_movk_i32 s41, 0x108
	s_mov_b64 s[6:7], 0
.LBB100_103:                            ; =>This Inner Loop Header: Depth=1
	v_mov_b32_e32 v80, s40
	buffer_load_dword v80, v80, s[0:3], 0 offen
	v_mov_b32_e32 v81, s41
	ds_read_b32 v81, v81
	v_add_u32_e32 v79, -1, v79
	s_add_i32 s41, s41, 4
	s_add_i32 s40, s40, 4
	v_cmp_eq_u32_e32 vcc, 0, v79
	s_or_b64 s[6:7], vcc, s[6:7]
	s_waitcnt vmcnt(0) lgkmcnt(0)
	v_fmac_f32_e32 v78, v80, v81
	s_andn2_b64 exec, exec, s[6:7]
	s_cbranch_execnz .LBB100_103
; %bb.104:
	s_or_b64 exec, exec, s[6:7]
.LBB100_105:
	s_or_b64 exec, exec, s[12:13]
	v_mov_b32_e32 v79, 0
	ds_read_b32 v79, v79 offset:100
	s_waitcnt lgkmcnt(0)
	v_mul_f32_e32 v78, v78, v79
	buffer_store_dword v78, off, s[0:3], 0 offset:100
.LBB100_106:
	s_or_b64 exec, exec, s[8:9]
	buffer_load_dword v78, off, s[0:3], 0 offset:96
	v_cmp_lt_u32_e64 s[6:7], 24, v0
	s_waitcnt vmcnt(0)
	ds_write_b32 v76, v78
	s_waitcnt lgkmcnt(0)
	; wave barrier
	s_and_saveexec_b64 s[8:9], s[6:7]
	s_cbranch_execz .LBB100_116
; %bb.107:
	s_andn2_b64 vcc, exec, s[10:11]
	s_cbranch_vccnz .LBB100_109
; %bb.108:
	buffer_load_dword v78, v77, s[0:3], 0 offen
	ds_read_b32 v79, v76
	s_waitcnt vmcnt(0) lgkmcnt(0)
	v_mul_f32_e32 v78, v78, v79
	s_cbranch_execz .LBB100_110
	s_branch .LBB100_111
.LBB100_109:
                                        ; implicit-def: $vgpr78
.LBB100_110:
	ds_read_b32 v78, v76
.LBB100_111:
	s_and_saveexec_b64 s[12:13], s[4:5]
	s_cbranch_execz .LBB100_115
; %bb.112:
	v_subrev_u32_e32 v79, 25, v0
	s_movk_i32 s40, 0x104
	s_mov_b64 s[4:5], 0
.LBB100_113:                            ; =>This Inner Loop Header: Depth=1
	v_mov_b32_e32 v80, s39
	buffer_load_dword v80, v80, s[0:3], 0 offen
	v_mov_b32_e32 v81, s40
	ds_read_b32 v81, v81
	v_add_u32_e32 v79, -1, v79
	s_add_i32 s40, s40, 4
	s_add_i32 s39, s39, 4
	v_cmp_eq_u32_e32 vcc, 0, v79
	s_or_b64 s[4:5], vcc, s[4:5]
	s_waitcnt vmcnt(0) lgkmcnt(0)
	v_fmac_f32_e32 v78, v80, v81
	s_andn2_b64 exec, exec, s[4:5]
	s_cbranch_execnz .LBB100_113
; %bb.114:
	s_or_b64 exec, exec, s[4:5]
.LBB100_115:
	s_or_b64 exec, exec, s[12:13]
	v_mov_b32_e32 v79, 0
	ds_read_b32 v79, v79 offset:96
	s_waitcnt lgkmcnt(0)
	v_mul_f32_e32 v78, v78, v79
	buffer_store_dword v78, off, s[0:3], 0 offset:96
.LBB100_116:
	;; [unrolled: 54-line block ×10, first 2 shown]
	s_or_b64 exec, exec, s[8:9]
	buffer_load_dword v78, off, s[0:3], 0 offset:60
	v_cmp_lt_u32_e64 s[4:5], 15, v0
	s_waitcnt vmcnt(0)
	ds_write_b32 v76, v78
	s_waitcnt lgkmcnt(0)
	; wave barrier
	s_and_saveexec_b64 s[8:9], s[4:5]
	s_cbranch_execz .LBB100_206
; %bb.197:
	s_andn2_b64 vcc, exec, s[10:11]
	s_cbranch_vccnz .LBB100_199
; %bb.198:
	buffer_load_dword v78, v77, s[0:3], 0 offen
	ds_read_b32 v79, v76
	s_waitcnt vmcnt(0) lgkmcnt(0)
	v_mul_f32_e32 v78, v78, v79
	s_cbranch_execz .LBB100_200
	s_branch .LBB100_201
.LBB100_199:
                                        ; implicit-def: $vgpr78
.LBB100_200:
	ds_read_b32 v78, v76
.LBB100_201:
	s_and_saveexec_b64 s[12:13], s[6:7]
	s_cbranch_execz .LBB100_205
; %bb.202:
	v_add_u32_e32 v79, -16, v0
	s_movk_i32 s30, 0xe0
	s_mov_b64 s[6:7], 0
.LBB100_203:                            ; =>This Inner Loop Header: Depth=1
	v_mov_b32_e32 v80, s29
	buffer_load_dword v80, v80, s[0:3], 0 offen
	v_mov_b32_e32 v81, s30
	ds_read_b32 v81, v81
	v_add_u32_e32 v79, -1, v79
	s_add_i32 s30, s30, 4
	s_add_i32 s29, s29, 4
	v_cmp_eq_u32_e32 vcc, 0, v79
	s_or_b64 s[6:7], vcc, s[6:7]
	s_waitcnt vmcnt(0) lgkmcnt(0)
	v_fmac_f32_e32 v78, v80, v81
	s_andn2_b64 exec, exec, s[6:7]
	s_cbranch_execnz .LBB100_203
; %bb.204:
	s_or_b64 exec, exec, s[6:7]
.LBB100_205:
	s_or_b64 exec, exec, s[12:13]
	v_mov_b32_e32 v79, 0
	ds_read_b32 v79, v79 offset:60
	s_waitcnt lgkmcnt(0)
	v_mul_f32_e32 v78, v78, v79
	buffer_store_dword v78, off, s[0:3], 0 offset:60
.LBB100_206:
	s_or_b64 exec, exec, s[8:9]
	buffer_load_dword v78, off, s[0:3], 0 offset:56
	v_cmp_lt_u32_e64 s[6:7], 14, v0
	s_waitcnt vmcnt(0)
	ds_write_b32 v76, v78
	s_waitcnt lgkmcnt(0)
	; wave barrier
	s_and_saveexec_b64 s[8:9], s[6:7]
	s_cbranch_execz .LBB100_216
; %bb.207:
	s_andn2_b64 vcc, exec, s[10:11]
	s_cbranch_vccnz .LBB100_209
; %bb.208:
	buffer_load_dword v78, v77, s[0:3], 0 offen
	ds_read_b32 v79, v76
	s_waitcnt vmcnt(0) lgkmcnt(0)
	v_mul_f32_e32 v78, v78, v79
	s_cbranch_execz .LBB100_210
	s_branch .LBB100_211
.LBB100_209:
                                        ; implicit-def: $vgpr78
.LBB100_210:
	ds_read_b32 v78, v76
.LBB100_211:
	s_and_saveexec_b64 s[12:13], s[4:5]
	s_cbranch_execz .LBB100_215
; %bb.212:
	v_add_u32_e32 v79, -15, v0
	s_movk_i32 s29, 0xdc
	s_mov_b64 s[4:5], 0
.LBB100_213:                            ; =>This Inner Loop Header: Depth=1
	v_mov_b32_e32 v80, s28
	buffer_load_dword v80, v80, s[0:3], 0 offen
	v_mov_b32_e32 v81, s29
	ds_read_b32 v81, v81
	v_add_u32_e32 v79, -1, v79
	s_add_i32 s29, s29, 4
	s_add_i32 s28, s28, 4
	v_cmp_eq_u32_e32 vcc, 0, v79
	s_or_b64 s[4:5], vcc, s[4:5]
	s_waitcnt vmcnt(0) lgkmcnt(0)
	v_fmac_f32_e32 v78, v80, v81
	s_andn2_b64 exec, exec, s[4:5]
	s_cbranch_execnz .LBB100_213
; %bb.214:
	s_or_b64 exec, exec, s[4:5]
.LBB100_215:
	s_or_b64 exec, exec, s[12:13]
	v_mov_b32_e32 v79, 0
	ds_read_b32 v79, v79 offset:56
	s_waitcnt lgkmcnt(0)
	v_mul_f32_e32 v78, v78, v79
	buffer_store_dword v78, off, s[0:3], 0 offset:56
.LBB100_216:
	;; [unrolled: 54-line block ×15, first 2 shown]
	s_or_b64 exec, exec, s[8:9]
	buffer_load_dword v78, off, s[0:3], 0
	v_cmp_ne_u32_e32 vcc, 0, v0
	s_waitcnt vmcnt(0)
	ds_write_b32 v76, v78
	s_waitcnt lgkmcnt(0)
	; wave barrier
	s_and_saveexec_b64 s[6:7], vcc
	s_cbranch_execz .LBB100_356
; %bb.347:
	s_andn2_b64 vcc, exec, s[10:11]
	s_cbranch_vccnz .LBB100_349
; %bb.348:
	buffer_load_dword v78, v77, s[0:3], 0 offen
	ds_read_b32 v79, v76
	s_waitcnt vmcnt(0) lgkmcnt(0)
	v_mul_f32_e32 v78, v78, v79
	s_cbranch_execz .LBB100_350
	s_branch .LBB100_351
.LBB100_349:
                                        ; implicit-def: $vgpr78
.LBB100_350:
	ds_read_b32 v78, v76
.LBB100_351:
	s_and_saveexec_b64 s[8:9], s[4:5]
	s_cbranch_execz .LBB100_355
; %bb.352:
	v_add_u32_e32 v79, -1, v0
	s_movk_i32 s12, 0xa4
	s_mov_b64 s[4:5], 0
.LBB100_353:                            ; =>This Inner Loop Header: Depth=1
	v_mov_b32_e32 v80, s14
	buffer_load_dword v80, v80, s[0:3], 0 offen
	v_mov_b32_e32 v81, s12
	ds_read_b32 v81, v81
	v_add_u32_e32 v79, -1, v79
	s_add_i32 s12, s12, 4
	s_add_i32 s14, s14, 4
	v_cmp_eq_u32_e32 vcc, 0, v79
	s_or_b64 s[4:5], vcc, s[4:5]
	s_waitcnt vmcnt(0) lgkmcnt(0)
	v_fmac_f32_e32 v78, v80, v81
	s_andn2_b64 exec, exec, s[4:5]
	s_cbranch_execnz .LBB100_353
; %bb.354:
	s_or_b64 exec, exec, s[4:5]
.LBB100_355:
	s_or_b64 exec, exec, s[8:9]
	v_mov_b32_e32 v79, 0
	ds_read_b32 v79, v79
	s_waitcnt lgkmcnt(0)
	v_mul_f32_e32 v78, v78, v79
	buffer_store_dword v78, off, s[0:3], 0
.LBB100_356:
	s_or_b64 exec, exec, s[6:7]
	s_mov_b64 s[4:5], 0
.LBB100_357:
	s_and_b64 vcc, exec, s[4:5]
	s_cbranch_vccz .LBB100_709
; %bb.358:
	buffer_load_dword v78, off, s[0:3], 0 offset:4
	v_cmp_eq_u32_e64 s[6:7], 0, v0
	s_waitcnt vmcnt(0)
	ds_write_b32 v76, v78
	s_waitcnt lgkmcnt(0)
	; wave barrier
	s_and_saveexec_b64 s[4:5], s[6:7]
	s_cbranch_execz .LBB100_364
; %bb.359:
	s_and_b64 vcc, exec, s[10:11]
	s_cbranch_vccz .LBB100_361
; %bb.360:
	buffer_load_dword v78, v77, s[0:3], 0 offen
	ds_read_b32 v79, v76
	s_waitcnt vmcnt(0) lgkmcnt(0)
	v_mul_f32_e32 v78, v78, v79
	s_cbranch_execz .LBB100_362
	s_branch .LBB100_363
.LBB100_361:
                                        ; implicit-def: $vgpr78
.LBB100_362:
	ds_read_b32 v78, v76
.LBB100_363:
	v_mov_b32_e32 v79, 0
	ds_read_b32 v79, v79 offset:4
	s_waitcnt lgkmcnt(0)
	v_mul_f32_e32 v78, v78, v79
	buffer_store_dword v78, off, s[0:3], 0 offset:4
.LBB100_364:
	s_or_b64 exec, exec, s[4:5]
	buffer_load_dword v78, off, s[0:3], 0 offset:8
	v_cndmask_b32_e64 v79, 0, 1, s[10:11]
	v_cmp_gt_u32_e32 vcc, 2, v0
	v_cmp_ne_u32_e64 s[4:5], 1, v79
	s_waitcnt vmcnt(0)
	ds_write_b32 v76, v78
	s_waitcnt lgkmcnt(0)
	; wave barrier
	s_and_saveexec_b64 s[8:9], vcc
	s_cbranch_execz .LBB100_370
; %bb.365:
	s_and_b64 vcc, exec, s[4:5]
	s_cbranch_vccnz .LBB100_367
; %bb.366:
	buffer_load_dword v78, v77, s[0:3], 0 offen
	ds_read_b32 v79, v76
	s_waitcnt vmcnt(0) lgkmcnt(0)
	v_mul_f32_e32 v78, v78, v79
	s_cbranch_execz .LBB100_368
	s_branch .LBB100_369
.LBB100_367:
                                        ; implicit-def: $vgpr78
.LBB100_368:
	ds_read_b32 v78, v76
.LBB100_369:
	buffer_load_dword v81, off, s[0:3], 0 offset:4
	v_mov_b32_e32 v79, 0
	ds_read2_b32 v[79:80], v79 offset0:2 offset1:41
	s_waitcnt vmcnt(0) lgkmcnt(0)
	v_fma_f32 v80, v81, v80, v78
	v_cndmask_b32_e64 v78, v78, v80, s[6:7]
	v_mul_f32_e32 v78, v78, v79
	buffer_store_dword v78, off, s[0:3], 0 offset:8
.LBB100_370:
	s_or_b64 exec, exec, s[8:9]
	buffer_load_dword v78, off, s[0:3], 0 offset:12
	v_cmp_gt_u32_e32 vcc, 3, v0
	s_waitcnt vmcnt(0)
	ds_write_b32 v76, v78
	s_waitcnt lgkmcnt(0)
	; wave barrier
	s_and_saveexec_b64 s[8:9], vcc
	s_cbranch_execz .LBB100_378
; %bb.371:
	s_and_b64 vcc, exec, s[4:5]
	s_cbranch_vccnz .LBB100_373
; %bb.372:
	buffer_load_dword v78, v77, s[0:3], 0 offen
	ds_read_b32 v79, v76
	s_waitcnt vmcnt(0) lgkmcnt(0)
	v_mul_f32_e32 v78, v78, v79
	s_cbranch_execz .LBB100_374
	s_branch .LBB100_375
.LBB100_373:
                                        ; implicit-def: $vgpr78
.LBB100_374:
	ds_read_b32 v78, v76
.LBB100_375:
	v_cmp_ne_u32_e32 vcc, 2, v0
	s_and_saveexec_b64 s[10:11], vcc
	s_cbranch_execz .LBB100_377
; %bb.376:
	buffer_load_dword v79, v77, s[0:3], 0 offen offset:4
	buffer_load_dword v80, off, s[0:3], 0 offset:8
	v_mov_b32_e32 v81, 0
	ds_read_b32 v82, v76 offset:4
	ds_read_b32 v81, v81 offset:168
	s_waitcnt vmcnt(1) lgkmcnt(1)
	v_fmac_f32_e32 v78, v79, v82
	s_waitcnt vmcnt(0) lgkmcnt(0)
	v_fma_f32 v79, v80, v81, v78
	v_cndmask_b32_e64 v78, v78, v79, s[6:7]
.LBB100_377:
	s_or_b64 exec, exec, s[10:11]
	v_mov_b32_e32 v79, 0
	ds_read_b32 v79, v79 offset:12
	s_waitcnt lgkmcnt(0)
	v_mul_f32_e32 v78, v78, v79
	buffer_store_dword v78, off, s[0:3], 0 offset:12
.LBB100_378:
	s_or_b64 exec, exec, s[8:9]
	buffer_load_dword v78, off, s[0:3], 0 offset:16
	v_cmp_gt_u32_e32 vcc, 4, v0
	s_waitcnt vmcnt(0)
	ds_write_b32 v76, v78
	s_waitcnt lgkmcnt(0)
	; wave barrier
	s_and_saveexec_b64 s[6:7], vcc
	s_cbranch_execz .LBB100_388
; %bb.379:
	s_and_b64 vcc, exec, s[4:5]
	s_cbranch_vccnz .LBB100_381
; %bb.380:
	buffer_load_dword v78, v77, s[0:3], 0 offen
	ds_read_b32 v79, v76
	s_waitcnt vmcnt(0) lgkmcnt(0)
	v_mul_f32_e32 v78, v78, v79
	s_cbranch_execz .LBB100_382
	s_branch .LBB100_383
.LBB100_381:
                                        ; implicit-def: $vgpr78
.LBB100_382:
	ds_read_b32 v78, v76
.LBB100_383:
	v_cmp_ne_u32_e32 vcc, 3, v0
	s_and_saveexec_b64 s[8:9], vcc
	s_cbranch_execz .LBB100_387
; %bb.384:
	s_mov_b32 s10, 0
	v_add_u32_e32 v79, 0xa4, v75
	v_add3_u32 v80, v75, s10, 4
	s_mov_b64 s[10:11], 0
	v_mov_b32_e32 v81, v0
.LBB100_385:                            ; =>This Inner Loop Header: Depth=1
	buffer_load_dword v82, v80, s[0:3], 0 offen
	ds_read_b32 v83, v79
	v_add_u32_e32 v81, 1, v81
	v_cmp_lt_u32_e32 vcc, 2, v81
	v_add_u32_e32 v79, 4, v79
	v_add_u32_e32 v80, 4, v80
	s_or_b64 s[10:11], vcc, s[10:11]
	s_waitcnt vmcnt(0) lgkmcnt(0)
	v_fmac_f32_e32 v78, v82, v83
	s_andn2_b64 exec, exec, s[10:11]
	s_cbranch_execnz .LBB100_385
; %bb.386:
	s_or_b64 exec, exec, s[10:11]
.LBB100_387:
	s_or_b64 exec, exec, s[8:9]
	v_mov_b32_e32 v79, 0
	ds_read_b32 v79, v79 offset:16
	s_waitcnt lgkmcnt(0)
	v_mul_f32_e32 v78, v78, v79
	buffer_store_dword v78, off, s[0:3], 0 offset:16
.LBB100_388:
	s_or_b64 exec, exec, s[6:7]
	buffer_load_dword v78, off, s[0:3], 0 offset:20
	v_cmp_gt_u32_e32 vcc, 5, v0
	s_waitcnt vmcnt(0)
	ds_write_b32 v76, v78
	s_waitcnt lgkmcnt(0)
	; wave barrier
	s_and_saveexec_b64 s[6:7], vcc
	s_cbranch_execz .LBB100_398
; %bb.389:
	s_and_b64 vcc, exec, s[4:5]
	s_cbranch_vccnz .LBB100_391
; %bb.390:
	buffer_load_dword v78, v77, s[0:3], 0 offen
	ds_read_b32 v79, v76
	s_waitcnt vmcnt(0) lgkmcnt(0)
	v_mul_f32_e32 v78, v78, v79
	s_cbranch_execz .LBB100_392
	s_branch .LBB100_393
.LBB100_391:
                                        ; implicit-def: $vgpr78
.LBB100_392:
	ds_read_b32 v78, v76
.LBB100_393:
	v_cmp_ne_u32_e32 vcc, 4, v0
	s_and_saveexec_b64 s[8:9], vcc
	s_cbranch_execz .LBB100_397
; %bb.394:
	s_mov_b32 s10, 0
	v_add_u32_e32 v79, 0xa4, v75
	v_add3_u32 v80, v75, s10, 4
	s_mov_b64 s[10:11], 0
	v_mov_b32_e32 v81, v0
.LBB100_395:                            ; =>This Inner Loop Header: Depth=1
	buffer_load_dword v82, v80, s[0:3], 0 offen
	ds_read_b32 v83, v79
	v_add_u32_e32 v81, 1, v81
	v_cmp_lt_u32_e32 vcc, 3, v81
	v_add_u32_e32 v79, 4, v79
	v_add_u32_e32 v80, 4, v80
	s_or_b64 s[10:11], vcc, s[10:11]
	s_waitcnt vmcnt(0) lgkmcnt(0)
	v_fmac_f32_e32 v78, v82, v83
	s_andn2_b64 exec, exec, s[10:11]
	s_cbranch_execnz .LBB100_395
; %bb.396:
	s_or_b64 exec, exec, s[10:11]
.LBB100_397:
	s_or_b64 exec, exec, s[8:9]
	v_mov_b32_e32 v79, 0
	ds_read_b32 v79, v79 offset:20
	s_waitcnt lgkmcnt(0)
	v_mul_f32_e32 v78, v78, v79
	buffer_store_dword v78, off, s[0:3], 0 offset:20
.LBB100_398:
	;; [unrolled: 55-line block ×31, first 2 shown]
	s_or_b64 exec, exec, s[6:7]
	buffer_load_dword v78, off, s[0:3], 0 offset:140
	v_cmp_gt_u32_e64 s[6:7], 35, v0
	s_waitcnt vmcnt(0)
	ds_write_b32 v76, v78
	s_waitcnt lgkmcnt(0)
	; wave barrier
	s_and_saveexec_b64 s[8:9], s[6:7]
	s_cbranch_execz .LBB100_698
; %bb.689:
	s_and_b64 vcc, exec, s[4:5]
	s_cbranch_vccnz .LBB100_691
; %bb.690:
	buffer_load_dword v78, v77, s[0:3], 0 offen
	ds_read_b32 v79, v76
	s_waitcnt vmcnt(0) lgkmcnt(0)
	v_mul_f32_e32 v78, v78, v79
	s_cbranch_execz .LBB100_692
	s_branch .LBB100_693
.LBB100_691:
                                        ; implicit-def: $vgpr78
.LBB100_692:
	ds_read_b32 v78, v76
.LBB100_693:
	v_cmp_ne_u32_e32 vcc, 34, v0
	s_and_saveexec_b64 s[10:11], vcc
	s_cbranch_execz .LBB100_697
; %bb.694:
	s_mov_b32 s12, 0
	v_add_u32_e32 v79, 0xa4, v75
	v_add3_u32 v80, v75, s12, 4
	s_mov_b64 s[12:13], 0
	v_mov_b32_e32 v81, v0
.LBB100_695:                            ; =>This Inner Loop Header: Depth=1
	buffer_load_dword v82, v80, s[0:3], 0 offen
	ds_read_b32 v83, v79
	v_add_u32_e32 v81, 1, v81
	v_cmp_lt_u32_e32 vcc, 33, v81
	v_add_u32_e32 v79, 4, v79
	v_add_u32_e32 v80, 4, v80
	s_or_b64 s[12:13], vcc, s[12:13]
	s_waitcnt vmcnt(0) lgkmcnt(0)
	v_fmac_f32_e32 v78, v82, v83
	s_andn2_b64 exec, exec, s[12:13]
	s_cbranch_execnz .LBB100_695
; %bb.696:
	s_or_b64 exec, exec, s[12:13]
.LBB100_697:
	s_or_b64 exec, exec, s[10:11]
	v_mov_b32_e32 v79, 0
	ds_read_b32 v79, v79 offset:140
	s_waitcnt lgkmcnt(0)
	v_mul_f32_e32 v78, v78, v79
	buffer_store_dword v78, off, s[0:3], 0 offset:140
.LBB100_698:
	s_or_b64 exec, exec, s[8:9]
	buffer_load_dword v78, off, s[0:3], 0 offset:144
	v_cmp_ne_u32_e32 vcc, 36, v0
	s_waitcnt vmcnt(0)
	ds_write_b32 v76, v78
	s_waitcnt lgkmcnt(0)
	; wave barrier
	s_and_saveexec_b64 s[8:9], vcc
	s_cbranch_execz .LBB100_708
; %bb.699:
	s_and_b64 vcc, exec, s[4:5]
	s_cbranch_vccnz .LBB100_701
; %bb.700:
	buffer_load_dword v77, v77, s[0:3], 0 offen
	ds_read_b32 v78, v76
	s_waitcnt vmcnt(0) lgkmcnt(0)
	v_mul_f32_e32 v77, v77, v78
	s_cbranch_execz .LBB100_702
	s_branch .LBB100_703
.LBB100_701:
                                        ; implicit-def: $vgpr77
.LBB100_702:
	ds_read_b32 v77, v76
.LBB100_703:
	s_and_saveexec_b64 s[4:5], s[6:7]
	s_cbranch_execz .LBB100_707
; %bb.704:
	s_mov_b32 s6, 0
	v_add_u32_e32 v76, 0xa4, v75
	v_add3_u32 v75, v75, s6, 4
	s_mov_b64 s[6:7], 0
.LBB100_705:                            ; =>This Inner Loop Header: Depth=1
	buffer_load_dword v78, v75, s[0:3], 0 offen
	ds_read_b32 v79, v76
	v_add_u32_e32 v0, 1, v0
	v_cmp_lt_u32_e32 vcc, 34, v0
	v_add_u32_e32 v76, 4, v76
	v_add_u32_e32 v75, 4, v75
	s_or_b64 s[6:7], vcc, s[6:7]
	s_waitcnt vmcnt(0) lgkmcnt(0)
	v_fmac_f32_e32 v77, v78, v79
	s_andn2_b64 exec, exec, s[6:7]
	s_cbranch_execnz .LBB100_705
; %bb.706:
	s_or_b64 exec, exec, s[6:7]
.LBB100_707:
	s_or_b64 exec, exec, s[4:5]
	v_mov_b32_e32 v0, 0
	ds_read_b32 v0, v0 offset:144
	s_waitcnt lgkmcnt(0)
	v_mul_f32_e32 v0, v77, v0
	buffer_store_dword v0, off, s[0:3], 0 offset:144
.LBB100_708:
	s_or_b64 exec, exec, s[8:9]
.LBB100_709:
	buffer_load_dword v0, off, s[0:3], 0
	s_waitcnt vmcnt(0)
	flat_store_dword v[1:2], v0
	buffer_load_dword v0, off, s[0:3], 0 offset:4
	s_waitcnt vmcnt(0)
	flat_store_dword v[3:4], v0
	buffer_load_dword v0, off, s[0:3], 0 offset:8
	;; [unrolled: 3-line block ×36, first 2 shown]
	s_waitcnt vmcnt(0)
	flat_store_dword v[73:74], v0
.LBB100_710:
	s_endpgm
	.section	.rodata,"a",@progbits
	.p2align	6, 0x0
	.amdhsa_kernel _ZN9rocsolver6v33100L18trti2_kernel_smallILi37EfPKPfEEv13rocblas_fill_17rocblas_diagonal_T1_iil
		.amdhsa_group_segment_fixed_size 308
		.amdhsa_private_segment_fixed_size 160
		.amdhsa_kernarg_size 32
		.amdhsa_user_sgpr_count 6
		.amdhsa_user_sgpr_private_segment_buffer 1
		.amdhsa_user_sgpr_dispatch_ptr 0
		.amdhsa_user_sgpr_queue_ptr 0
		.amdhsa_user_sgpr_kernarg_segment_ptr 1
		.amdhsa_user_sgpr_dispatch_id 0
		.amdhsa_user_sgpr_flat_scratch_init 0
		.amdhsa_user_sgpr_private_segment_size 0
		.amdhsa_uses_dynamic_stack 0
		.amdhsa_system_sgpr_private_segment_wavefront_offset 1
		.amdhsa_system_sgpr_workgroup_id_x 1
		.amdhsa_system_sgpr_workgroup_id_y 0
		.amdhsa_system_sgpr_workgroup_id_z 0
		.amdhsa_system_sgpr_workgroup_info 0
		.amdhsa_system_vgpr_workitem_id 0
		.amdhsa_next_free_vgpr 84
		.amdhsa_next_free_sgpr 50
		.amdhsa_reserve_vcc 1
		.amdhsa_reserve_flat_scratch 0
		.amdhsa_float_round_mode_32 0
		.amdhsa_float_round_mode_16_64 0
		.amdhsa_float_denorm_mode_32 3
		.amdhsa_float_denorm_mode_16_64 3
		.amdhsa_dx10_clamp 1
		.amdhsa_ieee_mode 1
		.amdhsa_fp16_overflow 0
		.amdhsa_exception_fp_ieee_invalid_op 0
		.amdhsa_exception_fp_denorm_src 0
		.amdhsa_exception_fp_ieee_div_zero 0
		.amdhsa_exception_fp_ieee_overflow 0
		.amdhsa_exception_fp_ieee_underflow 0
		.amdhsa_exception_fp_ieee_inexact 0
		.amdhsa_exception_int_div_zero 0
	.end_amdhsa_kernel
	.section	.text._ZN9rocsolver6v33100L18trti2_kernel_smallILi37EfPKPfEEv13rocblas_fill_17rocblas_diagonal_T1_iil,"axG",@progbits,_ZN9rocsolver6v33100L18trti2_kernel_smallILi37EfPKPfEEv13rocblas_fill_17rocblas_diagonal_T1_iil,comdat
.Lfunc_end100:
	.size	_ZN9rocsolver6v33100L18trti2_kernel_smallILi37EfPKPfEEv13rocblas_fill_17rocblas_diagonal_T1_iil, .Lfunc_end100-_ZN9rocsolver6v33100L18trti2_kernel_smallILi37EfPKPfEEv13rocblas_fill_17rocblas_diagonal_T1_iil
                                        ; -- End function
	.set _ZN9rocsolver6v33100L18trti2_kernel_smallILi37EfPKPfEEv13rocblas_fill_17rocblas_diagonal_T1_iil.num_vgpr, 84
	.set _ZN9rocsolver6v33100L18trti2_kernel_smallILi37EfPKPfEEv13rocblas_fill_17rocblas_diagonal_T1_iil.num_agpr, 0
	.set _ZN9rocsolver6v33100L18trti2_kernel_smallILi37EfPKPfEEv13rocblas_fill_17rocblas_diagonal_T1_iil.numbered_sgpr, 50
	.set _ZN9rocsolver6v33100L18trti2_kernel_smallILi37EfPKPfEEv13rocblas_fill_17rocblas_diagonal_T1_iil.num_named_barrier, 0
	.set _ZN9rocsolver6v33100L18trti2_kernel_smallILi37EfPKPfEEv13rocblas_fill_17rocblas_diagonal_T1_iil.private_seg_size, 160
	.set _ZN9rocsolver6v33100L18trti2_kernel_smallILi37EfPKPfEEv13rocblas_fill_17rocblas_diagonal_T1_iil.uses_vcc, 1
	.set _ZN9rocsolver6v33100L18trti2_kernel_smallILi37EfPKPfEEv13rocblas_fill_17rocblas_diagonal_T1_iil.uses_flat_scratch, 0
	.set _ZN9rocsolver6v33100L18trti2_kernel_smallILi37EfPKPfEEv13rocblas_fill_17rocblas_diagonal_T1_iil.has_dyn_sized_stack, 0
	.set _ZN9rocsolver6v33100L18trti2_kernel_smallILi37EfPKPfEEv13rocblas_fill_17rocblas_diagonal_T1_iil.has_recursion, 0
	.set _ZN9rocsolver6v33100L18trti2_kernel_smallILi37EfPKPfEEv13rocblas_fill_17rocblas_diagonal_T1_iil.has_indirect_call, 0
	.section	.AMDGPU.csdata,"",@progbits
; Kernel info:
; codeLenInByte = 17840
; TotalNumSgprs: 54
; NumVgprs: 84
; ScratchSize: 160
; MemoryBound: 0
; FloatMode: 240
; IeeeMode: 1
; LDSByteSize: 308 bytes/workgroup (compile time only)
; SGPRBlocks: 6
; VGPRBlocks: 20
; NumSGPRsForWavesPerEU: 54
; NumVGPRsForWavesPerEU: 84
; Occupancy: 3
; WaveLimiterHint : 1
; COMPUTE_PGM_RSRC2:SCRATCH_EN: 1
; COMPUTE_PGM_RSRC2:USER_SGPR: 6
; COMPUTE_PGM_RSRC2:TRAP_HANDLER: 0
; COMPUTE_PGM_RSRC2:TGID_X_EN: 1
; COMPUTE_PGM_RSRC2:TGID_Y_EN: 0
; COMPUTE_PGM_RSRC2:TGID_Z_EN: 0
; COMPUTE_PGM_RSRC2:TIDIG_COMP_CNT: 0
	.section	.text._ZN9rocsolver6v33100L18trti2_kernel_smallILi38EfPKPfEEv13rocblas_fill_17rocblas_diagonal_T1_iil,"axG",@progbits,_ZN9rocsolver6v33100L18trti2_kernel_smallILi38EfPKPfEEv13rocblas_fill_17rocblas_diagonal_T1_iil,comdat
	.globl	_ZN9rocsolver6v33100L18trti2_kernel_smallILi38EfPKPfEEv13rocblas_fill_17rocblas_diagonal_T1_iil ; -- Begin function _ZN9rocsolver6v33100L18trti2_kernel_smallILi38EfPKPfEEv13rocblas_fill_17rocblas_diagonal_T1_iil
	.p2align	8
	.type	_ZN9rocsolver6v33100L18trti2_kernel_smallILi38EfPKPfEEv13rocblas_fill_17rocblas_diagonal_T1_iil,@function
_ZN9rocsolver6v33100L18trti2_kernel_smallILi38EfPKPfEEv13rocblas_fill_17rocblas_diagonal_T1_iil: ; @_ZN9rocsolver6v33100L18trti2_kernel_smallILi38EfPKPfEEv13rocblas_fill_17rocblas_diagonal_T1_iil
; %bb.0:
	s_add_u32 s0, s0, s7
	s_addc_u32 s1, s1, 0
	v_cmp_gt_u32_e32 vcc, 38, v0
	s_and_saveexec_b64 s[8:9], vcc
	s_cbranch_execz .LBB101_730
; %bb.1:
	s_load_dwordx2 s[12:13], s[4:5], 0x10
	s_load_dwordx4 s[8:11], s[4:5], 0x0
	s_ashr_i32 s7, s6, 31
	s_lshl_b64 s[6:7], s[6:7], 3
	v_lshlrev_b32_e32 v77, 2, v0
	s_waitcnt lgkmcnt(0)
	s_ashr_i32 s5, s12, 31
	s_add_u32 s6, s10, s6
	s_addc_u32 s7, s11, s7
	s_load_dwordx2 s[6:7], s[6:7], 0x0
	s_mov_b32 s4, s12
	s_lshl_b64 s[4:5], s[4:5], 2
	s_movk_i32 s12, 0x84
	s_waitcnt lgkmcnt(0)
	s_add_u32 s4, s6, s4
	s_addc_u32 s5, s7, s5
	v_mov_b32_e32 v2, s5
	v_add_co_u32_e32 v1, vcc, s4, v77
	v_addc_co_u32_e32 v2, vcc, 0, v2, vcc
	flat_load_dword v5, v[1:2]
	s_mov_b32 s6, s13
	s_ashr_i32 s7, s13, 31
	s_lshl_b64 s[6:7], s[6:7], 2
	v_mov_b32_e32 v4, s7
	v_add_co_u32_e32 v3, vcc, s6, v1
	v_addc_co_u32_e32 v4, vcc, v2, v4, vcc
	s_add_i32 s6, s13, s13
	v_add_u32_e32 v7, s6, v0
	v_ashrrev_i32_e32 v8, 31, v7
	v_mov_b32_e32 v10, s5
	v_mov_b32_e32 v12, s5
	;; [unrolled: 1-line block ×35, first 2 shown]
	s_cmpk_lg_i32 s9, 0x84
	s_cselect_b64 s[10:11], -1, 0
	s_cmpk_eq_i32 s9, 0x84
	s_waitcnt vmcnt(0) lgkmcnt(0)
	buffer_store_dword v5, off, s[0:3], 0
	flat_load_dword v9, v[3:4]
	v_lshlrev_b64 v[5:6], 2, v[7:8]
	v_add_co_u32_e32 v5, vcc, s4, v5
	v_addc_co_u32_e32 v6, vcc, v10, v6, vcc
	s_waitcnt vmcnt(0) lgkmcnt(0)
	buffer_store_dword v9, off, s[0:3], 0 offset:4
	flat_load_dword v11, v[5:6]
	v_add_u32_e32 v9, s13, v7
	v_ashrrev_i32_e32 v10, 31, v9
	v_lshlrev_b64 v[7:8], 2, v[9:10]
	v_add_co_u32_e32 v7, vcc, s4, v7
	v_addc_co_u32_e32 v8, vcc, v12, v8, vcc
	s_waitcnt vmcnt(0) lgkmcnt(0)
	buffer_store_dword v11, off, s[0:3], 0 offset:8
	flat_load_dword v13, v[7:8]
	v_add_u32_e32 v11, s13, v9
	v_ashrrev_i32_e32 v12, 31, v11
	;; [unrolled: 8-line block ×34, first 2 shown]
	v_lshlrev_b64 v[73:74], 2, v[75:76]
	v_add_u32_e32 v75, s13, v75
	v_add_co_u32_e32 v73, vcc, s4, v73
	v_addc_co_u32_e32 v74, vcc, v79, v74, vcc
	v_ashrrev_i32_e32 v76, 31, v75
	v_lshlrev_b64 v[75:76], 2, v[75:76]
	v_add_co_u32_e32 v75, vcc, s4, v75
	v_addc_co_u32_e32 v76, vcc, v79, v76, vcc
	s_waitcnt vmcnt(0) lgkmcnt(0)
	buffer_store_dword v78, off, s[0:3], 0 offset:140
	flat_load_dword v78, v[73:74]
	s_waitcnt vmcnt(0) lgkmcnt(0)
	buffer_store_dword v78, off, s[0:3], 0 offset:144
	flat_load_dword v78, v[75:76]
	s_waitcnt vmcnt(0) lgkmcnt(0)
	buffer_store_dword v78, off, s[0:3], 0 offset:148
	v_mov_b32_e32 v78, -1.0
	s_cbranch_scc1 .LBB101_3
; %bb.2:
	v_mov_b32_e32 v78, 0
	v_lshl_add_u32 v78, v0, 2, v78
	buffer_load_dword v79, v78, s[0:3], 0 offen
	s_waitcnt vmcnt(0)
	v_div_scale_f32 v80, s[4:5], v79, v79, 1.0
	v_div_scale_f32 v81, vcc, 1.0, v79, 1.0
	v_rcp_f32_e32 v82, v80
	v_fma_f32 v83, -v80, v82, 1.0
	v_fmac_f32_e32 v82, v83, v82
	v_mul_f32_e32 v83, v81, v82
	v_fma_f32 v84, -v80, v83, v81
	v_fmac_f32_e32 v83, v84, v82
	v_fma_f32 v80, -v80, v83, v81
	v_div_fmas_f32 v80, v80, v82, v83
	v_div_fixup_f32 v79, v80, v79, 1.0
	buffer_store_dword v79, v78, s[0:3], 0 offen
	v_xor_b32_e32 v78, 0x80000000, v79
.LBB101_3:
	ds_write_b32 v77, v78
	s_cmpk_eq_i32 s8, 0x79
	v_add_u32_e32 v78, 0xa0, v77
	v_mov_b32_e32 v79, v77
	s_mov_b64 s[4:5], -1
	s_cbranch_scc1 .LBB101_367
; %bb.4:
	buffer_load_dword v80, off, s[0:3], 0 offset:144
	s_movk_i32 s30, 0x44
	s_movk_i32 s31, 0x48
	;; [unrolled: 1-line block ×18, first 2 shown]
	v_cmp_eq_u32_e64 s[4:5], 37, v0
	s_waitcnt vmcnt(0)
	ds_write_b32 v78, v80
	s_waitcnt lgkmcnt(0)
	; wave barrier
	s_and_saveexec_b64 s[6:7], s[4:5]
	s_cbranch_execz .LBB101_10
; %bb.5:
	s_and_b64 vcc, exec, s[10:11]
	s_cbranch_vccz .LBB101_7
; %bb.6:
	buffer_load_dword v80, v79, s[0:3], 0 offen
	ds_read_b32 v81, v78
	s_waitcnt vmcnt(0) lgkmcnt(0)
	v_mul_f32_e32 v80, v80, v81
	s_cbranch_execz .LBB101_8
	s_branch .LBB101_9
.LBB101_7:
                                        ; implicit-def: $vgpr80
.LBB101_8:
	ds_read_b32 v80, v78
.LBB101_9:
	v_mov_b32_e32 v81, 0
	ds_read_b32 v81, v81 offset:144
	s_waitcnt lgkmcnt(0)
	v_mul_f32_e32 v80, v80, v81
	buffer_store_dword v80, off, s[0:3], 0 offset:144
.LBB101_10:
	s_or_b64 exec, exec, s[6:7]
	buffer_load_dword v80, off, s[0:3], 0 offset:140
	s_or_b32 s14, 0, 4
	s_or_b32 s15, 0, 8
	;; [unrolled: 1-line block ×3, first 2 shown]
	s_mov_b32 s17, 16
	s_mov_b32 s18, 20
	;; [unrolled: 1-line block ×15, first 2 shown]
	v_cmp_lt_u32_e64 s[6:7], 35, v0
	s_waitcnt vmcnt(0)
	ds_write_b32 v78, v80
	s_waitcnt lgkmcnt(0)
	; wave barrier
	s_and_saveexec_b64 s[8:9], s[6:7]
	s_cbranch_execz .LBB101_16
; %bb.11:
	s_andn2_b64 vcc, exec, s[10:11]
	s_cbranch_vccnz .LBB101_13
; %bb.12:
	buffer_load_dword v80, v79, s[0:3], 0 offen
	ds_read_b32 v81, v78
	s_waitcnt vmcnt(0) lgkmcnt(0)
	v_mul_f32_e32 v80, v80, v81
	s_cbranch_execz .LBB101_14
	s_branch .LBB101_15
.LBB101_13:
                                        ; implicit-def: $vgpr80
.LBB101_14:
	ds_read_b32 v80, v78
.LBB101_15:
	buffer_load_dword v83, off, s[0:3], 0 offset:144
	v_mov_b32_e32 v81, 0
	ds_read2_b32 v[81:82], v81 offset0:35 offset1:76
	s_waitcnt vmcnt(0) lgkmcnt(0)
	v_fma_f32 v82, v83, v82, v80
	v_cndmask_b32_e64 v80, v80, v82, s[4:5]
	v_mul_f32_e32 v80, v80, v81
	buffer_store_dword v80, off, s[0:3], 0 offset:140
.LBB101_16:
	s_or_b64 exec, exec, s[8:9]
	buffer_load_dword v80, off, s[0:3], 0 offset:136
	v_cmp_lt_u32_e64 s[4:5], 34, v0
	s_waitcnt vmcnt(0)
	ds_write_b32 v78, v80
	s_waitcnt lgkmcnt(0)
	; wave barrier
	s_and_saveexec_b64 s[8:9], s[4:5]
	s_cbranch_execz .LBB101_26
; %bb.17:
	s_andn2_b64 vcc, exec, s[10:11]
	s_cbranch_vccnz .LBB101_19
; %bb.18:
	buffer_load_dword v80, v79, s[0:3], 0 offen
	ds_read_b32 v81, v78
	s_waitcnt vmcnt(0) lgkmcnt(0)
	v_mul_f32_e32 v80, v80, v81
	s_cbranch_execz .LBB101_20
	s_branch .LBB101_21
.LBB101_19:
                                        ; implicit-def: $vgpr80
.LBB101_20:
	ds_read_b32 v80, v78
.LBB101_21:
	s_and_saveexec_b64 s[12:13], s[6:7]
	s_cbranch_execz .LBB101_25
; %bb.22:
	v_subrev_u32_e32 v81, 35, v0
	s_movk_i32 s50, 0x12c
	s_mov_b64 s[6:7], 0
.LBB101_23:                             ; =>This Inner Loop Header: Depth=1
	v_mov_b32_e32 v82, s49
	buffer_load_dword v82, v82, s[0:3], 0 offen
	v_mov_b32_e32 v83, s50
	ds_read_b32 v83, v83
	v_add_u32_e32 v81, -1, v81
	s_add_i32 s50, s50, 4
	s_add_i32 s49, s49, 4
	v_cmp_eq_u32_e32 vcc, 0, v81
	s_or_b64 s[6:7], vcc, s[6:7]
	s_waitcnt vmcnt(0) lgkmcnt(0)
	v_fmac_f32_e32 v80, v82, v83
	s_andn2_b64 exec, exec, s[6:7]
	s_cbranch_execnz .LBB101_23
; %bb.24:
	s_or_b64 exec, exec, s[6:7]
.LBB101_25:
	s_or_b64 exec, exec, s[12:13]
	v_mov_b32_e32 v81, 0
	ds_read_b32 v81, v81 offset:136
	s_waitcnt lgkmcnt(0)
	v_mul_f32_e32 v80, v80, v81
	buffer_store_dword v80, off, s[0:3], 0 offset:136
.LBB101_26:
	s_or_b64 exec, exec, s[8:9]
	buffer_load_dword v80, off, s[0:3], 0 offset:132
	v_cmp_lt_u32_e64 s[6:7], 33, v0
	s_waitcnt vmcnt(0)
	ds_write_b32 v78, v80
	s_waitcnt lgkmcnt(0)
	; wave barrier
	s_and_saveexec_b64 s[8:9], s[6:7]
	s_cbranch_execz .LBB101_36
; %bb.27:
	s_andn2_b64 vcc, exec, s[10:11]
	s_cbranch_vccnz .LBB101_29
; %bb.28:
	buffer_load_dword v80, v79, s[0:3], 0 offen
	ds_read_b32 v81, v78
	s_waitcnt vmcnt(0) lgkmcnt(0)
	v_mul_f32_e32 v80, v80, v81
	s_cbranch_execz .LBB101_30
	s_branch .LBB101_31
.LBB101_29:
                                        ; implicit-def: $vgpr80
.LBB101_30:
	ds_read_b32 v80, v78
.LBB101_31:
	s_and_saveexec_b64 s[12:13], s[4:5]
	s_cbranch_execz .LBB101_35
; %bb.32:
	v_subrev_u32_e32 v81, 34, v0
	s_movk_i32 s49, 0x128
	s_mov_b64 s[4:5], 0
.LBB101_33:                             ; =>This Inner Loop Header: Depth=1
	v_mov_b32_e32 v82, s48
	buffer_load_dword v82, v82, s[0:3], 0 offen
	v_mov_b32_e32 v83, s49
	ds_read_b32 v83, v83
	v_add_u32_e32 v81, -1, v81
	s_add_i32 s49, s49, 4
	s_add_i32 s48, s48, 4
	v_cmp_eq_u32_e32 vcc, 0, v81
	s_or_b64 s[4:5], vcc, s[4:5]
	s_waitcnt vmcnt(0) lgkmcnt(0)
	v_fmac_f32_e32 v80, v82, v83
	s_andn2_b64 exec, exec, s[4:5]
	s_cbranch_execnz .LBB101_33
; %bb.34:
	s_or_b64 exec, exec, s[4:5]
.LBB101_35:
	s_or_b64 exec, exec, s[12:13]
	v_mov_b32_e32 v81, 0
	ds_read_b32 v81, v81 offset:132
	s_waitcnt lgkmcnt(0)
	v_mul_f32_e32 v80, v80, v81
	buffer_store_dword v80, off, s[0:3], 0 offset:132
.LBB101_36:
	;; [unrolled: 54-line block ×8, first 2 shown]
	s_or_b64 exec, exec, s[8:9]
	buffer_load_dword v80, off, s[0:3], 0 offset:104
	v_cmp_lt_u32_e64 s[4:5], 26, v0
	s_waitcnt vmcnt(0)
	ds_write_b32 v78, v80
	s_waitcnt lgkmcnt(0)
	; wave barrier
	s_and_saveexec_b64 s[8:9], s[4:5]
	s_cbranch_execz .LBB101_106
; %bb.97:
	s_andn2_b64 vcc, exec, s[10:11]
	s_cbranch_vccnz .LBB101_99
; %bb.98:
	buffer_load_dword v80, v79, s[0:3], 0 offen
	ds_read_b32 v81, v78
	s_waitcnt vmcnt(0) lgkmcnt(0)
	v_mul_f32_e32 v80, v80, v81
	s_cbranch_execz .LBB101_100
	s_branch .LBB101_101
.LBB101_99:
                                        ; implicit-def: $vgpr80
.LBB101_100:
	ds_read_b32 v80, v78
.LBB101_101:
	s_and_saveexec_b64 s[12:13], s[6:7]
	s_cbranch_execz .LBB101_105
; %bb.102:
	v_subrev_u32_e32 v81, 27, v0
	s_movk_i32 s42, 0x10c
	s_mov_b64 s[6:7], 0
.LBB101_103:                            ; =>This Inner Loop Header: Depth=1
	v_mov_b32_e32 v82, s41
	buffer_load_dword v82, v82, s[0:3], 0 offen
	v_mov_b32_e32 v83, s42
	ds_read_b32 v83, v83
	v_add_u32_e32 v81, -1, v81
	s_add_i32 s42, s42, 4
	s_add_i32 s41, s41, 4
	v_cmp_eq_u32_e32 vcc, 0, v81
	s_or_b64 s[6:7], vcc, s[6:7]
	s_waitcnt vmcnt(0) lgkmcnt(0)
	v_fmac_f32_e32 v80, v82, v83
	s_andn2_b64 exec, exec, s[6:7]
	s_cbranch_execnz .LBB101_103
; %bb.104:
	s_or_b64 exec, exec, s[6:7]
.LBB101_105:
	s_or_b64 exec, exec, s[12:13]
	v_mov_b32_e32 v81, 0
	ds_read_b32 v81, v81 offset:104
	s_waitcnt lgkmcnt(0)
	v_mul_f32_e32 v80, v80, v81
	buffer_store_dword v80, off, s[0:3], 0 offset:104
.LBB101_106:
	s_or_b64 exec, exec, s[8:9]
	buffer_load_dword v80, off, s[0:3], 0 offset:100
	v_cmp_lt_u32_e64 s[6:7], 25, v0
	s_waitcnt vmcnt(0)
	ds_write_b32 v78, v80
	s_waitcnt lgkmcnt(0)
	; wave barrier
	s_and_saveexec_b64 s[8:9], s[6:7]
	s_cbranch_execz .LBB101_116
; %bb.107:
	s_andn2_b64 vcc, exec, s[10:11]
	s_cbranch_vccnz .LBB101_109
; %bb.108:
	buffer_load_dword v80, v79, s[0:3], 0 offen
	ds_read_b32 v81, v78
	s_waitcnt vmcnt(0) lgkmcnt(0)
	v_mul_f32_e32 v80, v80, v81
	s_cbranch_execz .LBB101_110
	s_branch .LBB101_111
.LBB101_109:
                                        ; implicit-def: $vgpr80
.LBB101_110:
	ds_read_b32 v80, v78
.LBB101_111:
	s_and_saveexec_b64 s[12:13], s[4:5]
	s_cbranch_execz .LBB101_115
; %bb.112:
	v_subrev_u32_e32 v81, 26, v0
	s_movk_i32 s41, 0x108
	s_mov_b64 s[4:5], 0
.LBB101_113:                            ; =>This Inner Loop Header: Depth=1
	v_mov_b32_e32 v82, s40
	buffer_load_dword v82, v82, s[0:3], 0 offen
	v_mov_b32_e32 v83, s41
	ds_read_b32 v83, v83
	v_add_u32_e32 v81, -1, v81
	s_add_i32 s41, s41, 4
	s_add_i32 s40, s40, 4
	v_cmp_eq_u32_e32 vcc, 0, v81
	s_or_b64 s[4:5], vcc, s[4:5]
	s_waitcnt vmcnt(0) lgkmcnt(0)
	v_fmac_f32_e32 v80, v82, v83
	s_andn2_b64 exec, exec, s[4:5]
	s_cbranch_execnz .LBB101_113
; %bb.114:
	s_or_b64 exec, exec, s[4:5]
.LBB101_115:
	s_or_b64 exec, exec, s[12:13]
	v_mov_b32_e32 v81, 0
	ds_read_b32 v81, v81 offset:100
	s_waitcnt lgkmcnt(0)
	v_mul_f32_e32 v80, v80, v81
	buffer_store_dword v80, off, s[0:3], 0 offset:100
.LBB101_116:
	;; [unrolled: 54-line block ×11, first 2 shown]
	s_or_b64 exec, exec, s[8:9]
	buffer_load_dword v80, off, s[0:3], 0 offset:60
	v_cmp_lt_u32_e64 s[6:7], 15, v0
	s_waitcnt vmcnt(0)
	ds_write_b32 v78, v80
	s_waitcnt lgkmcnt(0)
	; wave barrier
	s_and_saveexec_b64 s[8:9], s[6:7]
	s_cbranch_execz .LBB101_216
; %bb.207:
	s_andn2_b64 vcc, exec, s[10:11]
	s_cbranch_vccnz .LBB101_209
; %bb.208:
	buffer_load_dword v80, v79, s[0:3], 0 offen
	ds_read_b32 v81, v78
	s_waitcnt vmcnt(0) lgkmcnt(0)
	v_mul_f32_e32 v80, v80, v81
	s_cbranch_execz .LBB101_210
	s_branch .LBB101_211
.LBB101_209:
                                        ; implicit-def: $vgpr80
.LBB101_210:
	ds_read_b32 v80, v78
.LBB101_211:
	s_and_saveexec_b64 s[12:13], s[4:5]
	s_cbranch_execz .LBB101_215
; %bb.212:
	v_add_u32_e32 v81, -16, v0
	s_movk_i32 s30, 0xe0
	s_mov_b64 s[4:5], 0
.LBB101_213:                            ; =>This Inner Loop Header: Depth=1
	v_mov_b32_e32 v82, s29
	buffer_load_dword v82, v82, s[0:3], 0 offen
	v_mov_b32_e32 v83, s30
	ds_read_b32 v83, v83
	v_add_u32_e32 v81, -1, v81
	s_add_i32 s30, s30, 4
	s_add_i32 s29, s29, 4
	v_cmp_eq_u32_e32 vcc, 0, v81
	s_or_b64 s[4:5], vcc, s[4:5]
	s_waitcnt vmcnt(0) lgkmcnt(0)
	v_fmac_f32_e32 v80, v82, v83
	s_andn2_b64 exec, exec, s[4:5]
	s_cbranch_execnz .LBB101_213
; %bb.214:
	s_or_b64 exec, exec, s[4:5]
.LBB101_215:
	s_or_b64 exec, exec, s[12:13]
	v_mov_b32_e32 v81, 0
	ds_read_b32 v81, v81 offset:60
	s_waitcnt lgkmcnt(0)
	v_mul_f32_e32 v80, v80, v81
	buffer_store_dword v80, off, s[0:3], 0 offset:60
.LBB101_216:
	s_or_b64 exec, exec, s[8:9]
	buffer_load_dword v80, off, s[0:3], 0 offset:56
	v_cmp_lt_u32_e64 s[4:5], 14, v0
	s_waitcnt vmcnt(0)
	ds_write_b32 v78, v80
	s_waitcnt lgkmcnt(0)
	; wave barrier
	s_and_saveexec_b64 s[8:9], s[4:5]
	s_cbranch_execz .LBB101_226
; %bb.217:
	s_andn2_b64 vcc, exec, s[10:11]
	s_cbranch_vccnz .LBB101_219
; %bb.218:
	buffer_load_dword v80, v79, s[0:3], 0 offen
	ds_read_b32 v81, v78
	s_waitcnt vmcnt(0) lgkmcnt(0)
	v_mul_f32_e32 v80, v80, v81
	s_cbranch_execz .LBB101_220
	s_branch .LBB101_221
.LBB101_219:
                                        ; implicit-def: $vgpr80
.LBB101_220:
	ds_read_b32 v80, v78
.LBB101_221:
	s_and_saveexec_b64 s[12:13], s[6:7]
	s_cbranch_execz .LBB101_225
; %bb.222:
	v_add_u32_e32 v81, -15, v0
	s_movk_i32 s29, 0xdc
	s_mov_b64 s[6:7], 0
.LBB101_223:                            ; =>This Inner Loop Header: Depth=1
	v_mov_b32_e32 v82, s28
	buffer_load_dword v82, v82, s[0:3], 0 offen
	v_mov_b32_e32 v83, s29
	ds_read_b32 v83, v83
	v_add_u32_e32 v81, -1, v81
	s_add_i32 s29, s29, 4
	s_add_i32 s28, s28, 4
	v_cmp_eq_u32_e32 vcc, 0, v81
	s_or_b64 s[6:7], vcc, s[6:7]
	s_waitcnt vmcnt(0) lgkmcnt(0)
	v_fmac_f32_e32 v80, v82, v83
	s_andn2_b64 exec, exec, s[6:7]
	s_cbranch_execnz .LBB101_223
; %bb.224:
	s_or_b64 exec, exec, s[6:7]
.LBB101_225:
	s_or_b64 exec, exec, s[12:13]
	v_mov_b32_e32 v81, 0
	ds_read_b32 v81, v81 offset:56
	s_waitcnt lgkmcnt(0)
	v_mul_f32_e32 v80, v80, v81
	buffer_store_dword v80, off, s[0:3], 0 offset:56
.LBB101_226:
	s_or_b64 exec, exec, s[8:9]
	buffer_load_dword v80, off, s[0:3], 0 offset:52
	v_cmp_lt_u32_e64 s[6:7], 13, v0
	s_waitcnt vmcnt(0)
	ds_write_b32 v78, v80
	s_waitcnt lgkmcnt(0)
	; wave barrier
	s_and_saveexec_b64 s[8:9], s[6:7]
	s_cbranch_execz .LBB101_236
; %bb.227:
	s_andn2_b64 vcc, exec, s[10:11]
	s_cbranch_vccnz .LBB101_229
; %bb.228:
	buffer_load_dword v80, v79, s[0:3], 0 offen
	ds_read_b32 v81, v78
	s_waitcnt vmcnt(0) lgkmcnt(0)
	v_mul_f32_e32 v80, v80, v81
	s_cbranch_execz .LBB101_230
	s_branch .LBB101_231
.LBB101_229:
                                        ; implicit-def: $vgpr80
.LBB101_230:
	ds_read_b32 v80, v78
.LBB101_231:
	s_and_saveexec_b64 s[12:13], s[4:5]
	s_cbranch_execz .LBB101_235
; %bb.232:
	v_add_u32_e32 v81, -14, v0
	s_movk_i32 s28, 0xd8
	s_mov_b64 s[4:5], 0
.LBB101_233:                            ; =>This Inner Loop Header: Depth=1
	v_mov_b32_e32 v82, s27
	buffer_load_dword v82, v82, s[0:3], 0 offen
	v_mov_b32_e32 v83, s28
	ds_read_b32 v83, v83
	v_add_u32_e32 v81, -1, v81
	s_add_i32 s28, s28, 4
	s_add_i32 s27, s27, 4
	v_cmp_eq_u32_e32 vcc, 0, v81
	s_or_b64 s[4:5], vcc, s[4:5]
	s_waitcnt vmcnt(0) lgkmcnt(0)
	v_fmac_f32_e32 v80, v82, v83
	s_andn2_b64 exec, exec, s[4:5]
	s_cbranch_execnz .LBB101_233
; %bb.234:
	s_or_b64 exec, exec, s[4:5]
.LBB101_235:
	s_or_b64 exec, exec, s[12:13]
	v_mov_b32_e32 v81, 0
	ds_read_b32 v81, v81 offset:52
	s_waitcnt lgkmcnt(0)
	v_mul_f32_e32 v80, v80, v81
	buffer_store_dword v80, off, s[0:3], 0 offset:52
.LBB101_236:
	s_or_b64 exec, exec, s[8:9]
	buffer_load_dword v80, off, s[0:3], 0 offset:48
	v_cmp_lt_u32_e64 s[4:5], 12, v0
	s_waitcnt vmcnt(0)
	ds_write_b32 v78, v80
	s_waitcnt lgkmcnt(0)
	; wave barrier
	s_and_saveexec_b64 s[8:9], s[4:5]
	s_cbranch_execz .LBB101_246
; %bb.237:
	s_andn2_b64 vcc, exec, s[10:11]
	s_cbranch_vccnz .LBB101_239
; %bb.238:
	buffer_load_dword v80, v79, s[0:3], 0 offen
	ds_read_b32 v81, v78
	s_waitcnt vmcnt(0) lgkmcnt(0)
	v_mul_f32_e32 v80, v80, v81
	s_cbranch_execz .LBB101_240
	s_branch .LBB101_241
.LBB101_239:
                                        ; implicit-def: $vgpr80
.LBB101_240:
	ds_read_b32 v80, v78
.LBB101_241:
	s_and_saveexec_b64 s[12:13], s[6:7]
	s_cbranch_execz .LBB101_245
; %bb.242:
	v_add_u32_e32 v81, -13, v0
	s_movk_i32 s27, 0xd4
	s_mov_b64 s[6:7], 0
.LBB101_243:                            ; =>This Inner Loop Header: Depth=1
	v_mov_b32_e32 v82, s26
	buffer_load_dword v82, v82, s[0:3], 0 offen
	v_mov_b32_e32 v83, s27
	ds_read_b32 v83, v83
	v_add_u32_e32 v81, -1, v81
	s_add_i32 s27, s27, 4
	s_add_i32 s26, s26, 4
	v_cmp_eq_u32_e32 vcc, 0, v81
	s_or_b64 s[6:7], vcc, s[6:7]
	s_waitcnt vmcnt(0) lgkmcnt(0)
	v_fmac_f32_e32 v80, v82, v83
	s_andn2_b64 exec, exec, s[6:7]
	s_cbranch_execnz .LBB101_243
; %bb.244:
	s_or_b64 exec, exec, s[6:7]
.LBB101_245:
	s_or_b64 exec, exec, s[12:13]
	v_mov_b32_e32 v81, 0
	ds_read_b32 v81, v81 offset:48
	s_waitcnt lgkmcnt(0)
	v_mul_f32_e32 v80, v80, v81
	buffer_store_dword v80, off, s[0:3], 0 offset:48
.LBB101_246:
	s_or_b64 exec, exec, s[8:9]
	buffer_load_dword v80, off, s[0:3], 0 offset:44
	v_cmp_lt_u32_e64 s[6:7], 11, v0
	s_waitcnt vmcnt(0)
	ds_write_b32 v78, v80
	s_waitcnt lgkmcnt(0)
	; wave barrier
	s_and_saveexec_b64 s[8:9], s[6:7]
	s_cbranch_execz .LBB101_256
; %bb.247:
	s_andn2_b64 vcc, exec, s[10:11]
	s_cbranch_vccnz .LBB101_249
; %bb.248:
	buffer_load_dword v80, v79, s[0:3], 0 offen
	ds_read_b32 v81, v78
	s_waitcnt vmcnt(0) lgkmcnt(0)
	v_mul_f32_e32 v80, v80, v81
	s_cbranch_execz .LBB101_250
	s_branch .LBB101_251
.LBB101_249:
                                        ; implicit-def: $vgpr80
.LBB101_250:
	ds_read_b32 v80, v78
.LBB101_251:
	s_and_saveexec_b64 s[12:13], s[4:5]
	s_cbranch_execz .LBB101_255
; %bb.252:
	v_add_u32_e32 v81, -12, v0
	s_movk_i32 s26, 0xd0
	s_mov_b64 s[4:5], 0
.LBB101_253:                            ; =>This Inner Loop Header: Depth=1
	v_mov_b32_e32 v82, s25
	buffer_load_dword v82, v82, s[0:3], 0 offen
	v_mov_b32_e32 v83, s26
	ds_read_b32 v83, v83
	v_add_u32_e32 v81, -1, v81
	s_add_i32 s26, s26, 4
	s_add_i32 s25, s25, 4
	v_cmp_eq_u32_e32 vcc, 0, v81
	s_or_b64 s[4:5], vcc, s[4:5]
	s_waitcnt vmcnt(0) lgkmcnt(0)
	v_fmac_f32_e32 v80, v82, v83
	s_andn2_b64 exec, exec, s[4:5]
	s_cbranch_execnz .LBB101_253
; %bb.254:
	s_or_b64 exec, exec, s[4:5]
.LBB101_255:
	s_or_b64 exec, exec, s[12:13]
	v_mov_b32_e32 v81, 0
	ds_read_b32 v81, v81 offset:44
	s_waitcnt lgkmcnt(0)
	v_mul_f32_e32 v80, v80, v81
	buffer_store_dword v80, off, s[0:3], 0 offset:44
.LBB101_256:
	s_or_b64 exec, exec, s[8:9]
	buffer_load_dword v80, off, s[0:3], 0 offset:40
	v_cmp_lt_u32_e64 s[4:5], 10, v0
	s_waitcnt vmcnt(0)
	ds_write_b32 v78, v80
	s_waitcnt lgkmcnt(0)
	; wave barrier
	s_and_saveexec_b64 s[8:9], s[4:5]
	s_cbranch_execz .LBB101_266
; %bb.257:
	s_andn2_b64 vcc, exec, s[10:11]
	s_cbranch_vccnz .LBB101_259
; %bb.258:
	buffer_load_dword v80, v79, s[0:3], 0 offen
	ds_read_b32 v81, v78
	s_waitcnt vmcnt(0) lgkmcnt(0)
	v_mul_f32_e32 v80, v80, v81
	s_cbranch_execz .LBB101_260
	s_branch .LBB101_261
.LBB101_259:
                                        ; implicit-def: $vgpr80
.LBB101_260:
	ds_read_b32 v80, v78
.LBB101_261:
	s_and_saveexec_b64 s[12:13], s[6:7]
	s_cbranch_execz .LBB101_265
; %bb.262:
	v_add_u32_e32 v81, -11, v0
	s_movk_i32 s25, 0xcc
	s_mov_b64 s[6:7], 0
.LBB101_263:                            ; =>This Inner Loop Header: Depth=1
	v_mov_b32_e32 v82, s24
	buffer_load_dword v82, v82, s[0:3], 0 offen
	v_mov_b32_e32 v83, s25
	ds_read_b32 v83, v83
	v_add_u32_e32 v81, -1, v81
	s_add_i32 s25, s25, 4
	s_add_i32 s24, s24, 4
	v_cmp_eq_u32_e32 vcc, 0, v81
	s_or_b64 s[6:7], vcc, s[6:7]
	s_waitcnt vmcnt(0) lgkmcnt(0)
	v_fmac_f32_e32 v80, v82, v83
	s_andn2_b64 exec, exec, s[6:7]
	s_cbranch_execnz .LBB101_263
; %bb.264:
	s_or_b64 exec, exec, s[6:7]
.LBB101_265:
	s_or_b64 exec, exec, s[12:13]
	v_mov_b32_e32 v81, 0
	ds_read_b32 v81, v81 offset:40
	s_waitcnt lgkmcnt(0)
	v_mul_f32_e32 v80, v80, v81
	buffer_store_dword v80, off, s[0:3], 0 offset:40
.LBB101_266:
	s_or_b64 exec, exec, s[8:9]
	buffer_load_dword v80, off, s[0:3], 0 offset:36
	v_cmp_lt_u32_e64 s[6:7], 9, v0
	s_waitcnt vmcnt(0)
	ds_write_b32 v78, v80
	s_waitcnt lgkmcnt(0)
	; wave barrier
	s_and_saveexec_b64 s[8:9], s[6:7]
	s_cbranch_execz .LBB101_276
; %bb.267:
	s_andn2_b64 vcc, exec, s[10:11]
	s_cbranch_vccnz .LBB101_269
; %bb.268:
	buffer_load_dword v80, v79, s[0:3], 0 offen
	ds_read_b32 v81, v78
	s_waitcnt vmcnt(0) lgkmcnt(0)
	v_mul_f32_e32 v80, v80, v81
	s_cbranch_execz .LBB101_270
	s_branch .LBB101_271
.LBB101_269:
                                        ; implicit-def: $vgpr80
.LBB101_270:
	ds_read_b32 v80, v78
.LBB101_271:
	s_and_saveexec_b64 s[12:13], s[4:5]
	s_cbranch_execz .LBB101_275
; %bb.272:
	v_add_u32_e32 v81, -10, v0
	s_movk_i32 s24, 0xc8
	s_mov_b64 s[4:5], 0
.LBB101_273:                            ; =>This Inner Loop Header: Depth=1
	v_mov_b32_e32 v82, s23
	buffer_load_dword v82, v82, s[0:3], 0 offen
	v_mov_b32_e32 v83, s24
	ds_read_b32 v83, v83
	v_add_u32_e32 v81, -1, v81
	s_add_i32 s24, s24, 4
	s_add_i32 s23, s23, 4
	v_cmp_eq_u32_e32 vcc, 0, v81
	s_or_b64 s[4:5], vcc, s[4:5]
	s_waitcnt vmcnt(0) lgkmcnt(0)
	v_fmac_f32_e32 v80, v82, v83
	s_andn2_b64 exec, exec, s[4:5]
	s_cbranch_execnz .LBB101_273
; %bb.274:
	s_or_b64 exec, exec, s[4:5]
.LBB101_275:
	s_or_b64 exec, exec, s[12:13]
	v_mov_b32_e32 v81, 0
	ds_read_b32 v81, v81 offset:36
	s_waitcnt lgkmcnt(0)
	v_mul_f32_e32 v80, v80, v81
	buffer_store_dword v80, off, s[0:3], 0 offset:36
.LBB101_276:
	s_or_b64 exec, exec, s[8:9]
	buffer_load_dword v80, off, s[0:3], 0 offset:32
	v_cmp_lt_u32_e64 s[4:5], 8, v0
	s_waitcnt vmcnt(0)
	ds_write_b32 v78, v80
	s_waitcnt lgkmcnt(0)
	; wave barrier
	s_and_saveexec_b64 s[8:9], s[4:5]
	s_cbranch_execz .LBB101_286
; %bb.277:
	s_andn2_b64 vcc, exec, s[10:11]
	s_cbranch_vccnz .LBB101_279
; %bb.278:
	buffer_load_dword v80, v79, s[0:3], 0 offen
	ds_read_b32 v81, v78
	s_waitcnt vmcnt(0) lgkmcnt(0)
	v_mul_f32_e32 v80, v80, v81
	s_cbranch_execz .LBB101_280
	s_branch .LBB101_281
.LBB101_279:
                                        ; implicit-def: $vgpr80
.LBB101_280:
	ds_read_b32 v80, v78
.LBB101_281:
	s_and_saveexec_b64 s[12:13], s[6:7]
	s_cbranch_execz .LBB101_285
; %bb.282:
	v_add_u32_e32 v81, -9, v0
	s_movk_i32 s23, 0xc4
	s_mov_b64 s[6:7], 0
.LBB101_283:                            ; =>This Inner Loop Header: Depth=1
	v_mov_b32_e32 v82, s22
	buffer_load_dword v82, v82, s[0:3], 0 offen
	v_mov_b32_e32 v83, s23
	ds_read_b32 v83, v83
	v_add_u32_e32 v81, -1, v81
	s_add_i32 s23, s23, 4
	s_add_i32 s22, s22, 4
	v_cmp_eq_u32_e32 vcc, 0, v81
	s_or_b64 s[6:7], vcc, s[6:7]
	s_waitcnt vmcnt(0) lgkmcnt(0)
	v_fmac_f32_e32 v80, v82, v83
	s_andn2_b64 exec, exec, s[6:7]
	s_cbranch_execnz .LBB101_283
; %bb.284:
	s_or_b64 exec, exec, s[6:7]
.LBB101_285:
	s_or_b64 exec, exec, s[12:13]
	v_mov_b32_e32 v81, 0
	ds_read_b32 v81, v81 offset:32
	s_waitcnt lgkmcnt(0)
	v_mul_f32_e32 v80, v80, v81
	buffer_store_dword v80, off, s[0:3], 0 offset:32
.LBB101_286:
	s_or_b64 exec, exec, s[8:9]
	buffer_load_dword v80, off, s[0:3], 0 offset:28
	v_cmp_lt_u32_e64 s[6:7], 7, v0
	s_waitcnt vmcnt(0)
	ds_write_b32 v78, v80
	s_waitcnt lgkmcnt(0)
	; wave barrier
	s_and_saveexec_b64 s[8:9], s[6:7]
	s_cbranch_execz .LBB101_296
; %bb.287:
	s_andn2_b64 vcc, exec, s[10:11]
	s_cbranch_vccnz .LBB101_289
; %bb.288:
	buffer_load_dword v80, v79, s[0:3], 0 offen
	ds_read_b32 v81, v78
	s_waitcnt vmcnt(0) lgkmcnt(0)
	v_mul_f32_e32 v80, v80, v81
	s_cbranch_execz .LBB101_290
	s_branch .LBB101_291
.LBB101_289:
                                        ; implicit-def: $vgpr80
.LBB101_290:
	ds_read_b32 v80, v78
.LBB101_291:
	s_and_saveexec_b64 s[12:13], s[4:5]
	s_cbranch_execz .LBB101_295
; %bb.292:
	v_add_u32_e32 v81, -8, v0
	s_movk_i32 s22, 0xc0
	s_mov_b64 s[4:5], 0
.LBB101_293:                            ; =>This Inner Loop Header: Depth=1
	v_mov_b32_e32 v82, s21
	buffer_load_dword v82, v82, s[0:3], 0 offen
	v_mov_b32_e32 v83, s22
	ds_read_b32 v83, v83
	v_add_u32_e32 v81, -1, v81
	s_add_i32 s22, s22, 4
	s_add_i32 s21, s21, 4
	v_cmp_eq_u32_e32 vcc, 0, v81
	s_or_b64 s[4:5], vcc, s[4:5]
	s_waitcnt vmcnt(0) lgkmcnt(0)
	v_fmac_f32_e32 v80, v82, v83
	s_andn2_b64 exec, exec, s[4:5]
	s_cbranch_execnz .LBB101_293
; %bb.294:
	s_or_b64 exec, exec, s[4:5]
.LBB101_295:
	s_or_b64 exec, exec, s[12:13]
	v_mov_b32_e32 v81, 0
	ds_read_b32 v81, v81 offset:28
	s_waitcnt lgkmcnt(0)
	v_mul_f32_e32 v80, v80, v81
	buffer_store_dword v80, off, s[0:3], 0 offset:28
.LBB101_296:
	s_or_b64 exec, exec, s[8:9]
	buffer_load_dword v80, off, s[0:3], 0 offset:24
	v_cmp_lt_u32_e64 s[4:5], 6, v0
	s_waitcnt vmcnt(0)
	ds_write_b32 v78, v80
	s_waitcnt lgkmcnt(0)
	; wave barrier
	s_and_saveexec_b64 s[8:9], s[4:5]
	s_cbranch_execz .LBB101_306
; %bb.297:
	s_andn2_b64 vcc, exec, s[10:11]
	s_cbranch_vccnz .LBB101_299
; %bb.298:
	buffer_load_dword v80, v79, s[0:3], 0 offen
	ds_read_b32 v81, v78
	s_waitcnt vmcnt(0) lgkmcnt(0)
	v_mul_f32_e32 v80, v80, v81
	s_cbranch_execz .LBB101_300
	s_branch .LBB101_301
.LBB101_299:
                                        ; implicit-def: $vgpr80
.LBB101_300:
	ds_read_b32 v80, v78
.LBB101_301:
	s_and_saveexec_b64 s[12:13], s[6:7]
	s_cbranch_execz .LBB101_305
; %bb.302:
	v_add_u32_e32 v81, -7, v0
	s_movk_i32 s21, 0xbc
	s_mov_b64 s[6:7], 0
.LBB101_303:                            ; =>This Inner Loop Header: Depth=1
	v_mov_b32_e32 v82, s20
	buffer_load_dword v82, v82, s[0:3], 0 offen
	v_mov_b32_e32 v83, s21
	ds_read_b32 v83, v83
	v_add_u32_e32 v81, -1, v81
	s_add_i32 s21, s21, 4
	s_add_i32 s20, s20, 4
	v_cmp_eq_u32_e32 vcc, 0, v81
	s_or_b64 s[6:7], vcc, s[6:7]
	s_waitcnt vmcnt(0) lgkmcnt(0)
	v_fmac_f32_e32 v80, v82, v83
	s_andn2_b64 exec, exec, s[6:7]
	s_cbranch_execnz .LBB101_303
; %bb.304:
	s_or_b64 exec, exec, s[6:7]
.LBB101_305:
	s_or_b64 exec, exec, s[12:13]
	v_mov_b32_e32 v81, 0
	ds_read_b32 v81, v81 offset:24
	s_waitcnt lgkmcnt(0)
	v_mul_f32_e32 v80, v80, v81
	buffer_store_dword v80, off, s[0:3], 0 offset:24
.LBB101_306:
	s_or_b64 exec, exec, s[8:9]
	buffer_load_dword v80, off, s[0:3], 0 offset:20
	v_cmp_lt_u32_e64 s[6:7], 5, v0
	s_waitcnt vmcnt(0)
	ds_write_b32 v78, v80
	s_waitcnt lgkmcnt(0)
	; wave barrier
	s_and_saveexec_b64 s[8:9], s[6:7]
	s_cbranch_execz .LBB101_316
; %bb.307:
	s_andn2_b64 vcc, exec, s[10:11]
	s_cbranch_vccnz .LBB101_309
; %bb.308:
	buffer_load_dword v80, v79, s[0:3], 0 offen
	ds_read_b32 v81, v78
	s_waitcnt vmcnt(0) lgkmcnt(0)
	v_mul_f32_e32 v80, v80, v81
	s_cbranch_execz .LBB101_310
	s_branch .LBB101_311
.LBB101_309:
                                        ; implicit-def: $vgpr80
.LBB101_310:
	ds_read_b32 v80, v78
.LBB101_311:
	s_and_saveexec_b64 s[12:13], s[4:5]
	s_cbranch_execz .LBB101_315
; %bb.312:
	v_add_u32_e32 v81, -6, v0
	s_movk_i32 s20, 0xb8
	s_mov_b64 s[4:5], 0
.LBB101_313:                            ; =>This Inner Loop Header: Depth=1
	v_mov_b32_e32 v82, s19
	buffer_load_dword v82, v82, s[0:3], 0 offen
	v_mov_b32_e32 v83, s20
	ds_read_b32 v83, v83
	v_add_u32_e32 v81, -1, v81
	s_add_i32 s20, s20, 4
	s_add_i32 s19, s19, 4
	v_cmp_eq_u32_e32 vcc, 0, v81
	s_or_b64 s[4:5], vcc, s[4:5]
	s_waitcnt vmcnt(0) lgkmcnt(0)
	v_fmac_f32_e32 v80, v82, v83
	s_andn2_b64 exec, exec, s[4:5]
	s_cbranch_execnz .LBB101_313
; %bb.314:
	s_or_b64 exec, exec, s[4:5]
.LBB101_315:
	s_or_b64 exec, exec, s[12:13]
	v_mov_b32_e32 v81, 0
	ds_read_b32 v81, v81 offset:20
	s_waitcnt lgkmcnt(0)
	v_mul_f32_e32 v80, v80, v81
	buffer_store_dword v80, off, s[0:3], 0 offset:20
.LBB101_316:
	s_or_b64 exec, exec, s[8:9]
	buffer_load_dword v80, off, s[0:3], 0 offset:16
	v_cmp_lt_u32_e64 s[4:5], 4, v0
	s_waitcnt vmcnt(0)
	ds_write_b32 v78, v80
	s_waitcnt lgkmcnt(0)
	; wave barrier
	s_and_saveexec_b64 s[8:9], s[4:5]
	s_cbranch_execz .LBB101_326
; %bb.317:
	s_andn2_b64 vcc, exec, s[10:11]
	s_cbranch_vccnz .LBB101_319
; %bb.318:
	buffer_load_dword v80, v79, s[0:3], 0 offen
	ds_read_b32 v81, v78
	s_waitcnt vmcnt(0) lgkmcnt(0)
	v_mul_f32_e32 v80, v80, v81
	s_cbranch_execz .LBB101_320
	s_branch .LBB101_321
.LBB101_319:
                                        ; implicit-def: $vgpr80
.LBB101_320:
	ds_read_b32 v80, v78
.LBB101_321:
	s_and_saveexec_b64 s[12:13], s[6:7]
	s_cbranch_execz .LBB101_325
; %bb.322:
	v_add_u32_e32 v81, -5, v0
	s_movk_i32 s19, 0xb4
	s_mov_b64 s[6:7], 0
.LBB101_323:                            ; =>This Inner Loop Header: Depth=1
	v_mov_b32_e32 v82, s18
	buffer_load_dword v82, v82, s[0:3], 0 offen
	v_mov_b32_e32 v83, s19
	ds_read_b32 v83, v83
	v_add_u32_e32 v81, -1, v81
	s_add_i32 s19, s19, 4
	s_add_i32 s18, s18, 4
	v_cmp_eq_u32_e32 vcc, 0, v81
	s_or_b64 s[6:7], vcc, s[6:7]
	s_waitcnt vmcnt(0) lgkmcnt(0)
	v_fmac_f32_e32 v80, v82, v83
	s_andn2_b64 exec, exec, s[6:7]
	s_cbranch_execnz .LBB101_323
; %bb.324:
	s_or_b64 exec, exec, s[6:7]
.LBB101_325:
	s_or_b64 exec, exec, s[12:13]
	v_mov_b32_e32 v81, 0
	ds_read_b32 v81, v81 offset:16
	s_waitcnt lgkmcnt(0)
	v_mul_f32_e32 v80, v80, v81
	buffer_store_dword v80, off, s[0:3], 0 offset:16
.LBB101_326:
	s_or_b64 exec, exec, s[8:9]
	buffer_load_dword v80, off, s[0:3], 0 offset:12
	v_cmp_lt_u32_e64 s[6:7], 3, v0
	s_waitcnt vmcnt(0)
	ds_write_b32 v78, v80
	s_waitcnt lgkmcnt(0)
	; wave barrier
	s_and_saveexec_b64 s[8:9], s[6:7]
	s_cbranch_execz .LBB101_336
; %bb.327:
	s_andn2_b64 vcc, exec, s[10:11]
	s_cbranch_vccnz .LBB101_329
; %bb.328:
	buffer_load_dword v80, v79, s[0:3], 0 offen
	ds_read_b32 v81, v78
	s_waitcnt vmcnt(0) lgkmcnt(0)
	v_mul_f32_e32 v80, v80, v81
	s_cbranch_execz .LBB101_330
	s_branch .LBB101_331
.LBB101_329:
                                        ; implicit-def: $vgpr80
.LBB101_330:
	ds_read_b32 v80, v78
.LBB101_331:
	s_and_saveexec_b64 s[12:13], s[4:5]
	s_cbranch_execz .LBB101_335
; %bb.332:
	v_add_u32_e32 v81, -4, v0
	s_movk_i32 s18, 0xb0
	s_mov_b64 s[4:5], 0
.LBB101_333:                            ; =>This Inner Loop Header: Depth=1
	v_mov_b32_e32 v82, s17
	buffer_load_dword v82, v82, s[0:3], 0 offen
	v_mov_b32_e32 v83, s18
	ds_read_b32 v83, v83
	v_add_u32_e32 v81, -1, v81
	s_add_i32 s18, s18, 4
	s_add_i32 s17, s17, 4
	v_cmp_eq_u32_e32 vcc, 0, v81
	s_or_b64 s[4:5], vcc, s[4:5]
	s_waitcnt vmcnt(0) lgkmcnt(0)
	v_fmac_f32_e32 v80, v82, v83
	s_andn2_b64 exec, exec, s[4:5]
	s_cbranch_execnz .LBB101_333
; %bb.334:
	s_or_b64 exec, exec, s[4:5]
.LBB101_335:
	s_or_b64 exec, exec, s[12:13]
	v_mov_b32_e32 v81, 0
	ds_read_b32 v81, v81 offset:12
	s_waitcnt lgkmcnt(0)
	v_mul_f32_e32 v80, v80, v81
	buffer_store_dword v80, off, s[0:3], 0 offset:12
.LBB101_336:
	s_or_b64 exec, exec, s[8:9]
	buffer_load_dword v80, off, s[0:3], 0 offset:8
	v_cmp_lt_u32_e64 s[4:5], 2, v0
	s_waitcnt vmcnt(0)
	ds_write_b32 v78, v80
	s_waitcnt lgkmcnt(0)
	; wave barrier
	s_and_saveexec_b64 s[8:9], s[4:5]
	s_cbranch_execz .LBB101_346
; %bb.337:
	s_andn2_b64 vcc, exec, s[10:11]
	s_cbranch_vccnz .LBB101_339
; %bb.338:
	buffer_load_dword v80, v79, s[0:3], 0 offen
	ds_read_b32 v81, v78
	s_waitcnt vmcnt(0) lgkmcnt(0)
	v_mul_f32_e32 v80, v80, v81
	s_cbranch_execz .LBB101_340
	s_branch .LBB101_341
.LBB101_339:
                                        ; implicit-def: $vgpr80
.LBB101_340:
	ds_read_b32 v80, v78
.LBB101_341:
	s_and_saveexec_b64 s[12:13], s[6:7]
	s_cbranch_execz .LBB101_345
; %bb.342:
	v_add_u32_e32 v81, -3, v0
	s_movk_i32 s17, 0xac
	s_mov_b64 s[6:7], 0
.LBB101_343:                            ; =>This Inner Loop Header: Depth=1
	v_mov_b32_e32 v82, s16
	buffer_load_dword v82, v82, s[0:3], 0 offen
	v_mov_b32_e32 v83, s17
	ds_read_b32 v83, v83
	v_add_u32_e32 v81, -1, v81
	s_add_i32 s17, s17, 4
	s_add_i32 s16, s16, 4
	v_cmp_eq_u32_e32 vcc, 0, v81
	s_or_b64 s[6:7], vcc, s[6:7]
	s_waitcnt vmcnt(0) lgkmcnt(0)
	v_fmac_f32_e32 v80, v82, v83
	s_andn2_b64 exec, exec, s[6:7]
	s_cbranch_execnz .LBB101_343
; %bb.344:
	s_or_b64 exec, exec, s[6:7]
.LBB101_345:
	s_or_b64 exec, exec, s[12:13]
	v_mov_b32_e32 v81, 0
	ds_read_b32 v81, v81 offset:8
	s_waitcnt lgkmcnt(0)
	v_mul_f32_e32 v80, v80, v81
	buffer_store_dword v80, off, s[0:3], 0 offset:8
.LBB101_346:
	s_or_b64 exec, exec, s[8:9]
	buffer_load_dword v80, off, s[0:3], 0 offset:4
	v_cmp_lt_u32_e64 s[6:7], 1, v0
	s_waitcnt vmcnt(0)
	ds_write_b32 v78, v80
	s_waitcnt lgkmcnt(0)
	; wave barrier
	s_and_saveexec_b64 s[8:9], s[6:7]
	s_cbranch_execz .LBB101_356
; %bb.347:
	s_andn2_b64 vcc, exec, s[10:11]
	s_cbranch_vccnz .LBB101_349
; %bb.348:
	buffer_load_dword v80, v79, s[0:3], 0 offen
	ds_read_b32 v81, v78
	s_waitcnt vmcnt(0) lgkmcnt(0)
	v_mul_f32_e32 v80, v80, v81
	s_cbranch_execz .LBB101_350
	s_branch .LBB101_351
.LBB101_349:
                                        ; implicit-def: $vgpr80
.LBB101_350:
	ds_read_b32 v80, v78
.LBB101_351:
	s_and_saveexec_b64 s[12:13], s[4:5]
	s_cbranch_execz .LBB101_355
; %bb.352:
	v_add_u32_e32 v81, -2, v0
	s_movk_i32 s16, 0xa8
	s_mov_b64 s[4:5], 0
.LBB101_353:                            ; =>This Inner Loop Header: Depth=1
	v_mov_b32_e32 v82, s15
	buffer_load_dword v82, v82, s[0:3], 0 offen
	v_mov_b32_e32 v83, s16
	ds_read_b32 v83, v83
	v_add_u32_e32 v81, -1, v81
	s_add_i32 s16, s16, 4
	s_add_i32 s15, s15, 4
	v_cmp_eq_u32_e32 vcc, 0, v81
	s_or_b64 s[4:5], vcc, s[4:5]
	s_waitcnt vmcnt(0) lgkmcnt(0)
	v_fmac_f32_e32 v80, v82, v83
	s_andn2_b64 exec, exec, s[4:5]
	s_cbranch_execnz .LBB101_353
; %bb.354:
	s_or_b64 exec, exec, s[4:5]
.LBB101_355:
	s_or_b64 exec, exec, s[12:13]
	v_mov_b32_e32 v81, 0
	ds_read_b32 v81, v81 offset:4
	s_waitcnt lgkmcnt(0)
	v_mul_f32_e32 v80, v80, v81
	buffer_store_dword v80, off, s[0:3], 0 offset:4
.LBB101_356:
	s_or_b64 exec, exec, s[8:9]
	buffer_load_dword v80, off, s[0:3], 0
	v_cmp_ne_u32_e32 vcc, 0, v0
	s_waitcnt vmcnt(0)
	ds_write_b32 v78, v80
	s_waitcnt lgkmcnt(0)
	; wave barrier
	s_and_saveexec_b64 s[4:5], vcc
	s_cbranch_execz .LBB101_366
; %bb.357:
	s_andn2_b64 vcc, exec, s[10:11]
	s_cbranch_vccnz .LBB101_359
; %bb.358:
	buffer_load_dword v80, v79, s[0:3], 0 offen
	ds_read_b32 v81, v78
	s_waitcnt vmcnt(0) lgkmcnt(0)
	v_mul_f32_e32 v80, v80, v81
	s_cbranch_execz .LBB101_360
	s_branch .LBB101_361
.LBB101_359:
                                        ; implicit-def: $vgpr80
.LBB101_360:
	ds_read_b32 v80, v78
.LBB101_361:
	s_and_saveexec_b64 s[8:9], s[6:7]
	s_cbranch_execz .LBB101_365
; %bb.362:
	v_add_u32_e32 v81, -1, v0
	s_movk_i32 s12, 0xa4
	s_mov_b64 s[6:7], 0
.LBB101_363:                            ; =>This Inner Loop Header: Depth=1
	v_mov_b32_e32 v82, s14
	buffer_load_dword v82, v82, s[0:3], 0 offen
	v_mov_b32_e32 v83, s12
	ds_read_b32 v83, v83
	v_add_u32_e32 v81, -1, v81
	s_add_i32 s12, s12, 4
	s_add_i32 s14, s14, 4
	v_cmp_eq_u32_e32 vcc, 0, v81
	s_or_b64 s[6:7], vcc, s[6:7]
	s_waitcnt vmcnt(0) lgkmcnt(0)
	v_fmac_f32_e32 v80, v82, v83
	s_andn2_b64 exec, exec, s[6:7]
	s_cbranch_execnz .LBB101_363
; %bb.364:
	s_or_b64 exec, exec, s[6:7]
.LBB101_365:
	s_or_b64 exec, exec, s[8:9]
	v_mov_b32_e32 v81, 0
	ds_read_b32 v81, v81
	s_waitcnt lgkmcnt(0)
	v_mul_f32_e32 v80, v80, v81
	buffer_store_dword v80, off, s[0:3], 0
.LBB101_366:
	s_or_b64 exec, exec, s[4:5]
	s_mov_b64 s[4:5], 0
.LBB101_367:
	s_and_b64 vcc, exec, s[4:5]
	s_cbranch_vccz .LBB101_729
; %bb.368:
	buffer_load_dword v80, off, s[0:3], 0 offset:4
	v_cmp_eq_u32_e64 s[6:7], 0, v0
	s_waitcnt vmcnt(0)
	ds_write_b32 v78, v80
	s_waitcnt lgkmcnt(0)
	; wave barrier
	s_and_saveexec_b64 s[4:5], s[6:7]
	s_cbranch_execz .LBB101_374
; %bb.369:
	s_and_b64 vcc, exec, s[10:11]
	s_cbranch_vccz .LBB101_371
; %bb.370:
	buffer_load_dword v80, v79, s[0:3], 0 offen
	ds_read_b32 v81, v78
	s_waitcnt vmcnt(0) lgkmcnt(0)
	v_mul_f32_e32 v80, v80, v81
	s_cbranch_execz .LBB101_372
	s_branch .LBB101_373
.LBB101_371:
                                        ; implicit-def: $vgpr80
.LBB101_372:
	ds_read_b32 v80, v78
.LBB101_373:
	v_mov_b32_e32 v81, 0
	ds_read_b32 v81, v81 offset:4
	s_waitcnt lgkmcnt(0)
	v_mul_f32_e32 v80, v80, v81
	buffer_store_dword v80, off, s[0:3], 0 offset:4
.LBB101_374:
	s_or_b64 exec, exec, s[4:5]
	buffer_load_dword v80, off, s[0:3], 0 offset:8
	v_cndmask_b32_e64 v81, 0, 1, s[10:11]
	v_cmp_gt_u32_e32 vcc, 2, v0
	v_cmp_ne_u32_e64 s[4:5], 1, v81
	s_waitcnt vmcnt(0)
	ds_write_b32 v78, v80
	s_waitcnt lgkmcnt(0)
	; wave barrier
	s_and_saveexec_b64 s[8:9], vcc
	s_cbranch_execz .LBB101_380
; %bb.375:
	s_and_b64 vcc, exec, s[4:5]
	s_cbranch_vccnz .LBB101_377
; %bb.376:
	buffer_load_dword v80, v79, s[0:3], 0 offen
	ds_read_b32 v81, v78
	s_waitcnt vmcnt(0) lgkmcnt(0)
	v_mul_f32_e32 v80, v80, v81
	s_cbranch_execz .LBB101_378
	s_branch .LBB101_379
.LBB101_377:
                                        ; implicit-def: $vgpr80
.LBB101_378:
	ds_read_b32 v80, v78
.LBB101_379:
	buffer_load_dword v83, off, s[0:3], 0 offset:4
	v_mov_b32_e32 v81, 0
	ds_read2_b32 v[81:82], v81 offset0:2 offset1:41
	s_waitcnt vmcnt(0) lgkmcnt(0)
	v_fma_f32 v82, v83, v82, v80
	v_cndmask_b32_e64 v80, v80, v82, s[6:7]
	v_mul_f32_e32 v80, v80, v81
	buffer_store_dword v80, off, s[0:3], 0 offset:8
.LBB101_380:
	s_or_b64 exec, exec, s[8:9]
	buffer_load_dword v80, off, s[0:3], 0 offset:12
	v_cmp_gt_u32_e32 vcc, 3, v0
	s_waitcnt vmcnt(0)
	ds_write_b32 v78, v80
	s_waitcnt lgkmcnt(0)
	; wave barrier
	s_and_saveexec_b64 s[8:9], vcc
	s_cbranch_execz .LBB101_388
; %bb.381:
	s_and_b64 vcc, exec, s[4:5]
	s_cbranch_vccnz .LBB101_383
; %bb.382:
	buffer_load_dword v80, v79, s[0:3], 0 offen
	ds_read_b32 v81, v78
	s_waitcnt vmcnt(0) lgkmcnt(0)
	v_mul_f32_e32 v80, v80, v81
	s_cbranch_execz .LBB101_384
	s_branch .LBB101_385
.LBB101_383:
                                        ; implicit-def: $vgpr80
.LBB101_384:
	ds_read_b32 v80, v78
.LBB101_385:
	v_cmp_ne_u32_e32 vcc, 2, v0
	s_and_saveexec_b64 s[10:11], vcc
	s_cbranch_execz .LBB101_387
; %bb.386:
	buffer_load_dword v81, v79, s[0:3], 0 offen offset:4
	buffer_load_dword v82, off, s[0:3], 0 offset:8
	v_mov_b32_e32 v83, 0
	ds_read_b32 v84, v78 offset:4
	ds_read_b32 v83, v83 offset:168
	s_waitcnt vmcnt(1) lgkmcnt(1)
	v_fmac_f32_e32 v80, v81, v84
	s_waitcnt vmcnt(0) lgkmcnt(0)
	v_fma_f32 v81, v82, v83, v80
	v_cndmask_b32_e64 v80, v80, v81, s[6:7]
.LBB101_387:
	s_or_b64 exec, exec, s[10:11]
	v_mov_b32_e32 v81, 0
	ds_read_b32 v81, v81 offset:12
	s_waitcnt lgkmcnt(0)
	v_mul_f32_e32 v80, v80, v81
	buffer_store_dword v80, off, s[0:3], 0 offset:12
.LBB101_388:
	s_or_b64 exec, exec, s[8:9]
	buffer_load_dword v80, off, s[0:3], 0 offset:16
	v_cmp_gt_u32_e32 vcc, 4, v0
	s_waitcnt vmcnt(0)
	ds_write_b32 v78, v80
	s_waitcnt lgkmcnt(0)
	; wave barrier
	s_and_saveexec_b64 s[6:7], vcc
	s_cbranch_execz .LBB101_398
; %bb.389:
	s_and_b64 vcc, exec, s[4:5]
	s_cbranch_vccnz .LBB101_391
; %bb.390:
	buffer_load_dword v80, v79, s[0:3], 0 offen
	ds_read_b32 v81, v78
	s_waitcnt vmcnt(0) lgkmcnt(0)
	v_mul_f32_e32 v80, v80, v81
	s_cbranch_execz .LBB101_392
	s_branch .LBB101_393
.LBB101_391:
                                        ; implicit-def: $vgpr80
.LBB101_392:
	ds_read_b32 v80, v78
.LBB101_393:
	v_cmp_ne_u32_e32 vcc, 3, v0
	s_and_saveexec_b64 s[8:9], vcc
	s_cbranch_execz .LBB101_397
; %bb.394:
	s_mov_b32 s10, 0
	v_add_u32_e32 v81, 0xa4, v77
	v_add3_u32 v82, v77, s10, 4
	s_mov_b64 s[10:11], 0
	v_mov_b32_e32 v83, v0
.LBB101_395:                            ; =>This Inner Loop Header: Depth=1
	buffer_load_dword v84, v82, s[0:3], 0 offen
	ds_read_b32 v85, v81
	v_add_u32_e32 v83, 1, v83
	v_cmp_lt_u32_e32 vcc, 2, v83
	v_add_u32_e32 v81, 4, v81
	v_add_u32_e32 v82, 4, v82
	s_or_b64 s[10:11], vcc, s[10:11]
	s_waitcnt vmcnt(0) lgkmcnt(0)
	v_fmac_f32_e32 v80, v84, v85
	s_andn2_b64 exec, exec, s[10:11]
	s_cbranch_execnz .LBB101_395
; %bb.396:
	s_or_b64 exec, exec, s[10:11]
.LBB101_397:
	s_or_b64 exec, exec, s[8:9]
	v_mov_b32_e32 v81, 0
	ds_read_b32 v81, v81 offset:16
	s_waitcnt lgkmcnt(0)
	v_mul_f32_e32 v80, v80, v81
	buffer_store_dword v80, off, s[0:3], 0 offset:16
.LBB101_398:
	s_or_b64 exec, exec, s[6:7]
	buffer_load_dword v80, off, s[0:3], 0 offset:20
	v_cmp_gt_u32_e32 vcc, 5, v0
	s_waitcnt vmcnt(0)
	ds_write_b32 v78, v80
	s_waitcnt lgkmcnt(0)
	; wave barrier
	s_and_saveexec_b64 s[6:7], vcc
	s_cbranch_execz .LBB101_408
; %bb.399:
	s_and_b64 vcc, exec, s[4:5]
	s_cbranch_vccnz .LBB101_401
; %bb.400:
	buffer_load_dword v80, v79, s[0:3], 0 offen
	ds_read_b32 v81, v78
	s_waitcnt vmcnt(0) lgkmcnt(0)
	v_mul_f32_e32 v80, v80, v81
	s_cbranch_execz .LBB101_402
	s_branch .LBB101_403
.LBB101_401:
                                        ; implicit-def: $vgpr80
.LBB101_402:
	ds_read_b32 v80, v78
.LBB101_403:
	v_cmp_ne_u32_e32 vcc, 4, v0
	s_and_saveexec_b64 s[8:9], vcc
	s_cbranch_execz .LBB101_407
; %bb.404:
	s_mov_b32 s10, 0
	v_add_u32_e32 v81, 0xa4, v77
	v_add3_u32 v82, v77, s10, 4
	s_mov_b64 s[10:11], 0
	v_mov_b32_e32 v83, v0
.LBB101_405:                            ; =>This Inner Loop Header: Depth=1
	buffer_load_dword v84, v82, s[0:3], 0 offen
	ds_read_b32 v85, v81
	v_add_u32_e32 v83, 1, v83
	v_cmp_lt_u32_e32 vcc, 3, v83
	v_add_u32_e32 v81, 4, v81
	v_add_u32_e32 v82, 4, v82
	s_or_b64 s[10:11], vcc, s[10:11]
	s_waitcnt vmcnt(0) lgkmcnt(0)
	v_fmac_f32_e32 v80, v84, v85
	s_andn2_b64 exec, exec, s[10:11]
	s_cbranch_execnz .LBB101_405
; %bb.406:
	s_or_b64 exec, exec, s[10:11]
.LBB101_407:
	s_or_b64 exec, exec, s[8:9]
	v_mov_b32_e32 v81, 0
	ds_read_b32 v81, v81 offset:20
	s_waitcnt lgkmcnt(0)
	v_mul_f32_e32 v80, v80, v81
	buffer_store_dword v80, off, s[0:3], 0 offset:20
.LBB101_408:
	;; [unrolled: 55-line block ×32, first 2 shown]
	s_or_b64 exec, exec, s[6:7]
	buffer_load_dword v80, off, s[0:3], 0 offset:144
	v_cmp_gt_u32_e64 s[6:7], 36, v0
	s_waitcnt vmcnt(0)
	ds_write_b32 v78, v80
	s_waitcnt lgkmcnt(0)
	; wave barrier
	s_and_saveexec_b64 s[8:9], s[6:7]
	s_cbranch_execz .LBB101_718
; %bb.709:
	s_and_b64 vcc, exec, s[4:5]
	s_cbranch_vccnz .LBB101_711
; %bb.710:
	buffer_load_dword v80, v79, s[0:3], 0 offen
	ds_read_b32 v81, v78
	s_waitcnt vmcnt(0) lgkmcnt(0)
	v_mul_f32_e32 v80, v80, v81
	s_cbranch_execz .LBB101_712
	s_branch .LBB101_713
.LBB101_711:
                                        ; implicit-def: $vgpr80
.LBB101_712:
	ds_read_b32 v80, v78
.LBB101_713:
	v_cmp_ne_u32_e32 vcc, 35, v0
	s_and_saveexec_b64 s[10:11], vcc
	s_cbranch_execz .LBB101_717
; %bb.714:
	s_mov_b32 s12, 0
	v_add_u32_e32 v81, 0xa4, v77
	v_add3_u32 v82, v77, s12, 4
	s_mov_b64 s[12:13], 0
	v_mov_b32_e32 v83, v0
.LBB101_715:                            ; =>This Inner Loop Header: Depth=1
	buffer_load_dword v84, v82, s[0:3], 0 offen
	ds_read_b32 v85, v81
	v_add_u32_e32 v83, 1, v83
	v_cmp_lt_u32_e32 vcc, 34, v83
	v_add_u32_e32 v81, 4, v81
	v_add_u32_e32 v82, 4, v82
	s_or_b64 s[12:13], vcc, s[12:13]
	s_waitcnt vmcnt(0) lgkmcnt(0)
	v_fmac_f32_e32 v80, v84, v85
	s_andn2_b64 exec, exec, s[12:13]
	s_cbranch_execnz .LBB101_715
; %bb.716:
	s_or_b64 exec, exec, s[12:13]
.LBB101_717:
	s_or_b64 exec, exec, s[10:11]
	v_mov_b32_e32 v81, 0
	ds_read_b32 v81, v81 offset:144
	s_waitcnt lgkmcnt(0)
	v_mul_f32_e32 v80, v80, v81
	buffer_store_dword v80, off, s[0:3], 0 offset:144
.LBB101_718:
	s_or_b64 exec, exec, s[8:9]
	buffer_load_dword v80, off, s[0:3], 0 offset:148
	v_cmp_ne_u32_e32 vcc, 37, v0
	s_waitcnt vmcnt(0)
	ds_write_b32 v78, v80
	s_waitcnt lgkmcnt(0)
	; wave barrier
	s_and_saveexec_b64 s[8:9], vcc
	s_cbranch_execz .LBB101_728
; %bb.719:
	s_and_b64 vcc, exec, s[4:5]
	s_cbranch_vccnz .LBB101_721
; %bb.720:
	buffer_load_dword v79, v79, s[0:3], 0 offen
	ds_read_b32 v80, v78
	s_waitcnt vmcnt(0) lgkmcnt(0)
	v_mul_f32_e32 v79, v79, v80
	s_cbranch_execz .LBB101_722
	s_branch .LBB101_723
.LBB101_721:
                                        ; implicit-def: $vgpr79
.LBB101_722:
	ds_read_b32 v79, v78
.LBB101_723:
	s_and_saveexec_b64 s[4:5], s[6:7]
	s_cbranch_execz .LBB101_727
; %bb.724:
	s_mov_b32 s6, 0
	v_add_u32_e32 v78, 0xa4, v77
	v_add3_u32 v77, v77, s6, 4
	s_mov_b64 s[6:7], 0
.LBB101_725:                            ; =>This Inner Loop Header: Depth=1
	buffer_load_dword v80, v77, s[0:3], 0 offen
	ds_read_b32 v81, v78
	v_add_u32_e32 v0, 1, v0
	v_cmp_lt_u32_e32 vcc, 35, v0
	v_add_u32_e32 v78, 4, v78
	v_add_u32_e32 v77, 4, v77
	s_or_b64 s[6:7], vcc, s[6:7]
	s_waitcnt vmcnt(0) lgkmcnt(0)
	v_fmac_f32_e32 v79, v80, v81
	s_andn2_b64 exec, exec, s[6:7]
	s_cbranch_execnz .LBB101_725
; %bb.726:
	s_or_b64 exec, exec, s[6:7]
.LBB101_727:
	s_or_b64 exec, exec, s[4:5]
	v_mov_b32_e32 v0, 0
	ds_read_b32 v0, v0 offset:148
	s_waitcnt lgkmcnt(0)
	v_mul_f32_e32 v0, v79, v0
	buffer_store_dword v0, off, s[0:3], 0 offset:148
.LBB101_728:
	s_or_b64 exec, exec, s[8:9]
.LBB101_729:
	buffer_load_dword v0, off, s[0:3], 0
	s_waitcnt vmcnt(0)
	flat_store_dword v[1:2], v0
	buffer_load_dword v0, off, s[0:3], 0 offset:4
	s_waitcnt vmcnt(0)
	flat_store_dword v[3:4], v0
	buffer_load_dword v0, off, s[0:3], 0 offset:8
	;; [unrolled: 3-line block ×37, first 2 shown]
	s_waitcnt vmcnt(0)
	flat_store_dword v[75:76], v0
.LBB101_730:
	s_endpgm
	.section	.rodata,"a",@progbits
	.p2align	6, 0x0
	.amdhsa_kernel _ZN9rocsolver6v33100L18trti2_kernel_smallILi38EfPKPfEEv13rocblas_fill_17rocblas_diagonal_T1_iil
		.amdhsa_group_segment_fixed_size 312
		.amdhsa_private_segment_fixed_size 160
		.amdhsa_kernarg_size 32
		.amdhsa_user_sgpr_count 6
		.amdhsa_user_sgpr_private_segment_buffer 1
		.amdhsa_user_sgpr_dispatch_ptr 0
		.amdhsa_user_sgpr_queue_ptr 0
		.amdhsa_user_sgpr_kernarg_segment_ptr 1
		.amdhsa_user_sgpr_dispatch_id 0
		.amdhsa_user_sgpr_flat_scratch_init 0
		.amdhsa_user_sgpr_private_segment_size 0
		.amdhsa_uses_dynamic_stack 0
		.amdhsa_system_sgpr_private_segment_wavefront_offset 1
		.amdhsa_system_sgpr_workgroup_id_x 1
		.amdhsa_system_sgpr_workgroup_id_y 0
		.amdhsa_system_sgpr_workgroup_id_z 0
		.amdhsa_system_sgpr_workgroup_info 0
		.amdhsa_system_vgpr_workitem_id 0
		.amdhsa_next_free_vgpr 86
		.amdhsa_next_free_sgpr 51
		.amdhsa_reserve_vcc 1
		.amdhsa_reserve_flat_scratch 0
		.amdhsa_float_round_mode_32 0
		.amdhsa_float_round_mode_16_64 0
		.amdhsa_float_denorm_mode_32 3
		.amdhsa_float_denorm_mode_16_64 3
		.amdhsa_dx10_clamp 1
		.amdhsa_ieee_mode 1
		.amdhsa_fp16_overflow 0
		.amdhsa_exception_fp_ieee_invalid_op 0
		.amdhsa_exception_fp_denorm_src 0
		.amdhsa_exception_fp_ieee_div_zero 0
		.amdhsa_exception_fp_ieee_overflow 0
		.amdhsa_exception_fp_ieee_underflow 0
		.amdhsa_exception_fp_ieee_inexact 0
		.amdhsa_exception_int_div_zero 0
	.end_amdhsa_kernel
	.section	.text._ZN9rocsolver6v33100L18trti2_kernel_smallILi38EfPKPfEEv13rocblas_fill_17rocblas_diagonal_T1_iil,"axG",@progbits,_ZN9rocsolver6v33100L18trti2_kernel_smallILi38EfPKPfEEv13rocblas_fill_17rocblas_diagonal_T1_iil,comdat
.Lfunc_end101:
	.size	_ZN9rocsolver6v33100L18trti2_kernel_smallILi38EfPKPfEEv13rocblas_fill_17rocblas_diagonal_T1_iil, .Lfunc_end101-_ZN9rocsolver6v33100L18trti2_kernel_smallILi38EfPKPfEEv13rocblas_fill_17rocblas_diagonal_T1_iil
                                        ; -- End function
	.set _ZN9rocsolver6v33100L18trti2_kernel_smallILi38EfPKPfEEv13rocblas_fill_17rocblas_diagonal_T1_iil.num_vgpr, 86
	.set _ZN9rocsolver6v33100L18trti2_kernel_smallILi38EfPKPfEEv13rocblas_fill_17rocblas_diagonal_T1_iil.num_agpr, 0
	.set _ZN9rocsolver6v33100L18trti2_kernel_smallILi38EfPKPfEEv13rocblas_fill_17rocblas_diagonal_T1_iil.numbered_sgpr, 51
	.set _ZN9rocsolver6v33100L18trti2_kernel_smallILi38EfPKPfEEv13rocblas_fill_17rocblas_diagonal_T1_iil.num_named_barrier, 0
	.set _ZN9rocsolver6v33100L18trti2_kernel_smallILi38EfPKPfEEv13rocblas_fill_17rocblas_diagonal_T1_iil.private_seg_size, 160
	.set _ZN9rocsolver6v33100L18trti2_kernel_smallILi38EfPKPfEEv13rocblas_fill_17rocblas_diagonal_T1_iil.uses_vcc, 1
	.set _ZN9rocsolver6v33100L18trti2_kernel_smallILi38EfPKPfEEv13rocblas_fill_17rocblas_diagonal_T1_iil.uses_flat_scratch, 0
	.set _ZN9rocsolver6v33100L18trti2_kernel_smallILi38EfPKPfEEv13rocblas_fill_17rocblas_diagonal_T1_iil.has_dyn_sized_stack, 0
	.set _ZN9rocsolver6v33100L18trti2_kernel_smallILi38EfPKPfEEv13rocblas_fill_17rocblas_diagonal_T1_iil.has_recursion, 0
	.set _ZN9rocsolver6v33100L18trti2_kernel_smallILi38EfPKPfEEv13rocblas_fill_17rocblas_diagonal_T1_iil.has_indirect_call, 0
	.section	.AMDGPU.csdata,"",@progbits
; Kernel info:
; codeLenInByte = 18336
; TotalNumSgprs: 55
; NumVgprs: 86
; ScratchSize: 160
; MemoryBound: 0
; FloatMode: 240
; IeeeMode: 1
; LDSByteSize: 312 bytes/workgroup (compile time only)
; SGPRBlocks: 6
; VGPRBlocks: 21
; NumSGPRsForWavesPerEU: 55
; NumVGPRsForWavesPerEU: 86
; Occupancy: 2
; WaveLimiterHint : 1
; COMPUTE_PGM_RSRC2:SCRATCH_EN: 1
; COMPUTE_PGM_RSRC2:USER_SGPR: 6
; COMPUTE_PGM_RSRC2:TRAP_HANDLER: 0
; COMPUTE_PGM_RSRC2:TGID_X_EN: 1
; COMPUTE_PGM_RSRC2:TGID_Y_EN: 0
; COMPUTE_PGM_RSRC2:TGID_Z_EN: 0
; COMPUTE_PGM_RSRC2:TIDIG_COMP_CNT: 0
	.section	.text._ZN9rocsolver6v33100L18trti2_kernel_smallILi39EfPKPfEEv13rocblas_fill_17rocblas_diagonal_T1_iil,"axG",@progbits,_ZN9rocsolver6v33100L18trti2_kernel_smallILi39EfPKPfEEv13rocblas_fill_17rocblas_diagonal_T1_iil,comdat
	.globl	_ZN9rocsolver6v33100L18trti2_kernel_smallILi39EfPKPfEEv13rocblas_fill_17rocblas_diagonal_T1_iil ; -- Begin function _ZN9rocsolver6v33100L18trti2_kernel_smallILi39EfPKPfEEv13rocblas_fill_17rocblas_diagonal_T1_iil
	.p2align	8
	.type	_ZN9rocsolver6v33100L18trti2_kernel_smallILi39EfPKPfEEv13rocblas_fill_17rocblas_diagonal_T1_iil,@function
_ZN9rocsolver6v33100L18trti2_kernel_smallILi39EfPKPfEEv13rocblas_fill_17rocblas_diagonal_T1_iil: ; @_ZN9rocsolver6v33100L18trti2_kernel_smallILi39EfPKPfEEv13rocblas_fill_17rocblas_diagonal_T1_iil
; %bb.0:
	s_add_u32 s0, s0, s7
	s_addc_u32 s1, s1, 0
	v_cmp_gt_u32_e32 vcc, 39, v0
	s_and_saveexec_b64 s[8:9], vcc
	s_cbranch_execz .LBB102_750
; %bb.1:
	s_load_dwordx2 s[12:13], s[4:5], 0x10
	s_load_dwordx4 s[8:11], s[4:5], 0x0
	s_ashr_i32 s7, s6, 31
	s_lshl_b64 s[6:7], s[6:7], 3
	v_lshlrev_b32_e32 v79, 2, v0
	s_waitcnt lgkmcnt(0)
	s_ashr_i32 s5, s12, 31
	s_add_u32 s6, s10, s6
	s_addc_u32 s7, s11, s7
	s_load_dwordx2 s[6:7], s[6:7], 0x0
	s_mov_b32 s4, s12
	s_lshl_b64 s[4:5], s[4:5], 2
	s_movk_i32 s12, 0x84
	s_waitcnt lgkmcnt(0)
	s_add_u32 s4, s6, s4
	s_addc_u32 s5, s7, s5
	v_mov_b32_e32 v2, s5
	v_add_co_u32_e32 v1, vcc, s4, v79
	v_addc_co_u32_e32 v2, vcc, 0, v2, vcc
	flat_load_dword v5, v[1:2]
	s_mov_b32 s6, s13
	s_ashr_i32 s7, s13, 31
	s_lshl_b64 s[6:7], s[6:7], 2
	v_mov_b32_e32 v4, s7
	v_add_co_u32_e32 v3, vcc, s6, v1
	v_addc_co_u32_e32 v4, vcc, v2, v4, vcc
	s_add_i32 s6, s13, s13
	v_add_u32_e32 v7, s6, v0
	v_ashrrev_i32_e32 v8, 31, v7
	v_mov_b32_e32 v10, s5
	v_mov_b32_e32 v12, s5
	;; [unrolled: 1-line block ×36, first 2 shown]
	s_cmpk_lg_i32 s9, 0x84
	s_cselect_b64 s[10:11], -1, 0
	s_cmpk_eq_i32 s9, 0x84
	s_waitcnt vmcnt(0) lgkmcnt(0)
	buffer_store_dword v5, off, s[0:3], 0
	flat_load_dword v9, v[3:4]
	v_lshlrev_b64 v[5:6], 2, v[7:8]
	v_add_co_u32_e32 v5, vcc, s4, v5
	v_addc_co_u32_e32 v6, vcc, v10, v6, vcc
	s_waitcnt vmcnt(0) lgkmcnt(0)
	buffer_store_dword v9, off, s[0:3], 0 offset:4
	flat_load_dword v11, v[5:6]
	v_add_u32_e32 v9, s13, v7
	v_ashrrev_i32_e32 v10, 31, v9
	v_lshlrev_b64 v[7:8], 2, v[9:10]
	v_add_co_u32_e32 v7, vcc, s4, v7
	v_addc_co_u32_e32 v8, vcc, v12, v8, vcc
	s_waitcnt vmcnt(0) lgkmcnt(0)
	buffer_store_dword v11, off, s[0:3], 0 offset:8
	flat_load_dword v13, v[7:8]
	v_add_u32_e32 v11, s13, v9
	v_ashrrev_i32_e32 v12, 31, v11
	;; [unrolled: 8-line block ×35, first 2 shown]
	v_lshlrev_b64 v[75:76], 2, v[77:78]
	v_add_u32_e32 v77, s13, v77
	v_add_co_u32_e32 v75, vcc, s4, v75
	v_addc_co_u32_e32 v76, vcc, v81, v76, vcc
	v_ashrrev_i32_e32 v78, 31, v77
	v_lshlrev_b64 v[77:78], 2, v[77:78]
	v_add_co_u32_e32 v77, vcc, s4, v77
	v_addc_co_u32_e32 v78, vcc, v81, v78, vcc
	s_waitcnt vmcnt(0) lgkmcnt(0)
	buffer_store_dword v80, off, s[0:3], 0 offset:144
	flat_load_dword v80, v[75:76]
	s_waitcnt vmcnt(0) lgkmcnt(0)
	buffer_store_dword v80, off, s[0:3], 0 offset:148
	flat_load_dword v80, v[77:78]
	s_waitcnt vmcnt(0) lgkmcnt(0)
	buffer_store_dword v80, off, s[0:3], 0 offset:152
	v_mov_b32_e32 v80, -1.0
	s_cbranch_scc1 .LBB102_3
; %bb.2:
	v_mov_b32_e32 v80, 0
	v_lshl_add_u32 v80, v0, 2, v80
	buffer_load_dword v81, v80, s[0:3], 0 offen
	s_waitcnt vmcnt(0)
	v_div_scale_f32 v82, s[4:5], v81, v81, 1.0
	v_div_scale_f32 v83, vcc, 1.0, v81, 1.0
	v_rcp_f32_e32 v84, v82
	v_fma_f32 v85, -v82, v84, 1.0
	v_fmac_f32_e32 v84, v85, v84
	v_mul_f32_e32 v85, v83, v84
	v_fma_f32 v86, -v82, v85, v83
	v_fmac_f32_e32 v85, v86, v84
	v_fma_f32 v82, -v82, v85, v83
	v_div_fmas_f32 v82, v82, v84, v85
	v_div_fixup_f32 v81, v82, v81, 1.0
	buffer_store_dword v81, v80, s[0:3], 0 offen
	v_xor_b32_e32 v80, 0x80000000, v81
.LBB102_3:
	ds_write_b32 v79, v80
	s_cmpk_eq_i32 s8, 0x79
	v_add_u32_e32 v80, 0xa0, v79
	v_mov_b32_e32 v81, v79
	s_mov_b64 s[4:5], -1
	s_cbranch_scc1 .LBB102_377
; %bb.4:
	buffer_load_dword v82, off, s[0:3], 0 offset:148
	s_movk_i32 s30, 0x44
	s_movk_i32 s31, 0x48
	;; [unrolled: 1-line block ×19, first 2 shown]
	v_cmp_eq_u32_e64 s[4:5], 38, v0
	s_waitcnt vmcnt(0)
	ds_write_b32 v80, v82
	s_waitcnt lgkmcnt(0)
	; wave barrier
	s_and_saveexec_b64 s[6:7], s[4:5]
	s_cbranch_execz .LBB102_10
; %bb.5:
	s_and_b64 vcc, exec, s[10:11]
	s_cbranch_vccz .LBB102_7
; %bb.6:
	buffer_load_dword v82, v81, s[0:3], 0 offen
	ds_read_b32 v83, v80
	s_waitcnt vmcnt(0) lgkmcnt(0)
	v_mul_f32_e32 v82, v82, v83
	s_cbranch_execz .LBB102_8
	s_branch .LBB102_9
.LBB102_7:
                                        ; implicit-def: $vgpr82
.LBB102_8:
	ds_read_b32 v82, v80
.LBB102_9:
	v_mov_b32_e32 v83, 0
	ds_read_b32 v83, v83 offset:148
	s_waitcnt lgkmcnt(0)
	v_mul_f32_e32 v82, v82, v83
	buffer_store_dword v82, off, s[0:3], 0 offset:148
.LBB102_10:
	s_or_b64 exec, exec, s[6:7]
	buffer_load_dword v82, off, s[0:3], 0 offset:144
	s_or_b32 s14, 0, 4
	s_or_b32 s15, 0, 8
	;; [unrolled: 1-line block ×3, first 2 shown]
	s_mov_b32 s17, 16
	s_mov_b32 s18, 20
	;; [unrolled: 1-line block ×15, first 2 shown]
	v_cmp_lt_u32_e64 s[6:7], 36, v0
	s_waitcnt vmcnt(0)
	ds_write_b32 v80, v82
	s_waitcnt lgkmcnt(0)
	; wave barrier
	s_and_saveexec_b64 s[8:9], s[6:7]
	s_cbranch_execz .LBB102_16
; %bb.11:
	s_andn2_b64 vcc, exec, s[10:11]
	s_cbranch_vccnz .LBB102_13
; %bb.12:
	buffer_load_dword v82, v81, s[0:3], 0 offen
	ds_read_b32 v83, v80
	s_waitcnt vmcnt(0) lgkmcnt(0)
	v_mul_f32_e32 v82, v82, v83
	s_cbranch_execz .LBB102_14
	s_branch .LBB102_15
.LBB102_13:
                                        ; implicit-def: $vgpr82
.LBB102_14:
	ds_read_b32 v82, v80
.LBB102_15:
	buffer_load_dword v85, off, s[0:3], 0 offset:148
	v_mov_b32_e32 v83, 0
	ds_read2_b32 v[83:84], v83 offset0:36 offset1:77
	s_waitcnt vmcnt(0) lgkmcnt(0)
	v_fma_f32 v84, v85, v84, v82
	v_cndmask_b32_e64 v82, v82, v84, s[4:5]
	v_mul_f32_e32 v82, v82, v83
	buffer_store_dword v82, off, s[0:3], 0 offset:144
.LBB102_16:
	s_or_b64 exec, exec, s[8:9]
	buffer_load_dword v82, off, s[0:3], 0 offset:140
	v_cmp_lt_u32_e64 s[4:5], 35, v0
	s_waitcnt vmcnt(0)
	ds_write_b32 v80, v82
	s_waitcnt lgkmcnt(0)
	; wave barrier
	s_and_saveexec_b64 s[8:9], s[4:5]
	s_cbranch_execz .LBB102_26
; %bb.17:
	s_andn2_b64 vcc, exec, s[10:11]
	s_cbranch_vccnz .LBB102_19
; %bb.18:
	buffer_load_dword v82, v81, s[0:3], 0 offen
	ds_read_b32 v83, v80
	s_waitcnt vmcnt(0) lgkmcnt(0)
	v_mul_f32_e32 v82, v82, v83
	s_cbranch_execz .LBB102_20
	s_branch .LBB102_21
.LBB102_19:
                                        ; implicit-def: $vgpr82
.LBB102_20:
	ds_read_b32 v82, v80
.LBB102_21:
	s_and_saveexec_b64 s[12:13], s[6:7]
	s_cbranch_execz .LBB102_25
; %bb.22:
	v_subrev_u32_e32 v83, 36, v0
	s_movk_i32 s51, 0x130
	s_mov_b64 s[6:7], 0
.LBB102_23:                             ; =>This Inner Loop Header: Depth=1
	v_mov_b32_e32 v84, s50
	buffer_load_dword v84, v84, s[0:3], 0 offen
	v_mov_b32_e32 v85, s51
	ds_read_b32 v85, v85
	v_add_u32_e32 v83, -1, v83
	s_add_i32 s51, s51, 4
	s_add_i32 s50, s50, 4
	v_cmp_eq_u32_e32 vcc, 0, v83
	s_or_b64 s[6:7], vcc, s[6:7]
	s_waitcnt vmcnt(0) lgkmcnt(0)
	v_fmac_f32_e32 v82, v84, v85
	s_andn2_b64 exec, exec, s[6:7]
	s_cbranch_execnz .LBB102_23
; %bb.24:
	s_or_b64 exec, exec, s[6:7]
.LBB102_25:
	s_or_b64 exec, exec, s[12:13]
	v_mov_b32_e32 v83, 0
	ds_read_b32 v83, v83 offset:140
	s_waitcnt lgkmcnt(0)
	v_mul_f32_e32 v82, v82, v83
	buffer_store_dword v82, off, s[0:3], 0 offset:140
.LBB102_26:
	s_or_b64 exec, exec, s[8:9]
	buffer_load_dword v82, off, s[0:3], 0 offset:136
	v_cmp_lt_u32_e64 s[6:7], 34, v0
	s_waitcnt vmcnt(0)
	ds_write_b32 v80, v82
	s_waitcnt lgkmcnt(0)
	; wave barrier
	s_and_saveexec_b64 s[8:9], s[6:7]
	s_cbranch_execz .LBB102_36
; %bb.27:
	s_andn2_b64 vcc, exec, s[10:11]
	s_cbranch_vccnz .LBB102_29
; %bb.28:
	buffer_load_dword v82, v81, s[0:3], 0 offen
	ds_read_b32 v83, v80
	s_waitcnt vmcnt(0) lgkmcnt(0)
	v_mul_f32_e32 v82, v82, v83
	s_cbranch_execz .LBB102_30
	s_branch .LBB102_31
.LBB102_29:
                                        ; implicit-def: $vgpr82
.LBB102_30:
	ds_read_b32 v82, v80
.LBB102_31:
	s_and_saveexec_b64 s[12:13], s[4:5]
	s_cbranch_execz .LBB102_35
; %bb.32:
	v_subrev_u32_e32 v83, 35, v0
	s_movk_i32 s50, 0x12c
	s_mov_b64 s[4:5], 0
.LBB102_33:                             ; =>This Inner Loop Header: Depth=1
	v_mov_b32_e32 v84, s49
	buffer_load_dword v84, v84, s[0:3], 0 offen
	v_mov_b32_e32 v85, s50
	ds_read_b32 v85, v85
	v_add_u32_e32 v83, -1, v83
	s_add_i32 s50, s50, 4
	s_add_i32 s49, s49, 4
	v_cmp_eq_u32_e32 vcc, 0, v83
	s_or_b64 s[4:5], vcc, s[4:5]
	s_waitcnt vmcnt(0) lgkmcnt(0)
	v_fmac_f32_e32 v82, v84, v85
	s_andn2_b64 exec, exec, s[4:5]
	s_cbranch_execnz .LBB102_33
; %bb.34:
	s_or_b64 exec, exec, s[4:5]
.LBB102_35:
	s_or_b64 exec, exec, s[12:13]
	v_mov_b32_e32 v83, 0
	ds_read_b32 v83, v83 offset:136
	s_waitcnt lgkmcnt(0)
	v_mul_f32_e32 v82, v82, v83
	buffer_store_dword v82, off, s[0:3], 0 offset:136
.LBB102_36:
	;; [unrolled: 54-line block ×8, first 2 shown]
	s_or_b64 exec, exec, s[8:9]
	buffer_load_dword v82, off, s[0:3], 0 offset:108
	v_cmp_lt_u32_e64 s[4:5], 27, v0
	s_waitcnt vmcnt(0)
	ds_write_b32 v80, v82
	s_waitcnt lgkmcnt(0)
	; wave barrier
	s_and_saveexec_b64 s[8:9], s[4:5]
	s_cbranch_execz .LBB102_106
; %bb.97:
	s_andn2_b64 vcc, exec, s[10:11]
	s_cbranch_vccnz .LBB102_99
; %bb.98:
	buffer_load_dword v82, v81, s[0:3], 0 offen
	ds_read_b32 v83, v80
	s_waitcnt vmcnt(0) lgkmcnt(0)
	v_mul_f32_e32 v82, v82, v83
	s_cbranch_execz .LBB102_100
	s_branch .LBB102_101
.LBB102_99:
                                        ; implicit-def: $vgpr82
.LBB102_100:
	ds_read_b32 v82, v80
.LBB102_101:
	s_and_saveexec_b64 s[12:13], s[6:7]
	s_cbranch_execz .LBB102_105
; %bb.102:
	v_subrev_u32_e32 v83, 28, v0
	s_movk_i32 s43, 0x110
	s_mov_b64 s[6:7], 0
.LBB102_103:                            ; =>This Inner Loop Header: Depth=1
	v_mov_b32_e32 v84, s42
	buffer_load_dword v84, v84, s[0:3], 0 offen
	v_mov_b32_e32 v85, s43
	ds_read_b32 v85, v85
	v_add_u32_e32 v83, -1, v83
	s_add_i32 s43, s43, 4
	s_add_i32 s42, s42, 4
	v_cmp_eq_u32_e32 vcc, 0, v83
	s_or_b64 s[6:7], vcc, s[6:7]
	s_waitcnt vmcnt(0) lgkmcnt(0)
	v_fmac_f32_e32 v82, v84, v85
	s_andn2_b64 exec, exec, s[6:7]
	s_cbranch_execnz .LBB102_103
; %bb.104:
	s_or_b64 exec, exec, s[6:7]
.LBB102_105:
	s_or_b64 exec, exec, s[12:13]
	v_mov_b32_e32 v83, 0
	ds_read_b32 v83, v83 offset:108
	s_waitcnt lgkmcnt(0)
	v_mul_f32_e32 v82, v82, v83
	buffer_store_dword v82, off, s[0:3], 0 offset:108
.LBB102_106:
	s_or_b64 exec, exec, s[8:9]
	buffer_load_dword v82, off, s[0:3], 0 offset:104
	v_cmp_lt_u32_e64 s[6:7], 26, v0
	s_waitcnt vmcnt(0)
	ds_write_b32 v80, v82
	s_waitcnt lgkmcnt(0)
	; wave barrier
	s_and_saveexec_b64 s[8:9], s[6:7]
	s_cbranch_execz .LBB102_116
; %bb.107:
	s_andn2_b64 vcc, exec, s[10:11]
	s_cbranch_vccnz .LBB102_109
; %bb.108:
	buffer_load_dword v82, v81, s[0:3], 0 offen
	ds_read_b32 v83, v80
	s_waitcnt vmcnt(0) lgkmcnt(0)
	v_mul_f32_e32 v82, v82, v83
	s_cbranch_execz .LBB102_110
	s_branch .LBB102_111
.LBB102_109:
                                        ; implicit-def: $vgpr82
.LBB102_110:
	ds_read_b32 v82, v80
.LBB102_111:
	s_and_saveexec_b64 s[12:13], s[4:5]
	s_cbranch_execz .LBB102_115
; %bb.112:
	v_subrev_u32_e32 v83, 27, v0
	s_movk_i32 s42, 0x10c
	s_mov_b64 s[4:5], 0
.LBB102_113:                            ; =>This Inner Loop Header: Depth=1
	v_mov_b32_e32 v84, s41
	buffer_load_dword v84, v84, s[0:3], 0 offen
	v_mov_b32_e32 v85, s42
	ds_read_b32 v85, v85
	v_add_u32_e32 v83, -1, v83
	s_add_i32 s42, s42, 4
	s_add_i32 s41, s41, 4
	v_cmp_eq_u32_e32 vcc, 0, v83
	s_or_b64 s[4:5], vcc, s[4:5]
	s_waitcnt vmcnt(0) lgkmcnt(0)
	v_fmac_f32_e32 v82, v84, v85
	s_andn2_b64 exec, exec, s[4:5]
	s_cbranch_execnz .LBB102_113
; %bb.114:
	s_or_b64 exec, exec, s[4:5]
.LBB102_115:
	s_or_b64 exec, exec, s[12:13]
	v_mov_b32_e32 v83, 0
	ds_read_b32 v83, v83 offset:104
	s_waitcnt lgkmcnt(0)
	v_mul_f32_e32 v82, v82, v83
	buffer_store_dword v82, off, s[0:3], 0 offset:104
.LBB102_116:
	s_or_b64 exec, exec, s[8:9]
	buffer_load_dword v82, off, s[0:3], 0 offset:100
	v_cmp_lt_u32_e64 s[4:5], 25, v0
	s_waitcnt vmcnt(0)
	ds_write_b32 v80, v82
	s_waitcnt lgkmcnt(0)
	; wave barrier
	s_and_saveexec_b64 s[8:9], s[4:5]
	s_cbranch_execz .LBB102_126
; %bb.117:
	s_andn2_b64 vcc, exec, s[10:11]
	s_cbranch_vccnz .LBB102_119
; %bb.118:
	buffer_load_dword v82, v81, s[0:3], 0 offen
	ds_read_b32 v83, v80
	s_waitcnt vmcnt(0) lgkmcnt(0)
	v_mul_f32_e32 v82, v82, v83
	s_cbranch_execz .LBB102_120
	s_branch .LBB102_121
.LBB102_119:
                                        ; implicit-def: $vgpr82
.LBB102_120:
	ds_read_b32 v82, v80
.LBB102_121:
	s_and_saveexec_b64 s[12:13], s[6:7]
	s_cbranch_execz .LBB102_125
; %bb.122:
	v_subrev_u32_e32 v83, 26, v0
	s_movk_i32 s41, 0x108
	s_mov_b64 s[6:7], 0
.LBB102_123:                            ; =>This Inner Loop Header: Depth=1
	v_mov_b32_e32 v84, s40
	buffer_load_dword v84, v84, s[0:3], 0 offen
	v_mov_b32_e32 v85, s41
	ds_read_b32 v85, v85
	v_add_u32_e32 v83, -1, v83
	s_add_i32 s41, s41, 4
	s_add_i32 s40, s40, 4
	v_cmp_eq_u32_e32 vcc, 0, v83
	s_or_b64 s[6:7], vcc, s[6:7]
	s_waitcnt vmcnt(0) lgkmcnt(0)
	v_fmac_f32_e32 v82, v84, v85
	s_andn2_b64 exec, exec, s[6:7]
	s_cbranch_execnz .LBB102_123
; %bb.124:
	s_or_b64 exec, exec, s[6:7]
.LBB102_125:
	s_or_b64 exec, exec, s[12:13]
	v_mov_b32_e32 v83, 0
	ds_read_b32 v83, v83 offset:100
	s_waitcnt lgkmcnt(0)
	v_mul_f32_e32 v82, v82, v83
	buffer_store_dword v82, off, s[0:3], 0 offset:100
.LBB102_126:
	s_or_b64 exec, exec, s[8:9]
	buffer_load_dword v82, off, s[0:3], 0 offset:96
	v_cmp_lt_u32_e64 s[6:7], 24, v0
	s_waitcnt vmcnt(0)
	ds_write_b32 v80, v82
	s_waitcnt lgkmcnt(0)
	; wave barrier
	s_and_saveexec_b64 s[8:9], s[6:7]
	s_cbranch_execz .LBB102_136
; %bb.127:
	s_andn2_b64 vcc, exec, s[10:11]
	s_cbranch_vccnz .LBB102_129
; %bb.128:
	buffer_load_dword v82, v81, s[0:3], 0 offen
	ds_read_b32 v83, v80
	s_waitcnt vmcnt(0) lgkmcnt(0)
	v_mul_f32_e32 v82, v82, v83
	s_cbranch_execz .LBB102_130
	s_branch .LBB102_131
.LBB102_129:
                                        ; implicit-def: $vgpr82
.LBB102_130:
	ds_read_b32 v82, v80
.LBB102_131:
	s_and_saveexec_b64 s[12:13], s[4:5]
	s_cbranch_execz .LBB102_135
; %bb.132:
	v_subrev_u32_e32 v83, 25, v0
	s_movk_i32 s40, 0x104
	s_mov_b64 s[4:5], 0
.LBB102_133:                            ; =>This Inner Loop Header: Depth=1
	v_mov_b32_e32 v84, s39
	buffer_load_dword v84, v84, s[0:3], 0 offen
	v_mov_b32_e32 v85, s40
	ds_read_b32 v85, v85
	v_add_u32_e32 v83, -1, v83
	s_add_i32 s40, s40, 4
	s_add_i32 s39, s39, 4
	v_cmp_eq_u32_e32 vcc, 0, v83
	s_or_b64 s[4:5], vcc, s[4:5]
	s_waitcnt vmcnt(0) lgkmcnt(0)
	v_fmac_f32_e32 v82, v84, v85
	s_andn2_b64 exec, exec, s[4:5]
	s_cbranch_execnz .LBB102_133
; %bb.134:
	s_or_b64 exec, exec, s[4:5]
.LBB102_135:
	s_or_b64 exec, exec, s[12:13]
	v_mov_b32_e32 v83, 0
	ds_read_b32 v83, v83 offset:96
	s_waitcnt lgkmcnt(0)
	v_mul_f32_e32 v82, v82, v83
	buffer_store_dword v82, off, s[0:3], 0 offset:96
.LBB102_136:
	s_or_b64 exec, exec, s[8:9]
	buffer_load_dword v82, off, s[0:3], 0 offset:92
	v_cmp_lt_u32_e64 s[4:5], 23, v0
	s_waitcnt vmcnt(0)
	ds_write_b32 v80, v82
	s_waitcnt lgkmcnt(0)
	; wave barrier
	s_and_saveexec_b64 s[8:9], s[4:5]
	s_cbranch_execz .LBB102_146
; %bb.137:
	s_andn2_b64 vcc, exec, s[10:11]
	s_cbranch_vccnz .LBB102_139
; %bb.138:
	buffer_load_dword v82, v81, s[0:3], 0 offen
	ds_read_b32 v83, v80
	s_waitcnt vmcnt(0) lgkmcnt(0)
	v_mul_f32_e32 v82, v82, v83
	s_cbranch_execz .LBB102_140
	s_branch .LBB102_141
.LBB102_139:
                                        ; implicit-def: $vgpr82
.LBB102_140:
	ds_read_b32 v82, v80
.LBB102_141:
	s_and_saveexec_b64 s[12:13], s[6:7]
	s_cbranch_execz .LBB102_145
; %bb.142:
	v_subrev_u32_e32 v83, 24, v0
	s_movk_i32 s39, 0x100
	s_mov_b64 s[6:7], 0
.LBB102_143:                            ; =>This Inner Loop Header: Depth=1
	v_mov_b32_e32 v84, s38
	buffer_load_dword v84, v84, s[0:3], 0 offen
	v_mov_b32_e32 v85, s39
	ds_read_b32 v85, v85
	v_add_u32_e32 v83, -1, v83
	s_add_i32 s39, s39, 4
	s_add_i32 s38, s38, 4
	v_cmp_eq_u32_e32 vcc, 0, v83
	s_or_b64 s[6:7], vcc, s[6:7]
	s_waitcnt vmcnt(0) lgkmcnt(0)
	v_fmac_f32_e32 v82, v84, v85
	s_andn2_b64 exec, exec, s[6:7]
	s_cbranch_execnz .LBB102_143
; %bb.144:
	s_or_b64 exec, exec, s[6:7]
.LBB102_145:
	s_or_b64 exec, exec, s[12:13]
	v_mov_b32_e32 v83, 0
	ds_read_b32 v83, v83 offset:92
	s_waitcnt lgkmcnt(0)
	v_mul_f32_e32 v82, v82, v83
	buffer_store_dword v82, off, s[0:3], 0 offset:92
.LBB102_146:
	s_or_b64 exec, exec, s[8:9]
	buffer_load_dword v82, off, s[0:3], 0 offset:88
	v_cmp_lt_u32_e64 s[6:7], 22, v0
	s_waitcnt vmcnt(0)
	ds_write_b32 v80, v82
	s_waitcnt lgkmcnt(0)
	; wave barrier
	s_and_saveexec_b64 s[8:9], s[6:7]
	s_cbranch_execz .LBB102_156
; %bb.147:
	s_andn2_b64 vcc, exec, s[10:11]
	s_cbranch_vccnz .LBB102_149
; %bb.148:
	buffer_load_dword v82, v81, s[0:3], 0 offen
	ds_read_b32 v83, v80
	s_waitcnt vmcnt(0) lgkmcnt(0)
	v_mul_f32_e32 v82, v82, v83
	s_cbranch_execz .LBB102_150
	s_branch .LBB102_151
.LBB102_149:
                                        ; implicit-def: $vgpr82
.LBB102_150:
	ds_read_b32 v82, v80
.LBB102_151:
	s_and_saveexec_b64 s[12:13], s[4:5]
	s_cbranch_execz .LBB102_155
; %bb.152:
	v_subrev_u32_e32 v83, 23, v0
	s_movk_i32 s38, 0xfc
	s_mov_b64 s[4:5], 0
.LBB102_153:                            ; =>This Inner Loop Header: Depth=1
	v_mov_b32_e32 v84, s37
	buffer_load_dword v84, v84, s[0:3], 0 offen
	v_mov_b32_e32 v85, s38
	ds_read_b32 v85, v85
	v_add_u32_e32 v83, -1, v83
	s_add_i32 s38, s38, 4
	s_add_i32 s37, s37, 4
	v_cmp_eq_u32_e32 vcc, 0, v83
	s_or_b64 s[4:5], vcc, s[4:5]
	s_waitcnt vmcnt(0) lgkmcnt(0)
	v_fmac_f32_e32 v82, v84, v85
	s_andn2_b64 exec, exec, s[4:5]
	s_cbranch_execnz .LBB102_153
; %bb.154:
	s_or_b64 exec, exec, s[4:5]
.LBB102_155:
	s_or_b64 exec, exec, s[12:13]
	v_mov_b32_e32 v83, 0
	ds_read_b32 v83, v83 offset:88
	s_waitcnt lgkmcnt(0)
	v_mul_f32_e32 v82, v82, v83
	buffer_store_dword v82, off, s[0:3], 0 offset:88
.LBB102_156:
	s_or_b64 exec, exec, s[8:9]
	buffer_load_dword v82, off, s[0:3], 0 offset:84
	v_cmp_lt_u32_e64 s[4:5], 21, v0
	s_waitcnt vmcnt(0)
	ds_write_b32 v80, v82
	s_waitcnt lgkmcnt(0)
	; wave barrier
	s_and_saveexec_b64 s[8:9], s[4:5]
	s_cbranch_execz .LBB102_166
; %bb.157:
	s_andn2_b64 vcc, exec, s[10:11]
	s_cbranch_vccnz .LBB102_159
; %bb.158:
	buffer_load_dword v82, v81, s[0:3], 0 offen
	ds_read_b32 v83, v80
	s_waitcnt vmcnt(0) lgkmcnt(0)
	v_mul_f32_e32 v82, v82, v83
	s_cbranch_execz .LBB102_160
	s_branch .LBB102_161
.LBB102_159:
                                        ; implicit-def: $vgpr82
.LBB102_160:
	ds_read_b32 v82, v80
.LBB102_161:
	s_and_saveexec_b64 s[12:13], s[6:7]
	s_cbranch_execz .LBB102_165
; %bb.162:
	v_subrev_u32_e32 v83, 22, v0
	s_movk_i32 s37, 0xf8
	s_mov_b64 s[6:7], 0
.LBB102_163:                            ; =>This Inner Loop Header: Depth=1
	v_mov_b32_e32 v84, s36
	buffer_load_dword v84, v84, s[0:3], 0 offen
	v_mov_b32_e32 v85, s37
	ds_read_b32 v85, v85
	v_add_u32_e32 v83, -1, v83
	s_add_i32 s37, s37, 4
	s_add_i32 s36, s36, 4
	v_cmp_eq_u32_e32 vcc, 0, v83
	s_or_b64 s[6:7], vcc, s[6:7]
	s_waitcnt vmcnt(0) lgkmcnt(0)
	v_fmac_f32_e32 v82, v84, v85
	s_andn2_b64 exec, exec, s[6:7]
	s_cbranch_execnz .LBB102_163
; %bb.164:
	s_or_b64 exec, exec, s[6:7]
.LBB102_165:
	s_or_b64 exec, exec, s[12:13]
	v_mov_b32_e32 v83, 0
	ds_read_b32 v83, v83 offset:84
	s_waitcnt lgkmcnt(0)
	v_mul_f32_e32 v82, v82, v83
	buffer_store_dword v82, off, s[0:3], 0 offset:84
.LBB102_166:
	s_or_b64 exec, exec, s[8:9]
	buffer_load_dword v82, off, s[0:3], 0 offset:80
	v_cmp_lt_u32_e64 s[6:7], 20, v0
	s_waitcnt vmcnt(0)
	ds_write_b32 v80, v82
	s_waitcnt lgkmcnt(0)
	; wave barrier
	s_and_saveexec_b64 s[8:9], s[6:7]
	s_cbranch_execz .LBB102_176
; %bb.167:
	s_andn2_b64 vcc, exec, s[10:11]
	s_cbranch_vccnz .LBB102_169
; %bb.168:
	buffer_load_dword v82, v81, s[0:3], 0 offen
	ds_read_b32 v83, v80
	s_waitcnt vmcnt(0) lgkmcnt(0)
	v_mul_f32_e32 v82, v82, v83
	s_cbranch_execz .LBB102_170
	s_branch .LBB102_171
.LBB102_169:
                                        ; implicit-def: $vgpr82
.LBB102_170:
	ds_read_b32 v82, v80
.LBB102_171:
	s_and_saveexec_b64 s[12:13], s[4:5]
	s_cbranch_execz .LBB102_175
; %bb.172:
	v_subrev_u32_e32 v83, 21, v0
	s_movk_i32 s36, 0xf4
	s_mov_b64 s[4:5], 0
.LBB102_173:                            ; =>This Inner Loop Header: Depth=1
	v_mov_b32_e32 v84, s35
	buffer_load_dword v84, v84, s[0:3], 0 offen
	v_mov_b32_e32 v85, s36
	ds_read_b32 v85, v85
	v_add_u32_e32 v83, -1, v83
	s_add_i32 s36, s36, 4
	s_add_i32 s35, s35, 4
	v_cmp_eq_u32_e32 vcc, 0, v83
	s_or_b64 s[4:5], vcc, s[4:5]
	s_waitcnt vmcnt(0) lgkmcnt(0)
	v_fmac_f32_e32 v82, v84, v85
	s_andn2_b64 exec, exec, s[4:5]
	s_cbranch_execnz .LBB102_173
; %bb.174:
	s_or_b64 exec, exec, s[4:5]
.LBB102_175:
	s_or_b64 exec, exec, s[12:13]
	v_mov_b32_e32 v83, 0
	ds_read_b32 v83, v83 offset:80
	s_waitcnt lgkmcnt(0)
	v_mul_f32_e32 v82, v82, v83
	buffer_store_dword v82, off, s[0:3], 0 offset:80
.LBB102_176:
	s_or_b64 exec, exec, s[8:9]
	buffer_load_dword v82, off, s[0:3], 0 offset:76
	v_cmp_lt_u32_e64 s[4:5], 19, v0
	s_waitcnt vmcnt(0)
	ds_write_b32 v80, v82
	s_waitcnt lgkmcnt(0)
	; wave barrier
	s_and_saveexec_b64 s[8:9], s[4:5]
	s_cbranch_execz .LBB102_186
; %bb.177:
	s_andn2_b64 vcc, exec, s[10:11]
	s_cbranch_vccnz .LBB102_179
; %bb.178:
	buffer_load_dword v82, v81, s[0:3], 0 offen
	ds_read_b32 v83, v80
	s_waitcnt vmcnt(0) lgkmcnt(0)
	v_mul_f32_e32 v82, v82, v83
	s_cbranch_execz .LBB102_180
	s_branch .LBB102_181
.LBB102_179:
                                        ; implicit-def: $vgpr82
.LBB102_180:
	ds_read_b32 v82, v80
.LBB102_181:
	s_and_saveexec_b64 s[12:13], s[6:7]
	s_cbranch_execz .LBB102_185
; %bb.182:
	v_subrev_u32_e32 v83, 20, v0
	s_movk_i32 s35, 0xf0
	s_mov_b64 s[6:7], 0
.LBB102_183:                            ; =>This Inner Loop Header: Depth=1
	v_mov_b32_e32 v84, s34
	buffer_load_dword v84, v84, s[0:3], 0 offen
	v_mov_b32_e32 v85, s35
	ds_read_b32 v85, v85
	v_add_u32_e32 v83, -1, v83
	s_add_i32 s35, s35, 4
	s_add_i32 s34, s34, 4
	v_cmp_eq_u32_e32 vcc, 0, v83
	s_or_b64 s[6:7], vcc, s[6:7]
	s_waitcnt vmcnt(0) lgkmcnt(0)
	v_fmac_f32_e32 v82, v84, v85
	s_andn2_b64 exec, exec, s[6:7]
	s_cbranch_execnz .LBB102_183
; %bb.184:
	s_or_b64 exec, exec, s[6:7]
.LBB102_185:
	s_or_b64 exec, exec, s[12:13]
	v_mov_b32_e32 v83, 0
	ds_read_b32 v83, v83 offset:76
	s_waitcnt lgkmcnt(0)
	v_mul_f32_e32 v82, v82, v83
	buffer_store_dword v82, off, s[0:3], 0 offset:76
.LBB102_186:
	s_or_b64 exec, exec, s[8:9]
	buffer_load_dword v82, off, s[0:3], 0 offset:72
	v_cmp_lt_u32_e64 s[6:7], 18, v0
	s_waitcnt vmcnt(0)
	ds_write_b32 v80, v82
	s_waitcnt lgkmcnt(0)
	; wave barrier
	s_and_saveexec_b64 s[8:9], s[6:7]
	s_cbranch_execz .LBB102_196
; %bb.187:
	s_andn2_b64 vcc, exec, s[10:11]
	s_cbranch_vccnz .LBB102_189
; %bb.188:
	buffer_load_dword v82, v81, s[0:3], 0 offen
	ds_read_b32 v83, v80
	s_waitcnt vmcnt(0) lgkmcnt(0)
	v_mul_f32_e32 v82, v82, v83
	s_cbranch_execz .LBB102_190
	s_branch .LBB102_191
.LBB102_189:
                                        ; implicit-def: $vgpr82
.LBB102_190:
	ds_read_b32 v82, v80
.LBB102_191:
	s_and_saveexec_b64 s[12:13], s[4:5]
	s_cbranch_execz .LBB102_195
; %bb.192:
	v_subrev_u32_e32 v83, 19, v0
	s_movk_i32 s34, 0xec
	s_mov_b64 s[4:5], 0
.LBB102_193:                            ; =>This Inner Loop Header: Depth=1
	v_mov_b32_e32 v84, s33
	buffer_load_dword v84, v84, s[0:3], 0 offen
	v_mov_b32_e32 v85, s34
	ds_read_b32 v85, v85
	v_add_u32_e32 v83, -1, v83
	s_add_i32 s34, s34, 4
	s_add_i32 s33, s33, 4
	v_cmp_eq_u32_e32 vcc, 0, v83
	s_or_b64 s[4:5], vcc, s[4:5]
	s_waitcnt vmcnt(0) lgkmcnt(0)
	v_fmac_f32_e32 v82, v84, v85
	s_andn2_b64 exec, exec, s[4:5]
	s_cbranch_execnz .LBB102_193
; %bb.194:
	s_or_b64 exec, exec, s[4:5]
.LBB102_195:
	s_or_b64 exec, exec, s[12:13]
	v_mov_b32_e32 v83, 0
	ds_read_b32 v83, v83 offset:72
	s_waitcnt lgkmcnt(0)
	v_mul_f32_e32 v82, v82, v83
	buffer_store_dword v82, off, s[0:3], 0 offset:72
.LBB102_196:
	s_or_b64 exec, exec, s[8:9]
	buffer_load_dword v82, off, s[0:3], 0 offset:68
	v_cmp_lt_u32_e64 s[4:5], 17, v0
	s_waitcnt vmcnt(0)
	ds_write_b32 v80, v82
	s_waitcnt lgkmcnt(0)
	; wave barrier
	s_and_saveexec_b64 s[8:9], s[4:5]
	s_cbranch_execz .LBB102_206
; %bb.197:
	s_andn2_b64 vcc, exec, s[10:11]
	s_cbranch_vccnz .LBB102_199
; %bb.198:
	buffer_load_dword v82, v81, s[0:3], 0 offen
	ds_read_b32 v83, v80
	s_waitcnt vmcnt(0) lgkmcnt(0)
	v_mul_f32_e32 v82, v82, v83
	s_cbranch_execz .LBB102_200
	s_branch .LBB102_201
.LBB102_199:
                                        ; implicit-def: $vgpr82
.LBB102_200:
	ds_read_b32 v82, v80
.LBB102_201:
	s_and_saveexec_b64 s[12:13], s[6:7]
	s_cbranch_execz .LBB102_205
; %bb.202:
	v_subrev_u32_e32 v83, 18, v0
	s_movk_i32 s33, 0xe8
	s_mov_b64 s[6:7], 0
.LBB102_203:                            ; =>This Inner Loop Header: Depth=1
	v_mov_b32_e32 v84, s31
	buffer_load_dword v84, v84, s[0:3], 0 offen
	v_mov_b32_e32 v85, s33
	ds_read_b32 v85, v85
	v_add_u32_e32 v83, -1, v83
	s_add_i32 s33, s33, 4
	s_add_i32 s31, s31, 4
	v_cmp_eq_u32_e32 vcc, 0, v83
	s_or_b64 s[6:7], vcc, s[6:7]
	s_waitcnt vmcnt(0) lgkmcnt(0)
	v_fmac_f32_e32 v82, v84, v85
	s_andn2_b64 exec, exec, s[6:7]
	s_cbranch_execnz .LBB102_203
; %bb.204:
	s_or_b64 exec, exec, s[6:7]
.LBB102_205:
	s_or_b64 exec, exec, s[12:13]
	v_mov_b32_e32 v83, 0
	ds_read_b32 v83, v83 offset:68
	s_waitcnt lgkmcnt(0)
	v_mul_f32_e32 v82, v82, v83
	buffer_store_dword v82, off, s[0:3], 0 offset:68
.LBB102_206:
	s_or_b64 exec, exec, s[8:9]
	buffer_load_dword v82, off, s[0:3], 0 offset:64
	v_cmp_lt_u32_e64 s[6:7], 16, v0
	s_waitcnt vmcnt(0)
	ds_write_b32 v80, v82
	s_waitcnt lgkmcnt(0)
	; wave barrier
	s_and_saveexec_b64 s[8:9], s[6:7]
	s_cbranch_execz .LBB102_216
; %bb.207:
	s_andn2_b64 vcc, exec, s[10:11]
	s_cbranch_vccnz .LBB102_209
; %bb.208:
	buffer_load_dword v82, v81, s[0:3], 0 offen
	ds_read_b32 v83, v80
	s_waitcnt vmcnt(0) lgkmcnt(0)
	v_mul_f32_e32 v82, v82, v83
	s_cbranch_execz .LBB102_210
	s_branch .LBB102_211
.LBB102_209:
                                        ; implicit-def: $vgpr82
.LBB102_210:
	ds_read_b32 v82, v80
.LBB102_211:
	s_and_saveexec_b64 s[12:13], s[4:5]
	s_cbranch_execz .LBB102_215
; %bb.212:
	v_subrev_u32_e32 v83, 17, v0
	s_movk_i32 s31, 0xe4
	s_mov_b64 s[4:5], 0
.LBB102_213:                            ; =>This Inner Loop Header: Depth=1
	v_mov_b32_e32 v84, s30
	buffer_load_dword v84, v84, s[0:3], 0 offen
	v_mov_b32_e32 v85, s31
	ds_read_b32 v85, v85
	v_add_u32_e32 v83, -1, v83
	s_add_i32 s31, s31, 4
	s_add_i32 s30, s30, 4
	v_cmp_eq_u32_e32 vcc, 0, v83
	s_or_b64 s[4:5], vcc, s[4:5]
	s_waitcnt vmcnt(0) lgkmcnt(0)
	v_fmac_f32_e32 v82, v84, v85
	s_andn2_b64 exec, exec, s[4:5]
	s_cbranch_execnz .LBB102_213
; %bb.214:
	s_or_b64 exec, exec, s[4:5]
.LBB102_215:
	s_or_b64 exec, exec, s[12:13]
	v_mov_b32_e32 v83, 0
	ds_read_b32 v83, v83 offset:64
	s_waitcnt lgkmcnt(0)
	v_mul_f32_e32 v82, v82, v83
	buffer_store_dword v82, off, s[0:3], 0 offset:64
.LBB102_216:
	s_or_b64 exec, exec, s[8:9]
	buffer_load_dword v82, off, s[0:3], 0 offset:60
	v_cmp_lt_u32_e64 s[4:5], 15, v0
	s_waitcnt vmcnt(0)
	ds_write_b32 v80, v82
	s_waitcnt lgkmcnt(0)
	; wave barrier
	s_and_saveexec_b64 s[8:9], s[4:5]
	s_cbranch_execz .LBB102_226
; %bb.217:
	s_andn2_b64 vcc, exec, s[10:11]
	s_cbranch_vccnz .LBB102_219
; %bb.218:
	buffer_load_dword v82, v81, s[0:3], 0 offen
	ds_read_b32 v83, v80
	s_waitcnt vmcnt(0) lgkmcnt(0)
	v_mul_f32_e32 v82, v82, v83
	s_cbranch_execz .LBB102_220
	s_branch .LBB102_221
.LBB102_219:
                                        ; implicit-def: $vgpr82
.LBB102_220:
	ds_read_b32 v82, v80
.LBB102_221:
	s_and_saveexec_b64 s[12:13], s[6:7]
	s_cbranch_execz .LBB102_225
; %bb.222:
	v_add_u32_e32 v83, -16, v0
	s_movk_i32 s30, 0xe0
	s_mov_b64 s[6:7], 0
.LBB102_223:                            ; =>This Inner Loop Header: Depth=1
	v_mov_b32_e32 v84, s29
	buffer_load_dword v84, v84, s[0:3], 0 offen
	v_mov_b32_e32 v85, s30
	ds_read_b32 v85, v85
	v_add_u32_e32 v83, -1, v83
	s_add_i32 s30, s30, 4
	s_add_i32 s29, s29, 4
	v_cmp_eq_u32_e32 vcc, 0, v83
	s_or_b64 s[6:7], vcc, s[6:7]
	s_waitcnt vmcnt(0) lgkmcnt(0)
	v_fmac_f32_e32 v82, v84, v85
	s_andn2_b64 exec, exec, s[6:7]
	s_cbranch_execnz .LBB102_223
; %bb.224:
	s_or_b64 exec, exec, s[6:7]
.LBB102_225:
	s_or_b64 exec, exec, s[12:13]
	v_mov_b32_e32 v83, 0
	ds_read_b32 v83, v83 offset:60
	s_waitcnt lgkmcnt(0)
	v_mul_f32_e32 v82, v82, v83
	buffer_store_dword v82, off, s[0:3], 0 offset:60
.LBB102_226:
	s_or_b64 exec, exec, s[8:9]
	buffer_load_dword v82, off, s[0:3], 0 offset:56
	v_cmp_lt_u32_e64 s[6:7], 14, v0
	s_waitcnt vmcnt(0)
	ds_write_b32 v80, v82
	s_waitcnt lgkmcnt(0)
	; wave barrier
	s_and_saveexec_b64 s[8:9], s[6:7]
	s_cbranch_execz .LBB102_236
; %bb.227:
	s_andn2_b64 vcc, exec, s[10:11]
	s_cbranch_vccnz .LBB102_229
; %bb.228:
	buffer_load_dword v82, v81, s[0:3], 0 offen
	ds_read_b32 v83, v80
	s_waitcnt vmcnt(0) lgkmcnt(0)
	v_mul_f32_e32 v82, v82, v83
	s_cbranch_execz .LBB102_230
	s_branch .LBB102_231
.LBB102_229:
                                        ; implicit-def: $vgpr82
.LBB102_230:
	ds_read_b32 v82, v80
.LBB102_231:
	s_and_saveexec_b64 s[12:13], s[4:5]
	s_cbranch_execz .LBB102_235
; %bb.232:
	v_add_u32_e32 v83, -15, v0
	s_movk_i32 s29, 0xdc
	s_mov_b64 s[4:5], 0
.LBB102_233:                            ; =>This Inner Loop Header: Depth=1
	v_mov_b32_e32 v84, s28
	buffer_load_dword v84, v84, s[0:3], 0 offen
	v_mov_b32_e32 v85, s29
	ds_read_b32 v85, v85
	v_add_u32_e32 v83, -1, v83
	s_add_i32 s29, s29, 4
	s_add_i32 s28, s28, 4
	v_cmp_eq_u32_e32 vcc, 0, v83
	s_or_b64 s[4:5], vcc, s[4:5]
	s_waitcnt vmcnt(0) lgkmcnt(0)
	v_fmac_f32_e32 v82, v84, v85
	s_andn2_b64 exec, exec, s[4:5]
	s_cbranch_execnz .LBB102_233
; %bb.234:
	s_or_b64 exec, exec, s[4:5]
.LBB102_235:
	s_or_b64 exec, exec, s[12:13]
	v_mov_b32_e32 v83, 0
	ds_read_b32 v83, v83 offset:56
	s_waitcnt lgkmcnt(0)
	v_mul_f32_e32 v82, v82, v83
	buffer_store_dword v82, off, s[0:3], 0 offset:56
.LBB102_236:
	;; [unrolled: 54-line block ×15, first 2 shown]
	s_or_b64 exec, exec, s[8:9]
	buffer_load_dword v82, off, s[0:3], 0
	v_cmp_ne_u32_e32 vcc, 0, v0
	s_waitcnt vmcnt(0)
	ds_write_b32 v80, v82
	s_waitcnt lgkmcnt(0)
	; wave barrier
	s_and_saveexec_b64 s[6:7], vcc
	s_cbranch_execz .LBB102_376
; %bb.367:
	s_andn2_b64 vcc, exec, s[10:11]
	s_cbranch_vccnz .LBB102_369
; %bb.368:
	buffer_load_dword v82, v81, s[0:3], 0 offen
	ds_read_b32 v83, v80
	s_waitcnt vmcnt(0) lgkmcnt(0)
	v_mul_f32_e32 v82, v82, v83
	s_cbranch_execz .LBB102_370
	s_branch .LBB102_371
.LBB102_369:
                                        ; implicit-def: $vgpr82
.LBB102_370:
	ds_read_b32 v82, v80
.LBB102_371:
	s_and_saveexec_b64 s[8:9], s[4:5]
	s_cbranch_execz .LBB102_375
; %bb.372:
	v_add_u32_e32 v83, -1, v0
	s_movk_i32 s12, 0xa4
	s_mov_b64 s[4:5], 0
.LBB102_373:                            ; =>This Inner Loop Header: Depth=1
	v_mov_b32_e32 v84, s14
	buffer_load_dword v84, v84, s[0:3], 0 offen
	v_mov_b32_e32 v85, s12
	ds_read_b32 v85, v85
	v_add_u32_e32 v83, -1, v83
	s_add_i32 s12, s12, 4
	s_add_i32 s14, s14, 4
	v_cmp_eq_u32_e32 vcc, 0, v83
	s_or_b64 s[4:5], vcc, s[4:5]
	s_waitcnt vmcnt(0) lgkmcnt(0)
	v_fmac_f32_e32 v82, v84, v85
	s_andn2_b64 exec, exec, s[4:5]
	s_cbranch_execnz .LBB102_373
; %bb.374:
	s_or_b64 exec, exec, s[4:5]
.LBB102_375:
	s_or_b64 exec, exec, s[8:9]
	v_mov_b32_e32 v83, 0
	ds_read_b32 v83, v83
	s_waitcnt lgkmcnt(0)
	v_mul_f32_e32 v82, v82, v83
	buffer_store_dword v82, off, s[0:3], 0
.LBB102_376:
	s_or_b64 exec, exec, s[6:7]
	s_mov_b64 s[4:5], 0
.LBB102_377:
	s_and_b64 vcc, exec, s[4:5]
	s_cbranch_vccz .LBB102_749
; %bb.378:
	buffer_load_dword v82, off, s[0:3], 0 offset:4
	v_cmp_eq_u32_e64 s[6:7], 0, v0
	s_waitcnt vmcnt(0)
	ds_write_b32 v80, v82
	s_waitcnt lgkmcnt(0)
	; wave barrier
	s_and_saveexec_b64 s[4:5], s[6:7]
	s_cbranch_execz .LBB102_384
; %bb.379:
	s_and_b64 vcc, exec, s[10:11]
	s_cbranch_vccz .LBB102_381
; %bb.380:
	buffer_load_dword v82, v81, s[0:3], 0 offen
	ds_read_b32 v83, v80
	s_waitcnt vmcnt(0) lgkmcnt(0)
	v_mul_f32_e32 v82, v82, v83
	s_cbranch_execz .LBB102_382
	s_branch .LBB102_383
.LBB102_381:
                                        ; implicit-def: $vgpr82
.LBB102_382:
	ds_read_b32 v82, v80
.LBB102_383:
	v_mov_b32_e32 v83, 0
	ds_read_b32 v83, v83 offset:4
	s_waitcnt lgkmcnt(0)
	v_mul_f32_e32 v82, v82, v83
	buffer_store_dword v82, off, s[0:3], 0 offset:4
.LBB102_384:
	s_or_b64 exec, exec, s[4:5]
	buffer_load_dword v82, off, s[0:3], 0 offset:8
	v_cndmask_b32_e64 v83, 0, 1, s[10:11]
	v_cmp_gt_u32_e32 vcc, 2, v0
	v_cmp_ne_u32_e64 s[4:5], 1, v83
	s_waitcnt vmcnt(0)
	ds_write_b32 v80, v82
	s_waitcnt lgkmcnt(0)
	; wave barrier
	s_and_saveexec_b64 s[8:9], vcc
	s_cbranch_execz .LBB102_390
; %bb.385:
	s_and_b64 vcc, exec, s[4:5]
	s_cbranch_vccnz .LBB102_387
; %bb.386:
	buffer_load_dword v82, v81, s[0:3], 0 offen
	ds_read_b32 v83, v80
	s_waitcnt vmcnt(0) lgkmcnt(0)
	v_mul_f32_e32 v82, v82, v83
	s_cbranch_execz .LBB102_388
	s_branch .LBB102_389
.LBB102_387:
                                        ; implicit-def: $vgpr82
.LBB102_388:
	ds_read_b32 v82, v80
.LBB102_389:
	buffer_load_dword v85, off, s[0:3], 0 offset:4
	v_mov_b32_e32 v83, 0
	ds_read2_b32 v[83:84], v83 offset0:2 offset1:41
	s_waitcnt vmcnt(0) lgkmcnt(0)
	v_fma_f32 v84, v85, v84, v82
	v_cndmask_b32_e64 v82, v82, v84, s[6:7]
	v_mul_f32_e32 v82, v82, v83
	buffer_store_dword v82, off, s[0:3], 0 offset:8
.LBB102_390:
	s_or_b64 exec, exec, s[8:9]
	buffer_load_dword v82, off, s[0:3], 0 offset:12
	v_cmp_gt_u32_e32 vcc, 3, v0
	s_waitcnt vmcnt(0)
	ds_write_b32 v80, v82
	s_waitcnt lgkmcnt(0)
	; wave barrier
	s_and_saveexec_b64 s[8:9], vcc
	s_cbranch_execz .LBB102_398
; %bb.391:
	s_and_b64 vcc, exec, s[4:5]
	s_cbranch_vccnz .LBB102_393
; %bb.392:
	buffer_load_dword v82, v81, s[0:3], 0 offen
	ds_read_b32 v83, v80
	s_waitcnt vmcnt(0) lgkmcnt(0)
	v_mul_f32_e32 v82, v82, v83
	s_cbranch_execz .LBB102_394
	s_branch .LBB102_395
.LBB102_393:
                                        ; implicit-def: $vgpr82
.LBB102_394:
	ds_read_b32 v82, v80
.LBB102_395:
	v_cmp_ne_u32_e32 vcc, 2, v0
	s_and_saveexec_b64 s[10:11], vcc
	s_cbranch_execz .LBB102_397
; %bb.396:
	buffer_load_dword v83, v81, s[0:3], 0 offen offset:4
	buffer_load_dword v84, off, s[0:3], 0 offset:8
	v_mov_b32_e32 v85, 0
	ds_read_b32 v86, v80 offset:4
	ds_read_b32 v85, v85 offset:168
	s_waitcnt vmcnt(1) lgkmcnt(1)
	v_fmac_f32_e32 v82, v83, v86
	s_waitcnt vmcnt(0) lgkmcnt(0)
	v_fma_f32 v83, v84, v85, v82
	v_cndmask_b32_e64 v82, v82, v83, s[6:7]
.LBB102_397:
	s_or_b64 exec, exec, s[10:11]
	v_mov_b32_e32 v83, 0
	ds_read_b32 v83, v83 offset:12
	s_waitcnt lgkmcnt(0)
	v_mul_f32_e32 v82, v82, v83
	buffer_store_dword v82, off, s[0:3], 0 offset:12
.LBB102_398:
	s_or_b64 exec, exec, s[8:9]
	buffer_load_dword v82, off, s[0:3], 0 offset:16
	v_cmp_gt_u32_e32 vcc, 4, v0
	s_waitcnt vmcnt(0)
	ds_write_b32 v80, v82
	s_waitcnt lgkmcnt(0)
	; wave barrier
	s_and_saveexec_b64 s[6:7], vcc
	s_cbranch_execz .LBB102_408
; %bb.399:
	s_and_b64 vcc, exec, s[4:5]
	s_cbranch_vccnz .LBB102_401
; %bb.400:
	buffer_load_dword v82, v81, s[0:3], 0 offen
	ds_read_b32 v83, v80
	s_waitcnt vmcnt(0) lgkmcnt(0)
	v_mul_f32_e32 v82, v82, v83
	s_cbranch_execz .LBB102_402
	s_branch .LBB102_403
.LBB102_401:
                                        ; implicit-def: $vgpr82
.LBB102_402:
	ds_read_b32 v82, v80
.LBB102_403:
	v_cmp_ne_u32_e32 vcc, 3, v0
	s_and_saveexec_b64 s[8:9], vcc
	s_cbranch_execz .LBB102_407
; %bb.404:
	s_mov_b32 s10, 0
	v_add_u32_e32 v83, 0xa4, v79
	v_add3_u32 v84, v79, s10, 4
	s_mov_b64 s[10:11], 0
	v_mov_b32_e32 v85, v0
.LBB102_405:                            ; =>This Inner Loop Header: Depth=1
	buffer_load_dword v86, v84, s[0:3], 0 offen
	ds_read_b32 v87, v83
	v_add_u32_e32 v85, 1, v85
	v_cmp_lt_u32_e32 vcc, 2, v85
	v_add_u32_e32 v83, 4, v83
	v_add_u32_e32 v84, 4, v84
	s_or_b64 s[10:11], vcc, s[10:11]
	s_waitcnt vmcnt(0) lgkmcnt(0)
	v_fmac_f32_e32 v82, v86, v87
	s_andn2_b64 exec, exec, s[10:11]
	s_cbranch_execnz .LBB102_405
; %bb.406:
	s_or_b64 exec, exec, s[10:11]
.LBB102_407:
	s_or_b64 exec, exec, s[8:9]
	v_mov_b32_e32 v83, 0
	ds_read_b32 v83, v83 offset:16
	s_waitcnt lgkmcnt(0)
	v_mul_f32_e32 v82, v82, v83
	buffer_store_dword v82, off, s[0:3], 0 offset:16
.LBB102_408:
	s_or_b64 exec, exec, s[6:7]
	buffer_load_dword v82, off, s[0:3], 0 offset:20
	v_cmp_gt_u32_e32 vcc, 5, v0
	s_waitcnt vmcnt(0)
	ds_write_b32 v80, v82
	s_waitcnt lgkmcnt(0)
	; wave barrier
	s_and_saveexec_b64 s[6:7], vcc
	s_cbranch_execz .LBB102_418
; %bb.409:
	s_and_b64 vcc, exec, s[4:5]
	s_cbranch_vccnz .LBB102_411
; %bb.410:
	buffer_load_dword v82, v81, s[0:3], 0 offen
	ds_read_b32 v83, v80
	s_waitcnt vmcnt(0) lgkmcnt(0)
	v_mul_f32_e32 v82, v82, v83
	s_cbranch_execz .LBB102_412
	s_branch .LBB102_413
.LBB102_411:
                                        ; implicit-def: $vgpr82
.LBB102_412:
	ds_read_b32 v82, v80
.LBB102_413:
	v_cmp_ne_u32_e32 vcc, 4, v0
	s_and_saveexec_b64 s[8:9], vcc
	s_cbranch_execz .LBB102_417
; %bb.414:
	s_mov_b32 s10, 0
	v_add_u32_e32 v83, 0xa4, v79
	v_add3_u32 v84, v79, s10, 4
	s_mov_b64 s[10:11], 0
	v_mov_b32_e32 v85, v0
.LBB102_415:                            ; =>This Inner Loop Header: Depth=1
	buffer_load_dword v86, v84, s[0:3], 0 offen
	ds_read_b32 v87, v83
	v_add_u32_e32 v85, 1, v85
	v_cmp_lt_u32_e32 vcc, 3, v85
	v_add_u32_e32 v83, 4, v83
	v_add_u32_e32 v84, 4, v84
	s_or_b64 s[10:11], vcc, s[10:11]
	s_waitcnt vmcnt(0) lgkmcnt(0)
	v_fmac_f32_e32 v82, v86, v87
	s_andn2_b64 exec, exec, s[10:11]
	s_cbranch_execnz .LBB102_415
; %bb.416:
	s_or_b64 exec, exec, s[10:11]
.LBB102_417:
	s_or_b64 exec, exec, s[8:9]
	v_mov_b32_e32 v83, 0
	ds_read_b32 v83, v83 offset:20
	s_waitcnt lgkmcnt(0)
	v_mul_f32_e32 v82, v82, v83
	buffer_store_dword v82, off, s[0:3], 0 offset:20
.LBB102_418:
	;; [unrolled: 55-line block ×33, first 2 shown]
	s_or_b64 exec, exec, s[6:7]
	buffer_load_dword v82, off, s[0:3], 0 offset:148
	v_cmp_gt_u32_e64 s[6:7], 37, v0
	s_waitcnt vmcnt(0)
	ds_write_b32 v80, v82
	s_waitcnt lgkmcnt(0)
	; wave barrier
	s_and_saveexec_b64 s[8:9], s[6:7]
	s_cbranch_execz .LBB102_738
; %bb.729:
	s_and_b64 vcc, exec, s[4:5]
	s_cbranch_vccnz .LBB102_731
; %bb.730:
	buffer_load_dword v82, v81, s[0:3], 0 offen
	ds_read_b32 v83, v80
	s_waitcnt vmcnt(0) lgkmcnt(0)
	v_mul_f32_e32 v82, v82, v83
	s_cbranch_execz .LBB102_732
	s_branch .LBB102_733
.LBB102_731:
                                        ; implicit-def: $vgpr82
.LBB102_732:
	ds_read_b32 v82, v80
.LBB102_733:
	v_cmp_ne_u32_e32 vcc, 36, v0
	s_and_saveexec_b64 s[10:11], vcc
	s_cbranch_execz .LBB102_737
; %bb.734:
	s_mov_b32 s12, 0
	v_add_u32_e32 v83, 0xa4, v79
	v_add3_u32 v84, v79, s12, 4
	s_mov_b64 s[12:13], 0
	v_mov_b32_e32 v85, v0
.LBB102_735:                            ; =>This Inner Loop Header: Depth=1
	buffer_load_dword v86, v84, s[0:3], 0 offen
	ds_read_b32 v87, v83
	v_add_u32_e32 v85, 1, v85
	v_cmp_lt_u32_e32 vcc, 35, v85
	v_add_u32_e32 v83, 4, v83
	v_add_u32_e32 v84, 4, v84
	s_or_b64 s[12:13], vcc, s[12:13]
	s_waitcnt vmcnt(0) lgkmcnt(0)
	v_fmac_f32_e32 v82, v86, v87
	s_andn2_b64 exec, exec, s[12:13]
	s_cbranch_execnz .LBB102_735
; %bb.736:
	s_or_b64 exec, exec, s[12:13]
.LBB102_737:
	s_or_b64 exec, exec, s[10:11]
	v_mov_b32_e32 v83, 0
	ds_read_b32 v83, v83 offset:148
	s_waitcnt lgkmcnt(0)
	v_mul_f32_e32 v82, v82, v83
	buffer_store_dword v82, off, s[0:3], 0 offset:148
.LBB102_738:
	s_or_b64 exec, exec, s[8:9]
	buffer_load_dword v82, off, s[0:3], 0 offset:152
	v_cmp_ne_u32_e32 vcc, 38, v0
	s_waitcnt vmcnt(0)
	ds_write_b32 v80, v82
	s_waitcnt lgkmcnt(0)
	; wave barrier
	s_and_saveexec_b64 s[8:9], vcc
	s_cbranch_execz .LBB102_748
; %bb.739:
	s_and_b64 vcc, exec, s[4:5]
	s_cbranch_vccnz .LBB102_741
; %bb.740:
	buffer_load_dword v81, v81, s[0:3], 0 offen
	ds_read_b32 v82, v80
	s_waitcnt vmcnt(0) lgkmcnt(0)
	v_mul_f32_e32 v81, v81, v82
	s_cbranch_execz .LBB102_742
	s_branch .LBB102_743
.LBB102_741:
                                        ; implicit-def: $vgpr81
.LBB102_742:
	ds_read_b32 v81, v80
.LBB102_743:
	s_and_saveexec_b64 s[4:5], s[6:7]
	s_cbranch_execz .LBB102_747
; %bb.744:
	s_mov_b32 s6, 0
	v_add_u32_e32 v80, 0xa4, v79
	v_add3_u32 v79, v79, s6, 4
	s_mov_b64 s[6:7], 0
.LBB102_745:                            ; =>This Inner Loop Header: Depth=1
	buffer_load_dword v82, v79, s[0:3], 0 offen
	ds_read_b32 v83, v80
	v_add_u32_e32 v0, 1, v0
	v_cmp_lt_u32_e32 vcc, 36, v0
	v_add_u32_e32 v80, 4, v80
	v_add_u32_e32 v79, 4, v79
	s_or_b64 s[6:7], vcc, s[6:7]
	s_waitcnt vmcnt(0) lgkmcnt(0)
	v_fmac_f32_e32 v81, v82, v83
	s_andn2_b64 exec, exec, s[6:7]
	s_cbranch_execnz .LBB102_745
; %bb.746:
	s_or_b64 exec, exec, s[6:7]
.LBB102_747:
	s_or_b64 exec, exec, s[4:5]
	v_mov_b32_e32 v0, 0
	ds_read_b32 v0, v0 offset:152
	s_waitcnt lgkmcnt(0)
	v_mul_f32_e32 v0, v81, v0
	buffer_store_dword v0, off, s[0:3], 0 offset:152
.LBB102_748:
	s_or_b64 exec, exec, s[8:9]
.LBB102_749:
	buffer_load_dword v0, off, s[0:3], 0
	s_waitcnt vmcnt(0)
	flat_store_dword v[1:2], v0
	buffer_load_dword v0, off, s[0:3], 0 offset:4
	s_waitcnt vmcnt(0)
	flat_store_dword v[3:4], v0
	buffer_load_dword v0, off, s[0:3], 0 offset:8
	;; [unrolled: 3-line block ×38, first 2 shown]
	s_waitcnt vmcnt(0)
	flat_store_dword v[77:78], v0
.LBB102_750:
	s_endpgm
	.section	.rodata,"a",@progbits
	.p2align	6, 0x0
	.amdhsa_kernel _ZN9rocsolver6v33100L18trti2_kernel_smallILi39EfPKPfEEv13rocblas_fill_17rocblas_diagonal_T1_iil
		.amdhsa_group_segment_fixed_size 316
		.amdhsa_private_segment_fixed_size 160
		.amdhsa_kernarg_size 32
		.amdhsa_user_sgpr_count 6
		.amdhsa_user_sgpr_private_segment_buffer 1
		.amdhsa_user_sgpr_dispatch_ptr 0
		.amdhsa_user_sgpr_queue_ptr 0
		.amdhsa_user_sgpr_kernarg_segment_ptr 1
		.amdhsa_user_sgpr_dispatch_id 0
		.amdhsa_user_sgpr_flat_scratch_init 0
		.amdhsa_user_sgpr_private_segment_size 0
		.amdhsa_uses_dynamic_stack 0
		.amdhsa_system_sgpr_private_segment_wavefront_offset 1
		.amdhsa_system_sgpr_workgroup_id_x 1
		.amdhsa_system_sgpr_workgroup_id_y 0
		.amdhsa_system_sgpr_workgroup_id_z 0
		.amdhsa_system_sgpr_workgroup_info 0
		.amdhsa_system_vgpr_workitem_id 0
		.amdhsa_next_free_vgpr 88
		.amdhsa_next_free_sgpr 52
		.amdhsa_reserve_vcc 1
		.amdhsa_reserve_flat_scratch 0
		.amdhsa_float_round_mode_32 0
		.amdhsa_float_round_mode_16_64 0
		.amdhsa_float_denorm_mode_32 3
		.amdhsa_float_denorm_mode_16_64 3
		.amdhsa_dx10_clamp 1
		.amdhsa_ieee_mode 1
		.amdhsa_fp16_overflow 0
		.amdhsa_exception_fp_ieee_invalid_op 0
		.amdhsa_exception_fp_denorm_src 0
		.amdhsa_exception_fp_ieee_div_zero 0
		.amdhsa_exception_fp_ieee_overflow 0
		.amdhsa_exception_fp_ieee_underflow 0
		.amdhsa_exception_fp_ieee_inexact 0
		.amdhsa_exception_int_div_zero 0
	.end_amdhsa_kernel
	.section	.text._ZN9rocsolver6v33100L18trti2_kernel_smallILi39EfPKPfEEv13rocblas_fill_17rocblas_diagonal_T1_iil,"axG",@progbits,_ZN9rocsolver6v33100L18trti2_kernel_smallILi39EfPKPfEEv13rocblas_fill_17rocblas_diagonal_T1_iil,comdat
.Lfunc_end102:
	.size	_ZN9rocsolver6v33100L18trti2_kernel_smallILi39EfPKPfEEv13rocblas_fill_17rocblas_diagonal_T1_iil, .Lfunc_end102-_ZN9rocsolver6v33100L18trti2_kernel_smallILi39EfPKPfEEv13rocblas_fill_17rocblas_diagonal_T1_iil
                                        ; -- End function
	.set _ZN9rocsolver6v33100L18trti2_kernel_smallILi39EfPKPfEEv13rocblas_fill_17rocblas_diagonal_T1_iil.num_vgpr, 88
	.set _ZN9rocsolver6v33100L18trti2_kernel_smallILi39EfPKPfEEv13rocblas_fill_17rocblas_diagonal_T1_iil.num_agpr, 0
	.set _ZN9rocsolver6v33100L18trti2_kernel_smallILi39EfPKPfEEv13rocblas_fill_17rocblas_diagonal_T1_iil.numbered_sgpr, 52
	.set _ZN9rocsolver6v33100L18trti2_kernel_smallILi39EfPKPfEEv13rocblas_fill_17rocblas_diagonal_T1_iil.num_named_barrier, 0
	.set _ZN9rocsolver6v33100L18trti2_kernel_smallILi39EfPKPfEEv13rocblas_fill_17rocblas_diagonal_T1_iil.private_seg_size, 160
	.set _ZN9rocsolver6v33100L18trti2_kernel_smallILi39EfPKPfEEv13rocblas_fill_17rocblas_diagonal_T1_iil.uses_vcc, 1
	.set _ZN9rocsolver6v33100L18trti2_kernel_smallILi39EfPKPfEEv13rocblas_fill_17rocblas_diagonal_T1_iil.uses_flat_scratch, 0
	.set _ZN9rocsolver6v33100L18trti2_kernel_smallILi39EfPKPfEEv13rocblas_fill_17rocblas_diagonal_T1_iil.has_dyn_sized_stack, 0
	.set _ZN9rocsolver6v33100L18trti2_kernel_smallILi39EfPKPfEEv13rocblas_fill_17rocblas_diagonal_T1_iil.has_recursion, 0
	.set _ZN9rocsolver6v33100L18trti2_kernel_smallILi39EfPKPfEEv13rocblas_fill_17rocblas_diagonal_T1_iil.has_indirect_call, 0
	.section	.AMDGPU.csdata,"",@progbits
; Kernel info:
; codeLenInByte = 18832
; TotalNumSgprs: 56
; NumVgprs: 88
; ScratchSize: 160
; MemoryBound: 0
; FloatMode: 240
; IeeeMode: 1
; LDSByteSize: 316 bytes/workgroup (compile time only)
; SGPRBlocks: 6
; VGPRBlocks: 21
; NumSGPRsForWavesPerEU: 56
; NumVGPRsForWavesPerEU: 88
; Occupancy: 2
; WaveLimiterHint : 1
; COMPUTE_PGM_RSRC2:SCRATCH_EN: 1
; COMPUTE_PGM_RSRC2:USER_SGPR: 6
; COMPUTE_PGM_RSRC2:TRAP_HANDLER: 0
; COMPUTE_PGM_RSRC2:TGID_X_EN: 1
; COMPUTE_PGM_RSRC2:TGID_Y_EN: 0
; COMPUTE_PGM_RSRC2:TGID_Z_EN: 0
; COMPUTE_PGM_RSRC2:TIDIG_COMP_CNT: 0
	.section	.text._ZN9rocsolver6v33100L18trti2_kernel_smallILi40EfPKPfEEv13rocblas_fill_17rocblas_diagonal_T1_iil,"axG",@progbits,_ZN9rocsolver6v33100L18trti2_kernel_smallILi40EfPKPfEEv13rocblas_fill_17rocblas_diagonal_T1_iil,comdat
	.globl	_ZN9rocsolver6v33100L18trti2_kernel_smallILi40EfPKPfEEv13rocblas_fill_17rocblas_diagonal_T1_iil ; -- Begin function _ZN9rocsolver6v33100L18trti2_kernel_smallILi40EfPKPfEEv13rocblas_fill_17rocblas_diagonal_T1_iil
	.p2align	8
	.type	_ZN9rocsolver6v33100L18trti2_kernel_smallILi40EfPKPfEEv13rocblas_fill_17rocblas_diagonal_T1_iil,@function
_ZN9rocsolver6v33100L18trti2_kernel_smallILi40EfPKPfEEv13rocblas_fill_17rocblas_diagonal_T1_iil: ; @_ZN9rocsolver6v33100L18trti2_kernel_smallILi40EfPKPfEEv13rocblas_fill_17rocblas_diagonal_T1_iil
; %bb.0:
	s_add_u32 s0, s0, s7
	s_addc_u32 s1, s1, 0
	v_cmp_gt_u32_e32 vcc, 40, v0
	s_and_saveexec_b64 s[8:9], vcc
	s_cbranch_execz .LBB103_770
; %bb.1:
	s_load_dwordx2 s[12:13], s[4:5], 0x10
	s_load_dwordx4 s[8:11], s[4:5], 0x0
	s_ashr_i32 s7, s6, 31
	s_lshl_b64 s[6:7], s[6:7], 3
	v_lshlrev_b32_e32 v81, 2, v0
	s_waitcnt lgkmcnt(0)
	s_ashr_i32 s5, s12, 31
	s_add_u32 s6, s10, s6
	s_addc_u32 s7, s11, s7
	s_load_dwordx2 s[6:7], s[6:7], 0x0
	s_mov_b32 s4, s12
	s_lshl_b64 s[4:5], s[4:5], 2
	s_movk_i32 s12, 0x84
	s_waitcnt lgkmcnt(0)
	s_add_u32 s4, s6, s4
	s_addc_u32 s5, s7, s5
	v_mov_b32_e32 v2, s5
	v_add_co_u32_e32 v1, vcc, s4, v81
	v_addc_co_u32_e32 v2, vcc, 0, v2, vcc
	flat_load_dword v5, v[1:2]
	s_mov_b32 s6, s13
	s_ashr_i32 s7, s13, 31
	s_lshl_b64 s[6:7], s[6:7], 2
	v_mov_b32_e32 v4, s7
	v_add_co_u32_e32 v3, vcc, s6, v1
	v_addc_co_u32_e32 v4, vcc, v2, v4, vcc
	s_add_i32 s6, s13, s13
	v_add_u32_e32 v7, s6, v0
	v_ashrrev_i32_e32 v8, 31, v7
	v_mov_b32_e32 v10, s5
	v_mov_b32_e32 v12, s5
	;; [unrolled: 1-line block ×37, first 2 shown]
	s_cmpk_lg_i32 s9, 0x84
	s_cselect_b64 s[10:11], -1, 0
	s_cmpk_eq_i32 s9, 0x84
	s_waitcnt vmcnt(0) lgkmcnt(0)
	buffer_store_dword v5, off, s[0:3], 0
	flat_load_dword v9, v[3:4]
	v_lshlrev_b64 v[5:6], 2, v[7:8]
	v_add_co_u32_e32 v5, vcc, s4, v5
	v_addc_co_u32_e32 v6, vcc, v10, v6, vcc
	s_waitcnt vmcnt(0) lgkmcnt(0)
	buffer_store_dword v9, off, s[0:3], 0 offset:4
	flat_load_dword v11, v[5:6]
	v_add_u32_e32 v9, s13, v7
	v_ashrrev_i32_e32 v10, 31, v9
	v_lshlrev_b64 v[7:8], 2, v[9:10]
	v_add_co_u32_e32 v7, vcc, s4, v7
	v_addc_co_u32_e32 v8, vcc, v12, v8, vcc
	s_waitcnt vmcnt(0) lgkmcnt(0)
	buffer_store_dword v11, off, s[0:3], 0 offset:8
	flat_load_dword v13, v[7:8]
	v_add_u32_e32 v11, s13, v9
	v_ashrrev_i32_e32 v12, 31, v11
	;; [unrolled: 8-line block ×36, first 2 shown]
	v_lshlrev_b64 v[77:78], 2, v[79:80]
	v_add_u32_e32 v79, s13, v79
	v_add_co_u32_e32 v77, vcc, s4, v77
	v_addc_co_u32_e32 v78, vcc, v83, v78, vcc
	v_ashrrev_i32_e32 v80, 31, v79
	v_lshlrev_b64 v[79:80], 2, v[79:80]
	v_add_co_u32_e32 v79, vcc, s4, v79
	v_addc_co_u32_e32 v80, vcc, v83, v80, vcc
	s_waitcnt vmcnt(0) lgkmcnt(0)
	buffer_store_dword v82, off, s[0:3], 0 offset:148
	flat_load_dword v82, v[77:78]
	s_waitcnt vmcnt(0) lgkmcnt(0)
	buffer_store_dword v82, off, s[0:3], 0 offset:152
	flat_load_dword v82, v[79:80]
	s_waitcnt vmcnt(0) lgkmcnt(0)
	buffer_store_dword v82, off, s[0:3], 0 offset:156
	v_mov_b32_e32 v82, -1.0
	s_cbranch_scc1 .LBB103_3
; %bb.2:
	v_mov_b32_e32 v82, 0
	v_lshl_add_u32 v82, v0, 2, v82
	buffer_load_dword v83, v82, s[0:3], 0 offen
	s_waitcnt vmcnt(0)
	v_div_scale_f32 v84, s[4:5], v83, v83, 1.0
	v_div_scale_f32 v85, vcc, 1.0, v83, 1.0
	v_rcp_f32_e32 v86, v84
	v_fma_f32 v87, -v84, v86, 1.0
	v_fmac_f32_e32 v86, v87, v86
	v_mul_f32_e32 v87, v85, v86
	v_fma_f32 v88, -v84, v87, v85
	v_fmac_f32_e32 v87, v88, v86
	v_fma_f32 v84, -v84, v87, v85
	v_div_fmas_f32 v84, v84, v86, v87
	v_div_fixup_f32 v83, v84, v83, 1.0
	buffer_store_dword v83, v82, s[0:3], 0 offen
	v_xor_b32_e32 v82, 0x80000000, v83
.LBB103_3:
	ds_write_b32 v81, v82
	s_cmpk_eq_i32 s8, 0x79
	v_add_u32_e32 v82, 0xa0, v81
	v_mov_b32_e32 v83, v81
	s_mov_b64 s[4:5], -1
	s_cbranch_scc1 .LBB103_387
; %bb.4:
	buffer_load_dword v84, off, s[0:3], 0 offset:152
	s_movk_i32 s30, 0x44
	s_movk_i32 s31, 0x48
	;; [unrolled: 1-line block ×20, first 2 shown]
	v_cmp_eq_u32_e64 s[4:5], 39, v0
	s_waitcnt vmcnt(0)
	ds_write_b32 v82, v84
	s_waitcnt lgkmcnt(0)
	; wave barrier
	s_and_saveexec_b64 s[6:7], s[4:5]
	s_cbranch_execz .LBB103_10
; %bb.5:
	s_and_b64 vcc, exec, s[10:11]
	s_cbranch_vccz .LBB103_7
; %bb.6:
	buffer_load_dword v84, v83, s[0:3], 0 offen
	ds_read_b32 v85, v82
	s_waitcnt vmcnt(0) lgkmcnt(0)
	v_mul_f32_e32 v84, v84, v85
	s_cbranch_execz .LBB103_8
	s_branch .LBB103_9
.LBB103_7:
                                        ; implicit-def: $vgpr84
.LBB103_8:
	ds_read_b32 v84, v82
.LBB103_9:
	v_mov_b32_e32 v85, 0
	ds_read_b32 v85, v85 offset:152
	s_waitcnt lgkmcnt(0)
	v_mul_f32_e32 v84, v84, v85
	buffer_store_dword v84, off, s[0:3], 0 offset:152
.LBB103_10:
	s_or_b64 exec, exec, s[6:7]
	buffer_load_dword v84, off, s[0:3], 0 offset:148
	s_or_b32 s14, 0, 4
	s_or_b32 s15, 0, 8
	;; [unrolled: 1-line block ×3, first 2 shown]
	s_mov_b32 s17, 16
	s_mov_b32 s18, 20
	;; [unrolled: 1-line block ×15, first 2 shown]
	v_cmp_lt_u32_e64 s[6:7], 37, v0
	s_waitcnt vmcnt(0)
	ds_write_b32 v82, v84
	s_waitcnt lgkmcnt(0)
	; wave barrier
	s_and_saveexec_b64 s[8:9], s[6:7]
	s_cbranch_execz .LBB103_16
; %bb.11:
	s_andn2_b64 vcc, exec, s[10:11]
	s_cbranch_vccnz .LBB103_13
; %bb.12:
	buffer_load_dword v84, v83, s[0:3], 0 offen
	ds_read_b32 v85, v82
	s_waitcnt vmcnt(0) lgkmcnt(0)
	v_mul_f32_e32 v84, v84, v85
	s_cbranch_execz .LBB103_14
	s_branch .LBB103_15
.LBB103_13:
                                        ; implicit-def: $vgpr84
.LBB103_14:
	ds_read_b32 v84, v82
.LBB103_15:
	buffer_load_dword v87, off, s[0:3], 0 offset:152
	v_mov_b32_e32 v85, 0
	ds_read2_b32 v[85:86], v85 offset0:37 offset1:78
	s_waitcnt vmcnt(0) lgkmcnt(0)
	v_fma_f32 v86, v87, v86, v84
	v_cndmask_b32_e64 v84, v84, v86, s[4:5]
	v_mul_f32_e32 v84, v84, v85
	buffer_store_dword v84, off, s[0:3], 0 offset:148
.LBB103_16:
	s_or_b64 exec, exec, s[8:9]
	buffer_load_dword v84, off, s[0:3], 0 offset:144
	v_cmp_lt_u32_e64 s[4:5], 36, v0
	s_waitcnt vmcnt(0)
	ds_write_b32 v82, v84
	s_waitcnt lgkmcnt(0)
	; wave barrier
	s_and_saveexec_b64 s[8:9], s[4:5]
	s_cbranch_execz .LBB103_26
; %bb.17:
	s_andn2_b64 vcc, exec, s[10:11]
	s_cbranch_vccnz .LBB103_19
; %bb.18:
	buffer_load_dword v84, v83, s[0:3], 0 offen
	ds_read_b32 v85, v82
	s_waitcnt vmcnt(0) lgkmcnt(0)
	v_mul_f32_e32 v84, v84, v85
	s_cbranch_execz .LBB103_20
	s_branch .LBB103_21
.LBB103_19:
                                        ; implicit-def: $vgpr84
.LBB103_20:
	ds_read_b32 v84, v82
.LBB103_21:
	s_and_saveexec_b64 s[12:13], s[6:7]
	s_cbranch_execz .LBB103_25
; %bb.22:
	v_subrev_u32_e32 v85, 37, v0
	s_movk_i32 s52, 0x134
	s_mov_b64 s[6:7], 0
.LBB103_23:                             ; =>This Inner Loop Header: Depth=1
	v_mov_b32_e32 v86, s51
	buffer_load_dword v86, v86, s[0:3], 0 offen
	v_mov_b32_e32 v87, s52
	ds_read_b32 v87, v87
	v_add_u32_e32 v85, -1, v85
	s_add_i32 s52, s52, 4
	s_add_i32 s51, s51, 4
	v_cmp_eq_u32_e32 vcc, 0, v85
	s_or_b64 s[6:7], vcc, s[6:7]
	s_waitcnt vmcnt(0) lgkmcnt(0)
	v_fmac_f32_e32 v84, v86, v87
	s_andn2_b64 exec, exec, s[6:7]
	s_cbranch_execnz .LBB103_23
; %bb.24:
	s_or_b64 exec, exec, s[6:7]
.LBB103_25:
	s_or_b64 exec, exec, s[12:13]
	v_mov_b32_e32 v85, 0
	ds_read_b32 v85, v85 offset:144
	s_waitcnt lgkmcnt(0)
	v_mul_f32_e32 v84, v84, v85
	buffer_store_dword v84, off, s[0:3], 0 offset:144
.LBB103_26:
	s_or_b64 exec, exec, s[8:9]
	buffer_load_dword v84, off, s[0:3], 0 offset:140
	v_cmp_lt_u32_e64 s[6:7], 35, v0
	s_waitcnt vmcnt(0)
	ds_write_b32 v82, v84
	s_waitcnt lgkmcnt(0)
	; wave barrier
	s_and_saveexec_b64 s[8:9], s[6:7]
	s_cbranch_execz .LBB103_36
; %bb.27:
	s_andn2_b64 vcc, exec, s[10:11]
	s_cbranch_vccnz .LBB103_29
; %bb.28:
	buffer_load_dword v84, v83, s[0:3], 0 offen
	ds_read_b32 v85, v82
	s_waitcnt vmcnt(0) lgkmcnt(0)
	v_mul_f32_e32 v84, v84, v85
	s_cbranch_execz .LBB103_30
	s_branch .LBB103_31
.LBB103_29:
                                        ; implicit-def: $vgpr84
.LBB103_30:
	ds_read_b32 v84, v82
.LBB103_31:
	s_and_saveexec_b64 s[12:13], s[4:5]
	s_cbranch_execz .LBB103_35
; %bb.32:
	v_subrev_u32_e32 v85, 36, v0
	s_movk_i32 s51, 0x130
	s_mov_b64 s[4:5], 0
.LBB103_33:                             ; =>This Inner Loop Header: Depth=1
	v_mov_b32_e32 v86, s50
	buffer_load_dword v86, v86, s[0:3], 0 offen
	v_mov_b32_e32 v87, s51
	ds_read_b32 v87, v87
	v_add_u32_e32 v85, -1, v85
	s_add_i32 s51, s51, 4
	s_add_i32 s50, s50, 4
	v_cmp_eq_u32_e32 vcc, 0, v85
	s_or_b64 s[4:5], vcc, s[4:5]
	s_waitcnt vmcnt(0) lgkmcnt(0)
	v_fmac_f32_e32 v84, v86, v87
	s_andn2_b64 exec, exec, s[4:5]
	s_cbranch_execnz .LBB103_33
; %bb.34:
	s_or_b64 exec, exec, s[4:5]
.LBB103_35:
	s_or_b64 exec, exec, s[12:13]
	v_mov_b32_e32 v85, 0
	ds_read_b32 v85, v85 offset:140
	s_waitcnt lgkmcnt(0)
	v_mul_f32_e32 v84, v84, v85
	buffer_store_dword v84, off, s[0:3], 0 offset:140
.LBB103_36:
	;; [unrolled: 54-line block ×8, first 2 shown]
	s_or_b64 exec, exec, s[8:9]
	buffer_load_dword v84, off, s[0:3], 0 offset:112
	v_cmp_lt_u32_e64 s[4:5], 28, v0
	s_waitcnt vmcnt(0)
	ds_write_b32 v82, v84
	s_waitcnt lgkmcnt(0)
	; wave barrier
	s_and_saveexec_b64 s[8:9], s[4:5]
	s_cbranch_execz .LBB103_106
; %bb.97:
	s_andn2_b64 vcc, exec, s[10:11]
	s_cbranch_vccnz .LBB103_99
; %bb.98:
	buffer_load_dword v84, v83, s[0:3], 0 offen
	ds_read_b32 v85, v82
	s_waitcnt vmcnt(0) lgkmcnt(0)
	v_mul_f32_e32 v84, v84, v85
	s_cbranch_execz .LBB103_100
	s_branch .LBB103_101
.LBB103_99:
                                        ; implicit-def: $vgpr84
.LBB103_100:
	ds_read_b32 v84, v82
.LBB103_101:
	s_and_saveexec_b64 s[12:13], s[6:7]
	s_cbranch_execz .LBB103_105
; %bb.102:
	v_subrev_u32_e32 v85, 29, v0
	s_movk_i32 s44, 0x114
	s_mov_b64 s[6:7], 0
.LBB103_103:                            ; =>This Inner Loop Header: Depth=1
	v_mov_b32_e32 v86, s43
	buffer_load_dword v86, v86, s[0:3], 0 offen
	v_mov_b32_e32 v87, s44
	ds_read_b32 v87, v87
	v_add_u32_e32 v85, -1, v85
	s_add_i32 s44, s44, 4
	s_add_i32 s43, s43, 4
	v_cmp_eq_u32_e32 vcc, 0, v85
	s_or_b64 s[6:7], vcc, s[6:7]
	s_waitcnt vmcnt(0) lgkmcnt(0)
	v_fmac_f32_e32 v84, v86, v87
	s_andn2_b64 exec, exec, s[6:7]
	s_cbranch_execnz .LBB103_103
; %bb.104:
	s_or_b64 exec, exec, s[6:7]
.LBB103_105:
	s_or_b64 exec, exec, s[12:13]
	v_mov_b32_e32 v85, 0
	ds_read_b32 v85, v85 offset:112
	s_waitcnt lgkmcnt(0)
	v_mul_f32_e32 v84, v84, v85
	buffer_store_dword v84, off, s[0:3], 0 offset:112
.LBB103_106:
	s_or_b64 exec, exec, s[8:9]
	buffer_load_dword v84, off, s[0:3], 0 offset:108
	v_cmp_lt_u32_e64 s[6:7], 27, v0
	s_waitcnt vmcnt(0)
	ds_write_b32 v82, v84
	s_waitcnt lgkmcnt(0)
	; wave barrier
	s_and_saveexec_b64 s[8:9], s[6:7]
	s_cbranch_execz .LBB103_116
; %bb.107:
	s_andn2_b64 vcc, exec, s[10:11]
	s_cbranch_vccnz .LBB103_109
; %bb.108:
	buffer_load_dword v84, v83, s[0:3], 0 offen
	ds_read_b32 v85, v82
	s_waitcnt vmcnt(0) lgkmcnt(0)
	v_mul_f32_e32 v84, v84, v85
	s_cbranch_execz .LBB103_110
	s_branch .LBB103_111
.LBB103_109:
                                        ; implicit-def: $vgpr84
.LBB103_110:
	ds_read_b32 v84, v82
.LBB103_111:
	s_and_saveexec_b64 s[12:13], s[4:5]
	s_cbranch_execz .LBB103_115
; %bb.112:
	v_subrev_u32_e32 v85, 28, v0
	s_movk_i32 s43, 0x110
	s_mov_b64 s[4:5], 0
.LBB103_113:                            ; =>This Inner Loop Header: Depth=1
	v_mov_b32_e32 v86, s42
	buffer_load_dword v86, v86, s[0:3], 0 offen
	v_mov_b32_e32 v87, s43
	ds_read_b32 v87, v87
	v_add_u32_e32 v85, -1, v85
	s_add_i32 s43, s43, 4
	s_add_i32 s42, s42, 4
	v_cmp_eq_u32_e32 vcc, 0, v85
	s_or_b64 s[4:5], vcc, s[4:5]
	s_waitcnt vmcnt(0) lgkmcnt(0)
	v_fmac_f32_e32 v84, v86, v87
	s_andn2_b64 exec, exec, s[4:5]
	s_cbranch_execnz .LBB103_113
; %bb.114:
	s_or_b64 exec, exec, s[4:5]
.LBB103_115:
	s_or_b64 exec, exec, s[12:13]
	v_mov_b32_e32 v85, 0
	ds_read_b32 v85, v85 offset:108
	s_waitcnt lgkmcnt(0)
	v_mul_f32_e32 v84, v84, v85
	buffer_store_dword v84, off, s[0:3], 0 offset:108
.LBB103_116:
	;; [unrolled: 54-line block ×13, first 2 shown]
	s_or_b64 exec, exec, s[8:9]
	buffer_load_dword v84, off, s[0:3], 0 offset:60
	v_cmp_lt_u32_e64 s[6:7], 15, v0
	s_waitcnt vmcnt(0)
	ds_write_b32 v82, v84
	s_waitcnt lgkmcnt(0)
	; wave barrier
	s_and_saveexec_b64 s[8:9], s[6:7]
	s_cbranch_execz .LBB103_236
; %bb.227:
	s_andn2_b64 vcc, exec, s[10:11]
	s_cbranch_vccnz .LBB103_229
; %bb.228:
	buffer_load_dword v84, v83, s[0:3], 0 offen
	ds_read_b32 v85, v82
	s_waitcnt vmcnt(0) lgkmcnt(0)
	v_mul_f32_e32 v84, v84, v85
	s_cbranch_execz .LBB103_230
	s_branch .LBB103_231
.LBB103_229:
                                        ; implicit-def: $vgpr84
.LBB103_230:
	ds_read_b32 v84, v82
.LBB103_231:
	s_and_saveexec_b64 s[12:13], s[4:5]
	s_cbranch_execz .LBB103_235
; %bb.232:
	v_add_u32_e32 v85, -16, v0
	s_movk_i32 s30, 0xe0
	s_mov_b64 s[4:5], 0
.LBB103_233:                            ; =>This Inner Loop Header: Depth=1
	v_mov_b32_e32 v86, s29
	buffer_load_dword v86, v86, s[0:3], 0 offen
	v_mov_b32_e32 v87, s30
	ds_read_b32 v87, v87
	v_add_u32_e32 v85, -1, v85
	s_add_i32 s30, s30, 4
	s_add_i32 s29, s29, 4
	v_cmp_eq_u32_e32 vcc, 0, v85
	s_or_b64 s[4:5], vcc, s[4:5]
	s_waitcnt vmcnt(0) lgkmcnt(0)
	v_fmac_f32_e32 v84, v86, v87
	s_andn2_b64 exec, exec, s[4:5]
	s_cbranch_execnz .LBB103_233
; %bb.234:
	s_or_b64 exec, exec, s[4:5]
.LBB103_235:
	s_or_b64 exec, exec, s[12:13]
	v_mov_b32_e32 v85, 0
	ds_read_b32 v85, v85 offset:60
	s_waitcnt lgkmcnt(0)
	v_mul_f32_e32 v84, v84, v85
	buffer_store_dword v84, off, s[0:3], 0 offset:60
.LBB103_236:
	s_or_b64 exec, exec, s[8:9]
	buffer_load_dword v84, off, s[0:3], 0 offset:56
	v_cmp_lt_u32_e64 s[4:5], 14, v0
	s_waitcnt vmcnt(0)
	ds_write_b32 v82, v84
	s_waitcnt lgkmcnt(0)
	; wave barrier
	s_and_saveexec_b64 s[8:9], s[4:5]
	s_cbranch_execz .LBB103_246
; %bb.237:
	s_andn2_b64 vcc, exec, s[10:11]
	s_cbranch_vccnz .LBB103_239
; %bb.238:
	buffer_load_dword v84, v83, s[0:3], 0 offen
	ds_read_b32 v85, v82
	s_waitcnt vmcnt(0) lgkmcnt(0)
	v_mul_f32_e32 v84, v84, v85
	s_cbranch_execz .LBB103_240
	s_branch .LBB103_241
.LBB103_239:
                                        ; implicit-def: $vgpr84
.LBB103_240:
	ds_read_b32 v84, v82
.LBB103_241:
	s_and_saveexec_b64 s[12:13], s[6:7]
	s_cbranch_execz .LBB103_245
; %bb.242:
	v_add_u32_e32 v85, -15, v0
	s_movk_i32 s29, 0xdc
	s_mov_b64 s[6:7], 0
.LBB103_243:                            ; =>This Inner Loop Header: Depth=1
	v_mov_b32_e32 v86, s28
	buffer_load_dword v86, v86, s[0:3], 0 offen
	v_mov_b32_e32 v87, s29
	ds_read_b32 v87, v87
	v_add_u32_e32 v85, -1, v85
	s_add_i32 s29, s29, 4
	s_add_i32 s28, s28, 4
	v_cmp_eq_u32_e32 vcc, 0, v85
	s_or_b64 s[6:7], vcc, s[6:7]
	s_waitcnt vmcnt(0) lgkmcnt(0)
	v_fmac_f32_e32 v84, v86, v87
	s_andn2_b64 exec, exec, s[6:7]
	s_cbranch_execnz .LBB103_243
; %bb.244:
	s_or_b64 exec, exec, s[6:7]
.LBB103_245:
	s_or_b64 exec, exec, s[12:13]
	v_mov_b32_e32 v85, 0
	ds_read_b32 v85, v85 offset:56
	s_waitcnt lgkmcnt(0)
	v_mul_f32_e32 v84, v84, v85
	buffer_store_dword v84, off, s[0:3], 0 offset:56
.LBB103_246:
	;; [unrolled: 54-line block ×15, first 2 shown]
	s_or_b64 exec, exec, s[8:9]
	buffer_load_dword v84, off, s[0:3], 0
	v_cmp_ne_u32_e32 vcc, 0, v0
	s_waitcnt vmcnt(0)
	ds_write_b32 v82, v84
	s_waitcnt lgkmcnt(0)
	; wave barrier
	s_and_saveexec_b64 s[4:5], vcc
	s_cbranch_execz .LBB103_386
; %bb.377:
	s_andn2_b64 vcc, exec, s[10:11]
	s_cbranch_vccnz .LBB103_379
; %bb.378:
	buffer_load_dword v84, v83, s[0:3], 0 offen
	ds_read_b32 v85, v82
	s_waitcnt vmcnt(0) lgkmcnt(0)
	v_mul_f32_e32 v84, v84, v85
	s_cbranch_execz .LBB103_380
	s_branch .LBB103_381
.LBB103_379:
                                        ; implicit-def: $vgpr84
.LBB103_380:
	ds_read_b32 v84, v82
.LBB103_381:
	s_and_saveexec_b64 s[8:9], s[6:7]
	s_cbranch_execz .LBB103_385
; %bb.382:
	v_add_u32_e32 v85, -1, v0
	s_movk_i32 s12, 0xa4
	s_mov_b64 s[6:7], 0
.LBB103_383:                            ; =>This Inner Loop Header: Depth=1
	v_mov_b32_e32 v86, s14
	buffer_load_dword v86, v86, s[0:3], 0 offen
	v_mov_b32_e32 v87, s12
	ds_read_b32 v87, v87
	v_add_u32_e32 v85, -1, v85
	s_add_i32 s12, s12, 4
	s_add_i32 s14, s14, 4
	v_cmp_eq_u32_e32 vcc, 0, v85
	s_or_b64 s[6:7], vcc, s[6:7]
	s_waitcnt vmcnt(0) lgkmcnt(0)
	v_fmac_f32_e32 v84, v86, v87
	s_andn2_b64 exec, exec, s[6:7]
	s_cbranch_execnz .LBB103_383
; %bb.384:
	s_or_b64 exec, exec, s[6:7]
.LBB103_385:
	s_or_b64 exec, exec, s[8:9]
	v_mov_b32_e32 v85, 0
	ds_read_b32 v85, v85
	s_waitcnt lgkmcnt(0)
	v_mul_f32_e32 v84, v84, v85
	buffer_store_dword v84, off, s[0:3], 0
.LBB103_386:
	s_or_b64 exec, exec, s[4:5]
	s_mov_b64 s[4:5], 0
.LBB103_387:
	s_and_b64 vcc, exec, s[4:5]
	s_cbranch_vccz .LBB103_769
; %bb.388:
	buffer_load_dword v84, off, s[0:3], 0 offset:4
	v_cmp_eq_u32_e64 s[6:7], 0, v0
	s_waitcnt vmcnt(0)
	ds_write_b32 v82, v84
	s_waitcnt lgkmcnt(0)
	; wave barrier
	s_and_saveexec_b64 s[4:5], s[6:7]
	s_cbranch_execz .LBB103_394
; %bb.389:
	s_and_b64 vcc, exec, s[10:11]
	s_cbranch_vccz .LBB103_391
; %bb.390:
	buffer_load_dword v84, v83, s[0:3], 0 offen
	ds_read_b32 v85, v82
	s_waitcnt vmcnt(0) lgkmcnt(0)
	v_mul_f32_e32 v84, v84, v85
	s_cbranch_execz .LBB103_392
	s_branch .LBB103_393
.LBB103_391:
                                        ; implicit-def: $vgpr84
.LBB103_392:
	ds_read_b32 v84, v82
.LBB103_393:
	v_mov_b32_e32 v85, 0
	ds_read_b32 v85, v85 offset:4
	s_waitcnt lgkmcnt(0)
	v_mul_f32_e32 v84, v84, v85
	buffer_store_dword v84, off, s[0:3], 0 offset:4
.LBB103_394:
	s_or_b64 exec, exec, s[4:5]
	buffer_load_dword v84, off, s[0:3], 0 offset:8
	v_cndmask_b32_e64 v85, 0, 1, s[10:11]
	v_cmp_gt_u32_e32 vcc, 2, v0
	v_cmp_ne_u32_e64 s[4:5], 1, v85
	s_waitcnt vmcnt(0)
	ds_write_b32 v82, v84
	s_waitcnt lgkmcnt(0)
	; wave barrier
	s_and_saveexec_b64 s[8:9], vcc
	s_cbranch_execz .LBB103_400
; %bb.395:
	s_and_b64 vcc, exec, s[4:5]
	s_cbranch_vccnz .LBB103_397
; %bb.396:
	buffer_load_dword v84, v83, s[0:3], 0 offen
	ds_read_b32 v85, v82
	s_waitcnt vmcnt(0) lgkmcnt(0)
	v_mul_f32_e32 v84, v84, v85
	s_cbranch_execz .LBB103_398
	s_branch .LBB103_399
.LBB103_397:
                                        ; implicit-def: $vgpr84
.LBB103_398:
	ds_read_b32 v84, v82
.LBB103_399:
	buffer_load_dword v87, off, s[0:3], 0 offset:4
	v_mov_b32_e32 v85, 0
	ds_read2_b32 v[85:86], v85 offset0:2 offset1:41
	s_waitcnt vmcnt(0) lgkmcnt(0)
	v_fma_f32 v86, v87, v86, v84
	v_cndmask_b32_e64 v84, v84, v86, s[6:7]
	v_mul_f32_e32 v84, v84, v85
	buffer_store_dword v84, off, s[0:3], 0 offset:8
.LBB103_400:
	s_or_b64 exec, exec, s[8:9]
	buffer_load_dword v84, off, s[0:3], 0 offset:12
	v_cmp_gt_u32_e32 vcc, 3, v0
	s_waitcnt vmcnt(0)
	ds_write_b32 v82, v84
	s_waitcnt lgkmcnt(0)
	; wave barrier
	s_and_saveexec_b64 s[8:9], vcc
	s_cbranch_execz .LBB103_408
; %bb.401:
	s_and_b64 vcc, exec, s[4:5]
	s_cbranch_vccnz .LBB103_403
; %bb.402:
	buffer_load_dword v84, v83, s[0:3], 0 offen
	ds_read_b32 v85, v82
	s_waitcnt vmcnt(0) lgkmcnt(0)
	v_mul_f32_e32 v84, v84, v85
	s_cbranch_execz .LBB103_404
	s_branch .LBB103_405
.LBB103_403:
                                        ; implicit-def: $vgpr84
.LBB103_404:
	ds_read_b32 v84, v82
.LBB103_405:
	v_cmp_ne_u32_e32 vcc, 2, v0
	s_and_saveexec_b64 s[10:11], vcc
	s_cbranch_execz .LBB103_407
; %bb.406:
	buffer_load_dword v85, v83, s[0:3], 0 offen offset:4
	buffer_load_dword v86, off, s[0:3], 0 offset:8
	v_mov_b32_e32 v87, 0
	ds_read_b32 v88, v82 offset:4
	ds_read_b32 v87, v87 offset:168
	s_waitcnt vmcnt(1) lgkmcnt(1)
	v_fmac_f32_e32 v84, v85, v88
	s_waitcnt vmcnt(0) lgkmcnt(0)
	v_fma_f32 v85, v86, v87, v84
	v_cndmask_b32_e64 v84, v84, v85, s[6:7]
.LBB103_407:
	s_or_b64 exec, exec, s[10:11]
	v_mov_b32_e32 v85, 0
	ds_read_b32 v85, v85 offset:12
	s_waitcnt lgkmcnt(0)
	v_mul_f32_e32 v84, v84, v85
	buffer_store_dword v84, off, s[0:3], 0 offset:12
.LBB103_408:
	s_or_b64 exec, exec, s[8:9]
	buffer_load_dword v84, off, s[0:3], 0 offset:16
	v_cmp_gt_u32_e32 vcc, 4, v0
	s_waitcnt vmcnt(0)
	ds_write_b32 v82, v84
	s_waitcnt lgkmcnt(0)
	; wave barrier
	s_and_saveexec_b64 s[6:7], vcc
	s_cbranch_execz .LBB103_418
; %bb.409:
	s_and_b64 vcc, exec, s[4:5]
	s_cbranch_vccnz .LBB103_411
; %bb.410:
	buffer_load_dword v84, v83, s[0:3], 0 offen
	ds_read_b32 v85, v82
	s_waitcnt vmcnt(0) lgkmcnt(0)
	v_mul_f32_e32 v84, v84, v85
	s_cbranch_execz .LBB103_412
	s_branch .LBB103_413
.LBB103_411:
                                        ; implicit-def: $vgpr84
.LBB103_412:
	ds_read_b32 v84, v82
.LBB103_413:
	v_cmp_ne_u32_e32 vcc, 3, v0
	s_and_saveexec_b64 s[8:9], vcc
	s_cbranch_execz .LBB103_417
; %bb.414:
	s_mov_b32 s10, 0
	v_add_u32_e32 v85, 0xa4, v81
	v_add3_u32 v86, v81, s10, 4
	s_mov_b64 s[10:11], 0
	v_mov_b32_e32 v87, v0
.LBB103_415:                            ; =>This Inner Loop Header: Depth=1
	buffer_load_dword v88, v86, s[0:3], 0 offen
	ds_read_b32 v89, v85
	v_add_u32_e32 v87, 1, v87
	v_cmp_lt_u32_e32 vcc, 2, v87
	v_add_u32_e32 v85, 4, v85
	v_add_u32_e32 v86, 4, v86
	s_or_b64 s[10:11], vcc, s[10:11]
	s_waitcnt vmcnt(0) lgkmcnt(0)
	v_fmac_f32_e32 v84, v88, v89
	s_andn2_b64 exec, exec, s[10:11]
	s_cbranch_execnz .LBB103_415
; %bb.416:
	s_or_b64 exec, exec, s[10:11]
.LBB103_417:
	s_or_b64 exec, exec, s[8:9]
	v_mov_b32_e32 v85, 0
	ds_read_b32 v85, v85 offset:16
	s_waitcnt lgkmcnt(0)
	v_mul_f32_e32 v84, v84, v85
	buffer_store_dword v84, off, s[0:3], 0 offset:16
.LBB103_418:
	s_or_b64 exec, exec, s[6:7]
	buffer_load_dword v84, off, s[0:3], 0 offset:20
	v_cmp_gt_u32_e32 vcc, 5, v0
	s_waitcnt vmcnt(0)
	ds_write_b32 v82, v84
	s_waitcnt lgkmcnt(0)
	; wave barrier
	s_and_saveexec_b64 s[6:7], vcc
	s_cbranch_execz .LBB103_428
; %bb.419:
	s_and_b64 vcc, exec, s[4:5]
	s_cbranch_vccnz .LBB103_421
; %bb.420:
	buffer_load_dword v84, v83, s[0:3], 0 offen
	ds_read_b32 v85, v82
	s_waitcnt vmcnt(0) lgkmcnt(0)
	v_mul_f32_e32 v84, v84, v85
	s_cbranch_execz .LBB103_422
	s_branch .LBB103_423
.LBB103_421:
                                        ; implicit-def: $vgpr84
.LBB103_422:
	ds_read_b32 v84, v82
.LBB103_423:
	v_cmp_ne_u32_e32 vcc, 4, v0
	s_and_saveexec_b64 s[8:9], vcc
	s_cbranch_execz .LBB103_427
; %bb.424:
	s_mov_b32 s10, 0
	v_add_u32_e32 v85, 0xa4, v81
	v_add3_u32 v86, v81, s10, 4
	s_mov_b64 s[10:11], 0
	v_mov_b32_e32 v87, v0
.LBB103_425:                            ; =>This Inner Loop Header: Depth=1
	buffer_load_dword v88, v86, s[0:3], 0 offen
	ds_read_b32 v89, v85
	v_add_u32_e32 v87, 1, v87
	v_cmp_lt_u32_e32 vcc, 3, v87
	v_add_u32_e32 v85, 4, v85
	v_add_u32_e32 v86, 4, v86
	s_or_b64 s[10:11], vcc, s[10:11]
	s_waitcnt vmcnt(0) lgkmcnt(0)
	v_fmac_f32_e32 v84, v88, v89
	s_andn2_b64 exec, exec, s[10:11]
	s_cbranch_execnz .LBB103_425
; %bb.426:
	s_or_b64 exec, exec, s[10:11]
.LBB103_427:
	s_or_b64 exec, exec, s[8:9]
	v_mov_b32_e32 v85, 0
	ds_read_b32 v85, v85 offset:20
	s_waitcnt lgkmcnt(0)
	v_mul_f32_e32 v84, v84, v85
	buffer_store_dword v84, off, s[0:3], 0 offset:20
.LBB103_428:
	;; [unrolled: 55-line block ×34, first 2 shown]
	s_or_b64 exec, exec, s[6:7]
	buffer_load_dword v84, off, s[0:3], 0 offset:152
	v_cmp_gt_u32_e64 s[6:7], 38, v0
	s_waitcnt vmcnt(0)
	ds_write_b32 v82, v84
	s_waitcnt lgkmcnt(0)
	; wave barrier
	s_and_saveexec_b64 s[8:9], s[6:7]
	s_cbranch_execz .LBB103_758
; %bb.749:
	s_and_b64 vcc, exec, s[4:5]
	s_cbranch_vccnz .LBB103_751
; %bb.750:
	buffer_load_dword v84, v83, s[0:3], 0 offen
	ds_read_b32 v85, v82
	s_waitcnt vmcnt(0) lgkmcnt(0)
	v_mul_f32_e32 v84, v84, v85
	s_cbranch_execz .LBB103_752
	s_branch .LBB103_753
.LBB103_751:
                                        ; implicit-def: $vgpr84
.LBB103_752:
	ds_read_b32 v84, v82
.LBB103_753:
	v_cmp_ne_u32_e32 vcc, 37, v0
	s_and_saveexec_b64 s[10:11], vcc
	s_cbranch_execz .LBB103_757
; %bb.754:
	s_mov_b32 s12, 0
	v_add_u32_e32 v85, 0xa4, v81
	v_add3_u32 v86, v81, s12, 4
	s_mov_b64 s[12:13], 0
	v_mov_b32_e32 v87, v0
.LBB103_755:                            ; =>This Inner Loop Header: Depth=1
	buffer_load_dword v88, v86, s[0:3], 0 offen
	ds_read_b32 v89, v85
	v_add_u32_e32 v87, 1, v87
	v_cmp_lt_u32_e32 vcc, 36, v87
	v_add_u32_e32 v85, 4, v85
	v_add_u32_e32 v86, 4, v86
	s_or_b64 s[12:13], vcc, s[12:13]
	s_waitcnt vmcnt(0) lgkmcnt(0)
	v_fmac_f32_e32 v84, v88, v89
	s_andn2_b64 exec, exec, s[12:13]
	s_cbranch_execnz .LBB103_755
; %bb.756:
	s_or_b64 exec, exec, s[12:13]
.LBB103_757:
	s_or_b64 exec, exec, s[10:11]
	v_mov_b32_e32 v85, 0
	ds_read_b32 v85, v85 offset:152
	s_waitcnt lgkmcnt(0)
	v_mul_f32_e32 v84, v84, v85
	buffer_store_dword v84, off, s[0:3], 0 offset:152
.LBB103_758:
	s_or_b64 exec, exec, s[8:9]
	buffer_load_dword v84, off, s[0:3], 0 offset:156
	v_cmp_ne_u32_e32 vcc, 39, v0
	s_waitcnt vmcnt(0)
	ds_write_b32 v82, v84
	s_waitcnt lgkmcnt(0)
	; wave barrier
	s_and_saveexec_b64 s[8:9], vcc
	s_cbranch_execz .LBB103_768
; %bb.759:
	s_and_b64 vcc, exec, s[4:5]
	s_cbranch_vccnz .LBB103_761
; %bb.760:
	buffer_load_dword v83, v83, s[0:3], 0 offen
	ds_read_b32 v84, v82
	s_waitcnt vmcnt(0) lgkmcnt(0)
	v_mul_f32_e32 v83, v83, v84
	s_cbranch_execz .LBB103_762
	s_branch .LBB103_763
.LBB103_761:
                                        ; implicit-def: $vgpr83
.LBB103_762:
	ds_read_b32 v83, v82
.LBB103_763:
	s_and_saveexec_b64 s[4:5], s[6:7]
	s_cbranch_execz .LBB103_767
; %bb.764:
	s_mov_b32 s6, 0
	v_add_u32_e32 v82, 0xa4, v81
	v_add3_u32 v81, v81, s6, 4
	s_mov_b64 s[6:7], 0
.LBB103_765:                            ; =>This Inner Loop Header: Depth=1
	buffer_load_dword v84, v81, s[0:3], 0 offen
	ds_read_b32 v85, v82
	v_add_u32_e32 v0, 1, v0
	v_cmp_lt_u32_e32 vcc, 37, v0
	v_add_u32_e32 v82, 4, v82
	v_add_u32_e32 v81, 4, v81
	s_or_b64 s[6:7], vcc, s[6:7]
	s_waitcnt vmcnt(0) lgkmcnt(0)
	v_fmac_f32_e32 v83, v84, v85
	s_andn2_b64 exec, exec, s[6:7]
	s_cbranch_execnz .LBB103_765
; %bb.766:
	s_or_b64 exec, exec, s[6:7]
.LBB103_767:
	s_or_b64 exec, exec, s[4:5]
	v_mov_b32_e32 v0, 0
	ds_read_b32 v0, v0 offset:156
	s_waitcnt lgkmcnt(0)
	v_mul_f32_e32 v0, v83, v0
	buffer_store_dword v0, off, s[0:3], 0 offset:156
.LBB103_768:
	s_or_b64 exec, exec, s[8:9]
.LBB103_769:
	buffer_load_dword v0, off, s[0:3], 0
	s_waitcnt vmcnt(0)
	flat_store_dword v[1:2], v0
	buffer_load_dword v0, off, s[0:3], 0 offset:4
	s_waitcnt vmcnt(0)
	flat_store_dword v[3:4], v0
	buffer_load_dword v0, off, s[0:3], 0 offset:8
	;; [unrolled: 3-line block ×39, first 2 shown]
	s_waitcnt vmcnt(0)
	flat_store_dword v[79:80], v0
.LBB103_770:
	s_endpgm
	.section	.rodata,"a",@progbits
	.p2align	6, 0x0
	.amdhsa_kernel _ZN9rocsolver6v33100L18trti2_kernel_smallILi40EfPKPfEEv13rocblas_fill_17rocblas_diagonal_T1_iil
		.amdhsa_group_segment_fixed_size 320
		.amdhsa_private_segment_fixed_size 176
		.amdhsa_kernarg_size 32
		.amdhsa_user_sgpr_count 6
		.amdhsa_user_sgpr_private_segment_buffer 1
		.amdhsa_user_sgpr_dispatch_ptr 0
		.amdhsa_user_sgpr_queue_ptr 0
		.amdhsa_user_sgpr_kernarg_segment_ptr 1
		.amdhsa_user_sgpr_dispatch_id 0
		.amdhsa_user_sgpr_flat_scratch_init 0
		.amdhsa_user_sgpr_private_segment_size 0
		.amdhsa_uses_dynamic_stack 0
		.amdhsa_system_sgpr_private_segment_wavefront_offset 1
		.amdhsa_system_sgpr_workgroup_id_x 1
		.amdhsa_system_sgpr_workgroup_id_y 0
		.amdhsa_system_sgpr_workgroup_id_z 0
		.amdhsa_system_sgpr_workgroup_info 0
		.amdhsa_system_vgpr_workitem_id 0
		.amdhsa_next_free_vgpr 90
		.amdhsa_next_free_sgpr 53
		.amdhsa_reserve_vcc 1
		.amdhsa_reserve_flat_scratch 0
		.amdhsa_float_round_mode_32 0
		.amdhsa_float_round_mode_16_64 0
		.amdhsa_float_denorm_mode_32 3
		.amdhsa_float_denorm_mode_16_64 3
		.amdhsa_dx10_clamp 1
		.amdhsa_ieee_mode 1
		.amdhsa_fp16_overflow 0
		.amdhsa_exception_fp_ieee_invalid_op 0
		.amdhsa_exception_fp_denorm_src 0
		.amdhsa_exception_fp_ieee_div_zero 0
		.amdhsa_exception_fp_ieee_overflow 0
		.amdhsa_exception_fp_ieee_underflow 0
		.amdhsa_exception_fp_ieee_inexact 0
		.amdhsa_exception_int_div_zero 0
	.end_amdhsa_kernel
	.section	.text._ZN9rocsolver6v33100L18trti2_kernel_smallILi40EfPKPfEEv13rocblas_fill_17rocblas_diagonal_T1_iil,"axG",@progbits,_ZN9rocsolver6v33100L18trti2_kernel_smallILi40EfPKPfEEv13rocblas_fill_17rocblas_diagonal_T1_iil,comdat
.Lfunc_end103:
	.size	_ZN9rocsolver6v33100L18trti2_kernel_smallILi40EfPKPfEEv13rocblas_fill_17rocblas_diagonal_T1_iil, .Lfunc_end103-_ZN9rocsolver6v33100L18trti2_kernel_smallILi40EfPKPfEEv13rocblas_fill_17rocblas_diagonal_T1_iil
                                        ; -- End function
	.set _ZN9rocsolver6v33100L18trti2_kernel_smallILi40EfPKPfEEv13rocblas_fill_17rocblas_diagonal_T1_iil.num_vgpr, 90
	.set _ZN9rocsolver6v33100L18trti2_kernel_smallILi40EfPKPfEEv13rocblas_fill_17rocblas_diagonal_T1_iil.num_agpr, 0
	.set _ZN9rocsolver6v33100L18trti2_kernel_smallILi40EfPKPfEEv13rocblas_fill_17rocblas_diagonal_T1_iil.numbered_sgpr, 53
	.set _ZN9rocsolver6v33100L18trti2_kernel_smallILi40EfPKPfEEv13rocblas_fill_17rocblas_diagonal_T1_iil.num_named_barrier, 0
	.set _ZN9rocsolver6v33100L18trti2_kernel_smallILi40EfPKPfEEv13rocblas_fill_17rocblas_diagonal_T1_iil.private_seg_size, 176
	.set _ZN9rocsolver6v33100L18trti2_kernel_smallILi40EfPKPfEEv13rocblas_fill_17rocblas_diagonal_T1_iil.uses_vcc, 1
	.set _ZN9rocsolver6v33100L18trti2_kernel_smallILi40EfPKPfEEv13rocblas_fill_17rocblas_diagonal_T1_iil.uses_flat_scratch, 0
	.set _ZN9rocsolver6v33100L18trti2_kernel_smallILi40EfPKPfEEv13rocblas_fill_17rocblas_diagonal_T1_iil.has_dyn_sized_stack, 0
	.set _ZN9rocsolver6v33100L18trti2_kernel_smallILi40EfPKPfEEv13rocblas_fill_17rocblas_diagonal_T1_iil.has_recursion, 0
	.set _ZN9rocsolver6v33100L18trti2_kernel_smallILi40EfPKPfEEv13rocblas_fill_17rocblas_diagonal_T1_iil.has_indirect_call, 0
	.section	.AMDGPU.csdata,"",@progbits
; Kernel info:
; codeLenInByte = 19328
; TotalNumSgprs: 57
; NumVgprs: 90
; ScratchSize: 176
; MemoryBound: 0
; FloatMode: 240
; IeeeMode: 1
; LDSByteSize: 320 bytes/workgroup (compile time only)
; SGPRBlocks: 7
; VGPRBlocks: 22
; NumSGPRsForWavesPerEU: 57
; NumVGPRsForWavesPerEU: 90
; Occupancy: 2
; WaveLimiterHint : 1
; COMPUTE_PGM_RSRC2:SCRATCH_EN: 1
; COMPUTE_PGM_RSRC2:USER_SGPR: 6
; COMPUTE_PGM_RSRC2:TRAP_HANDLER: 0
; COMPUTE_PGM_RSRC2:TGID_X_EN: 1
; COMPUTE_PGM_RSRC2:TGID_Y_EN: 0
; COMPUTE_PGM_RSRC2:TGID_Z_EN: 0
; COMPUTE_PGM_RSRC2:TIDIG_COMP_CNT: 0
	.section	.text._ZN9rocsolver6v33100L18trti2_kernel_smallILi41EfPKPfEEv13rocblas_fill_17rocblas_diagonal_T1_iil,"axG",@progbits,_ZN9rocsolver6v33100L18trti2_kernel_smallILi41EfPKPfEEv13rocblas_fill_17rocblas_diagonal_T1_iil,comdat
	.globl	_ZN9rocsolver6v33100L18trti2_kernel_smallILi41EfPKPfEEv13rocblas_fill_17rocblas_diagonal_T1_iil ; -- Begin function _ZN9rocsolver6v33100L18trti2_kernel_smallILi41EfPKPfEEv13rocblas_fill_17rocblas_diagonal_T1_iil
	.p2align	8
	.type	_ZN9rocsolver6v33100L18trti2_kernel_smallILi41EfPKPfEEv13rocblas_fill_17rocblas_diagonal_T1_iil,@function
_ZN9rocsolver6v33100L18trti2_kernel_smallILi41EfPKPfEEv13rocblas_fill_17rocblas_diagonal_T1_iil: ; @_ZN9rocsolver6v33100L18trti2_kernel_smallILi41EfPKPfEEv13rocblas_fill_17rocblas_diagonal_T1_iil
; %bb.0:
	s_add_u32 s0, s0, s7
	s_addc_u32 s1, s1, 0
	v_cmp_gt_u32_e32 vcc, 41, v0
	s_and_saveexec_b64 s[8:9], vcc
	s_cbranch_execz .LBB104_790
; %bb.1:
	s_load_dwordx2 s[12:13], s[4:5], 0x10
	s_load_dwordx4 s[8:11], s[4:5], 0x0
	s_ashr_i32 s7, s6, 31
	s_lshl_b64 s[6:7], s[6:7], 3
	v_lshlrev_b32_e32 v83, 2, v0
	s_waitcnt lgkmcnt(0)
	s_ashr_i32 s5, s12, 31
	s_add_u32 s6, s10, s6
	s_addc_u32 s7, s11, s7
	s_load_dwordx2 s[6:7], s[6:7], 0x0
	s_mov_b32 s4, s12
	s_lshl_b64 s[4:5], s[4:5], 2
	s_movk_i32 s12, 0x84
	s_waitcnt lgkmcnt(0)
	s_add_u32 s4, s6, s4
	s_addc_u32 s5, s7, s5
	v_mov_b32_e32 v2, s5
	v_add_co_u32_e32 v1, vcc, s4, v83
	v_addc_co_u32_e32 v2, vcc, 0, v2, vcc
	flat_load_dword v5, v[1:2]
	s_mov_b32 s6, s13
	s_ashr_i32 s7, s13, 31
	s_lshl_b64 s[6:7], s[6:7], 2
	v_mov_b32_e32 v4, s7
	v_add_co_u32_e32 v3, vcc, s6, v1
	v_addc_co_u32_e32 v4, vcc, v2, v4, vcc
	s_add_i32 s6, s13, s13
	v_add_u32_e32 v7, s6, v0
	v_ashrrev_i32_e32 v8, 31, v7
	v_mov_b32_e32 v10, s5
	v_mov_b32_e32 v12, s5
	;; [unrolled: 1-line block ×38, first 2 shown]
	s_cmpk_lg_i32 s9, 0x84
	s_cselect_b64 s[10:11], -1, 0
	s_cmpk_eq_i32 s9, 0x84
	s_waitcnt vmcnt(0) lgkmcnt(0)
	buffer_store_dword v5, off, s[0:3], 0
	flat_load_dword v9, v[3:4]
	v_lshlrev_b64 v[5:6], 2, v[7:8]
	v_add_co_u32_e32 v5, vcc, s4, v5
	v_addc_co_u32_e32 v6, vcc, v10, v6, vcc
	s_waitcnt vmcnt(0) lgkmcnt(0)
	buffer_store_dword v9, off, s[0:3], 0 offset:4
	flat_load_dword v11, v[5:6]
	v_add_u32_e32 v9, s13, v7
	v_ashrrev_i32_e32 v10, 31, v9
	v_lshlrev_b64 v[7:8], 2, v[9:10]
	v_add_co_u32_e32 v7, vcc, s4, v7
	v_addc_co_u32_e32 v8, vcc, v12, v8, vcc
	s_waitcnt vmcnt(0) lgkmcnt(0)
	buffer_store_dword v11, off, s[0:3], 0 offset:8
	flat_load_dword v13, v[7:8]
	v_add_u32_e32 v11, s13, v9
	v_ashrrev_i32_e32 v12, 31, v11
	;; [unrolled: 8-line block ×37, first 2 shown]
	v_lshlrev_b64 v[79:80], 2, v[81:82]
	v_add_u32_e32 v81, s13, v81
	v_add_co_u32_e32 v79, vcc, s4, v79
	v_addc_co_u32_e32 v80, vcc, v85, v80, vcc
	v_ashrrev_i32_e32 v82, 31, v81
	v_lshlrev_b64 v[81:82], 2, v[81:82]
	v_add_co_u32_e32 v81, vcc, s4, v81
	v_addc_co_u32_e32 v82, vcc, v85, v82, vcc
	s_waitcnt vmcnt(0) lgkmcnt(0)
	buffer_store_dword v84, off, s[0:3], 0 offset:152
	flat_load_dword v84, v[79:80]
	s_waitcnt vmcnt(0) lgkmcnt(0)
	buffer_store_dword v84, off, s[0:3], 0 offset:156
	flat_load_dword v84, v[81:82]
	s_waitcnt vmcnt(0) lgkmcnt(0)
	buffer_store_dword v84, off, s[0:3], 0 offset:160
	v_mov_b32_e32 v84, -1.0
	s_cbranch_scc1 .LBB104_3
; %bb.2:
	v_mov_b32_e32 v84, 0
	v_lshl_add_u32 v84, v0, 2, v84
	buffer_load_dword v85, v84, s[0:3], 0 offen
	s_waitcnt vmcnt(0)
	v_div_scale_f32 v86, s[4:5], v85, v85, 1.0
	v_div_scale_f32 v87, vcc, 1.0, v85, 1.0
	v_rcp_f32_e32 v88, v86
	v_fma_f32 v89, -v86, v88, 1.0
	v_fmac_f32_e32 v88, v89, v88
	v_mul_f32_e32 v89, v87, v88
	v_fma_f32 v90, -v86, v89, v87
	v_fmac_f32_e32 v89, v90, v88
	v_fma_f32 v86, -v86, v89, v87
	v_div_fmas_f32 v86, v86, v88, v89
	v_div_fixup_f32 v85, v86, v85, 1.0
	buffer_store_dword v85, v84, s[0:3], 0 offen
	v_xor_b32_e32 v84, 0x80000000, v85
.LBB104_3:
	ds_write_b32 v83, v84
	s_cmpk_eq_i32 s8, 0x79
	v_add_u32_e32 v84, 0xb0, v83
	v_mov_b32_e32 v85, v83
	s_mov_b64 s[4:5], -1
	s_cbranch_scc1 .LBB104_397
; %bb.4:
	buffer_load_dword v86, off, s[0:3], 0 offset:156
	s_movk_i32 s30, 0x44
	s_movk_i32 s31, 0x48
	s_movk_i32 s33, 0x4c
	s_movk_i32 s34, 0x50
	s_movk_i32 s35, 0x54
	s_movk_i32 s36, 0x58
	s_movk_i32 s37, 0x5c
	s_movk_i32 s38, 0x60
	s_movk_i32 s39, 0x64
	s_movk_i32 s40, 0x68
	s_movk_i32 s41, 0x6c
	s_movk_i32 s42, 0x70
	s_movk_i32 s43, 0x74
	s_movk_i32 s44, 0x78
	s_movk_i32 s45, 0x7c
	s_movk_i32 s46, 0x80
	s_movk_i32 s13, 0x88
	s_movk_i32 s49, 0x8c
	s_movk_i32 s50, 0x90
	s_movk_i32 s51, 0x94
	s_movk_i32 s52, 0x98
	v_cmp_eq_u32_e64 s[4:5], 40, v0
	s_waitcnt vmcnt(0)
	ds_write_b32 v84, v86
	s_waitcnt lgkmcnt(0)
	; wave barrier
	s_and_saveexec_b64 s[6:7], s[4:5]
	s_cbranch_execz .LBB104_10
; %bb.5:
	s_and_b64 vcc, exec, s[10:11]
	s_cbranch_vccz .LBB104_7
; %bb.6:
	buffer_load_dword v86, v85, s[0:3], 0 offen
	ds_read_b32 v87, v84
	s_waitcnt vmcnt(0) lgkmcnt(0)
	v_mul_f32_e32 v86, v86, v87
	s_cbranch_execz .LBB104_8
	s_branch .LBB104_9
.LBB104_7:
                                        ; implicit-def: $vgpr86
.LBB104_8:
	ds_read_b32 v86, v84
.LBB104_9:
	v_mov_b32_e32 v87, 0
	ds_read_b32 v87, v87 offset:156
	s_waitcnt lgkmcnt(0)
	v_mul_f32_e32 v86, v86, v87
	buffer_store_dword v86, off, s[0:3], 0 offset:156
.LBB104_10:
	s_or_b64 exec, exec, s[6:7]
	buffer_load_dword v86, off, s[0:3], 0 offset:152
	s_or_b32 s14, 0, 4
	s_or_b32 s15, 0, 8
	;; [unrolled: 1-line block ×3, first 2 shown]
	s_mov_b32 s17, 16
	s_mov_b32 s18, 20
	;; [unrolled: 1-line block ×15, first 2 shown]
	v_cmp_lt_u32_e64 s[6:7], 38, v0
	s_waitcnt vmcnt(0)
	ds_write_b32 v84, v86
	s_waitcnt lgkmcnt(0)
	; wave barrier
	s_and_saveexec_b64 s[8:9], s[6:7]
	s_cbranch_execz .LBB104_16
; %bb.11:
	s_andn2_b64 vcc, exec, s[10:11]
	s_cbranch_vccnz .LBB104_13
; %bb.12:
	buffer_load_dword v86, v85, s[0:3], 0 offen
	ds_read_b32 v87, v84
	s_waitcnt vmcnt(0) lgkmcnt(0)
	v_mul_f32_e32 v86, v86, v87
	s_cbranch_execz .LBB104_14
	s_branch .LBB104_15
.LBB104_13:
                                        ; implicit-def: $vgpr86
.LBB104_14:
	ds_read_b32 v86, v84
.LBB104_15:
	buffer_load_dword v89, off, s[0:3], 0 offset:156
	v_mov_b32_e32 v87, 0
	ds_read2_b32 v[87:88], v87 offset0:38 offset1:83
	s_waitcnt vmcnt(0) lgkmcnt(0)
	v_fma_f32 v88, v89, v88, v86
	v_cndmask_b32_e64 v86, v86, v88, s[4:5]
	v_mul_f32_e32 v86, v86, v87
	buffer_store_dword v86, off, s[0:3], 0 offset:152
.LBB104_16:
	s_or_b64 exec, exec, s[8:9]
	buffer_load_dword v86, off, s[0:3], 0 offset:148
	v_cmp_lt_u32_e64 s[4:5], 37, v0
	s_waitcnt vmcnt(0)
	ds_write_b32 v84, v86
	s_waitcnt lgkmcnt(0)
	; wave barrier
	s_and_saveexec_b64 s[8:9], s[4:5]
	s_cbranch_execz .LBB104_26
; %bb.17:
	s_andn2_b64 vcc, exec, s[10:11]
	s_cbranch_vccnz .LBB104_19
; %bb.18:
	buffer_load_dword v86, v85, s[0:3], 0 offen
	ds_read_b32 v87, v84
	s_waitcnt vmcnt(0) lgkmcnt(0)
	v_mul_f32_e32 v86, v86, v87
	s_cbranch_execz .LBB104_20
	s_branch .LBB104_21
.LBB104_19:
                                        ; implicit-def: $vgpr86
.LBB104_20:
	ds_read_b32 v86, v84
.LBB104_21:
	s_and_saveexec_b64 s[12:13], s[6:7]
	s_cbranch_execz .LBB104_25
; %bb.22:
	v_subrev_u32_e32 v87, 38, v0
	s_movk_i32 s53, 0x148
	s_mov_b64 s[6:7], 0
.LBB104_23:                             ; =>This Inner Loop Header: Depth=1
	v_mov_b32_e32 v88, s52
	buffer_load_dword v88, v88, s[0:3], 0 offen
	v_mov_b32_e32 v89, s53
	ds_read_b32 v89, v89
	v_add_u32_e32 v87, -1, v87
	s_add_i32 s53, s53, 4
	s_add_i32 s52, s52, 4
	v_cmp_eq_u32_e32 vcc, 0, v87
	s_or_b64 s[6:7], vcc, s[6:7]
	s_waitcnt vmcnt(0) lgkmcnt(0)
	v_fmac_f32_e32 v86, v88, v89
	s_andn2_b64 exec, exec, s[6:7]
	s_cbranch_execnz .LBB104_23
; %bb.24:
	s_or_b64 exec, exec, s[6:7]
.LBB104_25:
	s_or_b64 exec, exec, s[12:13]
	v_mov_b32_e32 v87, 0
	ds_read_b32 v87, v87 offset:148
	s_waitcnt lgkmcnt(0)
	v_mul_f32_e32 v86, v86, v87
	buffer_store_dword v86, off, s[0:3], 0 offset:148
.LBB104_26:
	s_or_b64 exec, exec, s[8:9]
	buffer_load_dword v86, off, s[0:3], 0 offset:144
	v_cmp_lt_u32_e64 s[6:7], 36, v0
	s_waitcnt vmcnt(0)
	ds_write_b32 v84, v86
	s_waitcnt lgkmcnt(0)
	; wave barrier
	s_and_saveexec_b64 s[8:9], s[6:7]
	s_cbranch_execz .LBB104_36
; %bb.27:
	s_andn2_b64 vcc, exec, s[10:11]
	s_cbranch_vccnz .LBB104_29
; %bb.28:
	buffer_load_dword v86, v85, s[0:3], 0 offen
	ds_read_b32 v87, v84
	s_waitcnt vmcnt(0) lgkmcnt(0)
	v_mul_f32_e32 v86, v86, v87
	s_cbranch_execz .LBB104_30
	s_branch .LBB104_31
.LBB104_29:
                                        ; implicit-def: $vgpr86
.LBB104_30:
	ds_read_b32 v86, v84
.LBB104_31:
	s_and_saveexec_b64 s[12:13], s[4:5]
	s_cbranch_execz .LBB104_35
; %bb.32:
	v_subrev_u32_e32 v87, 37, v0
	s_movk_i32 s52, 0x144
	s_mov_b64 s[4:5], 0
.LBB104_33:                             ; =>This Inner Loop Header: Depth=1
	v_mov_b32_e32 v88, s51
	buffer_load_dword v88, v88, s[0:3], 0 offen
	v_mov_b32_e32 v89, s52
	ds_read_b32 v89, v89
	v_add_u32_e32 v87, -1, v87
	s_add_i32 s52, s52, 4
	s_add_i32 s51, s51, 4
	v_cmp_eq_u32_e32 vcc, 0, v87
	s_or_b64 s[4:5], vcc, s[4:5]
	s_waitcnt vmcnt(0) lgkmcnt(0)
	v_fmac_f32_e32 v86, v88, v89
	s_andn2_b64 exec, exec, s[4:5]
	s_cbranch_execnz .LBB104_33
; %bb.34:
	s_or_b64 exec, exec, s[4:5]
.LBB104_35:
	s_or_b64 exec, exec, s[12:13]
	v_mov_b32_e32 v87, 0
	ds_read_b32 v87, v87 offset:144
	s_waitcnt lgkmcnt(0)
	v_mul_f32_e32 v86, v86, v87
	buffer_store_dword v86, off, s[0:3], 0 offset:144
.LBB104_36:
	;; [unrolled: 54-line block ×8, first 2 shown]
	s_or_b64 exec, exec, s[8:9]
	buffer_load_dword v86, off, s[0:3], 0 offset:116
	v_cmp_lt_u32_e64 s[4:5], 29, v0
	s_waitcnt vmcnt(0)
	ds_write_b32 v84, v86
	s_waitcnt lgkmcnt(0)
	; wave barrier
	s_and_saveexec_b64 s[8:9], s[4:5]
	s_cbranch_execz .LBB104_106
; %bb.97:
	s_andn2_b64 vcc, exec, s[10:11]
	s_cbranch_vccnz .LBB104_99
; %bb.98:
	buffer_load_dword v86, v85, s[0:3], 0 offen
	ds_read_b32 v87, v84
	s_waitcnt vmcnt(0) lgkmcnt(0)
	v_mul_f32_e32 v86, v86, v87
	s_cbranch_execz .LBB104_100
	s_branch .LBB104_101
.LBB104_99:
                                        ; implicit-def: $vgpr86
.LBB104_100:
	ds_read_b32 v86, v84
.LBB104_101:
	s_and_saveexec_b64 s[12:13], s[6:7]
	s_cbranch_execz .LBB104_105
; %bb.102:
	v_subrev_u32_e32 v87, 30, v0
	s_movk_i32 s45, 0x128
	s_mov_b64 s[6:7], 0
.LBB104_103:                            ; =>This Inner Loop Header: Depth=1
	v_mov_b32_e32 v88, s44
	buffer_load_dword v88, v88, s[0:3], 0 offen
	v_mov_b32_e32 v89, s45
	ds_read_b32 v89, v89
	v_add_u32_e32 v87, -1, v87
	s_add_i32 s45, s45, 4
	s_add_i32 s44, s44, 4
	v_cmp_eq_u32_e32 vcc, 0, v87
	s_or_b64 s[6:7], vcc, s[6:7]
	s_waitcnt vmcnt(0) lgkmcnt(0)
	v_fmac_f32_e32 v86, v88, v89
	s_andn2_b64 exec, exec, s[6:7]
	s_cbranch_execnz .LBB104_103
; %bb.104:
	s_or_b64 exec, exec, s[6:7]
.LBB104_105:
	s_or_b64 exec, exec, s[12:13]
	v_mov_b32_e32 v87, 0
	ds_read_b32 v87, v87 offset:116
	s_waitcnt lgkmcnt(0)
	v_mul_f32_e32 v86, v86, v87
	buffer_store_dword v86, off, s[0:3], 0 offset:116
.LBB104_106:
	s_or_b64 exec, exec, s[8:9]
	buffer_load_dword v86, off, s[0:3], 0 offset:112
	v_cmp_lt_u32_e64 s[6:7], 28, v0
	s_waitcnt vmcnt(0)
	ds_write_b32 v84, v86
	s_waitcnt lgkmcnt(0)
	; wave barrier
	s_and_saveexec_b64 s[8:9], s[6:7]
	s_cbranch_execz .LBB104_116
; %bb.107:
	s_andn2_b64 vcc, exec, s[10:11]
	s_cbranch_vccnz .LBB104_109
; %bb.108:
	buffer_load_dword v86, v85, s[0:3], 0 offen
	ds_read_b32 v87, v84
	s_waitcnt vmcnt(0) lgkmcnt(0)
	v_mul_f32_e32 v86, v86, v87
	s_cbranch_execz .LBB104_110
	s_branch .LBB104_111
.LBB104_109:
                                        ; implicit-def: $vgpr86
.LBB104_110:
	ds_read_b32 v86, v84
.LBB104_111:
	s_and_saveexec_b64 s[12:13], s[4:5]
	s_cbranch_execz .LBB104_115
; %bb.112:
	v_subrev_u32_e32 v87, 29, v0
	s_movk_i32 s44, 0x124
	s_mov_b64 s[4:5], 0
.LBB104_113:                            ; =>This Inner Loop Header: Depth=1
	v_mov_b32_e32 v88, s43
	buffer_load_dword v88, v88, s[0:3], 0 offen
	v_mov_b32_e32 v89, s44
	ds_read_b32 v89, v89
	v_add_u32_e32 v87, -1, v87
	s_add_i32 s44, s44, 4
	s_add_i32 s43, s43, 4
	v_cmp_eq_u32_e32 vcc, 0, v87
	s_or_b64 s[4:5], vcc, s[4:5]
	s_waitcnt vmcnt(0) lgkmcnt(0)
	v_fmac_f32_e32 v86, v88, v89
	s_andn2_b64 exec, exec, s[4:5]
	s_cbranch_execnz .LBB104_113
; %bb.114:
	s_or_b64 exec, exec, s[4:5]
.LBB104_115:
	s_or_b64 exec, exec, s[12:13]
	v_mov_b32_e32 v87, 0
	ds_read_b32 v87, v87 offset:112
	s_waitcnt lgkmcnt(0)
	v_mul_f32_e32 v86, v86, v87
	buffer_store_dword v86, off, s[0:3], 0 offset:112
.LBB104_116:
	;; [unrolled: 54-line block ×14, first 2 shown]
	s_or_b64 exec, exec, s[8:9]
	buffer_load_dword v86, off, s[0:3], 0 offset:60
	v_cmp_lt_u32_e64 s[4:5], 15, v0
	s_waitcnt vmcnt(0)
	ds_write_b32 v84, v86
	s_waitcnt lgkmcnt(0)
	; wave barrier
	s_and_saveexec_b64 s[8:9], s[4:5]
	s_cbranch_execz .LBB104_246
; %bb.237:
	s_andn2_b64 vcc, exec, s[10:11]
	s_cbranch_vccnz .LBB104_239
; %bb.238:
	buffer_load_dword v86, v85, s[0:3], 0 offen
	ds_read_b32 v87, v84
	s_waitcnt vmcnt(0) lgkmcnt(0)
	v_mul_f32_e32 v86, v86, v87
	s_cbranch_execz .LBB104_240
	s_branch .LBB104_241
.LBB104_239:
                                        ; implicit-def: $vgpr86
.LBB104_240:
	ds_read_b32 v86, v84
.LBB104_241:
	s_and_saveexec_b64 s[12:13], s[6:7]
	s_cbranch_execz .LBB104_245
; %bb.242:
	v_add_u32_e32 v87, -16, v0
	s_movk_i32 s30, 0xf0
	s_mov_b64 s[6:7], 0
.LBB104_243:                            ; =>This Inner Loop Header: Depth=1
	v_mov_b32_e32 v88, s29
	buffer_load_dword v88, v88, s[0:3], 0 offen
	v_mov_b32_e32 v89, s30
	ds_read_b32 v89, v89
	v_add_u32_e32 v87, -1, v87
	s_add_i32 s30, s30, 4
	s_add_i32 s29, s29, 4
	v_cmp_eq_u32_e32 vcc, 0, v87
	s_or_b64 s[6:7], vcc, s[6:7]
	s_waitcnt vmcnt(0) lgkmcnt(0)
	v_fmac_f32_e32 v86, v88, v89
	s_andn2_b64 exec, exec, s[6:7]
	s_cbranch_execnz .LBB104_243
; %bb.244:
	s_or_b64 exec, exec, s[6:7]
.LBB104_245:
	s_or_b64 exec, exec, s[12:13]
	v_mov_b32_e32 v87, 0
	ds_read_b32 v87, v87 offset:60
	s_waitcnt lgkmcnt(0)
	v_mul_f32_e32 v86, v86, v87
	buffer_store_dword v86, off, s[0:3], 0 offset:60
.LBB104_246:
	s_or_b64 exec, exec, s[8:9]
	buffer_load_dword v86, off, s[0:3], 0 offset:56
	v_cmp_lt_u32_e64 s[6:7], 14, v0
	s_waitcnt vmcnt(0)
	ds_write_b32 v84, v86
	s_waitcnt lgkmcnt(0)
	; wave barrier
	s_and_saveexec_b64 s[8:9], s[6:7]
	s_cbranch_execz .LBB104_256
; %bb.247:
	s_andn2_b64 vcc, exec, s[10:11]
	s_cbranch_vccnz .LBB104_249
; %bb.248:
	buffer_load_dword v86, v85, s[0:3], 0 offen
	ds_read_b32 v87, v84
	s_waitcnt vmcnt(0) lgkmcnt(0)
	v_mul_f32_e32 v86, v86, v87
	s_cbranch_execz .LBB104_250
	s_branch .LBB104_251
.LBB104_249:
                                        ; implicit-def: $vgpr86
.LBB104_250:
	ds_read_b32 v86, v84
.LBB104_251:
	s_and_saveexec_b64 s[12:13], s[4:5]
	s_cbranch_execz .LBB104_255
; %bb.252:
	v_add_u32_e32 v87, -15, v0
	s_movk_i32 s29, 0xec
	s_mov_b64 s[4:5], 0
.LBB104_253:                            ; =>This Inner Loop Header: Depth=1
	v_mov_b32_e32 v88, s28
	buffer_load_dword v88, v88, s[0:3], 0 offen
	v_mov_b32_e32 v89, s29
	ds_read_b32 v89, v89
	v_add_u32_e32 v87, -1, v87
	s_add_i32 s29, s29, 4
	s_add_i32 s28, s28, 4
	v_cmp_eq_u32_e32 vcc, 0, v87
	s_or_b64 s[4:5], vcc, s[4:5]
	s_waitcnt vmcnt(0) lgkmcnt(0)
	v_fmac_f32_e32 v86, v88, v89
	s_andn2_b64 exec, exec, s[4:5]
	s_cbranch_execnz .LBB104_253
; %bb.254:
	s_or_b64 exec, exec, s[4:5]
.LBB104_255:
	s_or_b64 exec, exec, s[12:13]
	v_mov_b32_e32 v87, 0
	ds_read_b32 v87, v87 offset:56
	s_waitcnt lgkmcnt(0)
	v_mul_f32_e32 v86, v86, v87
	buffer_store_dword v86, off, s[0:3], 0 offset:56
.LBB104_256:
	;; [unrolled: 54-line block ×15, first 2 shown]
	s_or_b64 exec, exec, s[8:9]
	buffer_load_dword v86, off, s[0:3], 0
	v_cmp_ne_u32_e32 vcc, 0, v0
	s_waitcnt vmcnt(0)
	ds_write_b32 v84, v86
	s_waitcnt lgkmcnt(0)
	; wave barrier
	s_and_saveexec_b64 s[6:7], vcc
	s_cbranch_execz .LBB104_396
; %bb.387:
	s_andn2_b64 vcc, exec, s[10:11]
	s_cbranch_vccnz .LBB104_389
; %bb.388:
	buffer_load_dword v86, v85, s[0:3], 0 offen
	ds_read_b32 v87, v84
	s_waitcnt vmcnt(0) lgkmcnt(0)
	v_mul_f32_e32 v86, v86, v87
	s_cbranch_execz .LBB104_390
	s_branch .LBB104_391
.LBB104_389:
                                        ; implicit-def: $vgpr86
.LBB104_390:
	ds_read_b32 v86, v84
.LBB104_391:
	s_and_saveexec_b64 s[8:9], s[4:5]
	s_cbranch_execz .LBB104_395
; %bb.392:
	v_add_u32_e32 v87, -1, v0
	s_movk_i32 s12, 0xb4
	s_mov_b64 s[4:5], 0
.LBB104_393:                            ; =>This Inner Loop Header: Depth=1
	v_mov_b32_e32 v88, s14
	buffer_load_dword v88, v88, s[0:3], 0 offen
	v_mov_b32_e32 v89, s12
	ds_read_b32 v89, v89
	v_add_u32_e32 v87, -1, v87
	s_add_i32 s12, s12, 4
	s_add_i32 s14, s14, 4
	v_cmp_eq_u32_e32 vcc, 0, v87
	s_or_b64 s[4:5], vcc, s[4:5]
	s_waitcnt vmcnt(0) lgkmcnt(0)
	v_fmac_f32_e32 v86, v88, v89
	s_andn2_b64 exec, exec, s[4:5]
	s_cbranch_execnz .LBB104_393
; %bb.394:
	s_or_b64 exec, exec, s[4:5]
.LBB104_395:
	s_or_b64 exec, exec, s[8:9]
	v_mov_b32_e32 v87, 0
	ds_read_b32 v87, v87
	s_waitcnt lgkmcnt(0)
	v_mul_f32_e32 v86, v86, v87
	buffer_store_dword v86, off, s[0:3], 0
.LBB104_396:
	s_or_b64 exec, exec, s[6:7]
	s_mov_b64 s[4:5], 0
.LBB104_397:
	s_and_b64 vcc, exec, s[4:5]
	s_cbranch_vccz .LBB104_789
; %bb.398:
	buffer_load_dword v86, off, s[0:3], 0 offset:4
	v_cmp_eq_u32_e64 s[6:7], 0, v0
	s_waitcnt vmcnt(0)
	ds_write_b32 v84, v86
	s_waitcnt lgkmcnt(0)
	; wave barrier
	s_and_saveexec_b64 s[4:5], s[6:7]
	s_cbranch_execz .LBB104_404
; %bb.399:
	s_and_b64 vcc, exec, s[10:11]
	s_cbranch_vccz .LBB104_401
; %bb.400:
	buffer_load_dword v86, v85, s[0:3], 0 offen
	ds_read_b32 v87, v84
	s_waitcnt vmcnt(0) lgkmcnt(0)
	v_mul_f32_e32 v86, v86, v87
	s_cbranch_execz .LBB104_402
	s_branch .LBB104_403
.LBB104_401:
                                        ; implicit-def: $vgpr86
.LBB104_402:
	ds_read_b32 v86, v84
.LBB104_403:
	v_mov_b32_e32 v87, 0
	ds_read_b32 v87, v87 offset:4
	s_waitcnt lgkmcnt(0)
	v_mul_f32_e32 v86, v86, v87
	buffer_store_dword v86, off, s[0:3], 0 offset:4
.LBB104_404:
	s_or_b64 exec, exec, s[4:5]
	buffer_load_dword v86, off, s[0:3], 0 offset:8
	v_cndmask_b32_e64 v87, 0, 1, s[10:11]
	v_cmp_gt_u32_e32 vcc, 2, v0
	v_cmp_ne_u32_e64 s[4:5], 1, v87
	s_waitcnt vmcnt(0)
	ds_write_b32 v84, v86
	s_waitcnt lgkmcnt(0)
	; wave barrier
	s_and_saveexec_b64 s[8:9], vcc
	s_cbranch_execz .LBB104_410
; %bb.405:
	s_and_b64 vcc, exec, s[4:5]
	s_cbranch_vccnz .LBB104_407
; %bb.406:
	buffer_load_dword v86, v85, s[0:3], 0 offen
	ds_read_b32 v87, v84
	s_waitcnt vmcnt(0) lgkmcnt(0)
	v_mul_f32_e32 v86, v86, v87
	s_cbranch_execz .LBB104_408
	s_branch .LBB104_409
.LBB104_407:
                                        ; implicit-def: $vgpr86
.LBB104_408:
	ds_read_b32 v86, v84
.LBB104_409:
	buffer_load_dword v89, off, s[0:3], 0 offset:4
	v_mov_b32_e32 v87, 0
	ds_read2_b32 v[87:88], v87 offset0:2 offset1:45
	s_waitcnt vmcnt(0) lgkmcnt(0)
	v_fma_f32 v88, v89, v88, v86
	v_cndmask_b32_e64 v86, v86, v88, s[6:7]
	v_mul_f32_e32 v86, v86, v87
	buffer_store_dword v86, off, s[0:3], 0 offset:8
.LBB104_410:
	s_or_b64 exec, exec, s[8:9]
	buffer_load_dword v86, off, s[0:3], 0 offset:12
	v_cmp_gt_u32_e32 vcc, 3, v0
	s_waitcnt vmcnt(0)
	ds_write_b32 v84, v86
	s_waitcnt lgkmcnt(0)
	; wave barrier
	s_and_saveexec_b64 s[8:9], vcc
	s_cbranch_execz .LBB104_418
; %bb.411:
	s_and_b64 vcc, exec, s[4:5]
	s_cbranch_vccnz .LBB104_413
; %bb.412:
	buffer_load_dword v86, v85, s[0:3], 0 offen
	ds_read_b32 v87, v84
	s_waitcnt vmcnt(0) lgkmcnt(0)
	v_mul_f32_e32 v86, v86, v87
	s_cbranch_execz .LBB104_414
	s_branch .LBB104_415
.LBB104_413:
                                        ; implicit-def: $vgpr86
.LBB104_414:
	ds_read_b32 v86, v84
.LBB104_415:
	v_cmp_ne_u32_e32 vcc, 2, v0
	s_and_saveexec_b64 s[10:11], vcc
	s_cbranch_execz .LBB104_417
; %bb.416:
	buffer_load_dword v87, v85, s[0:3], 0 offen offset:4
	buffer_load_dword v88, off, s[0:3], 0 offset:8
	v_mov_b32_e32 v89, 0
	ds_read_b32 v90, v84 offset:4
	ds_read_b32 v89, v89 offset:184
	s_waitcnt vmcnt(1) lgkmcnt(1)
	v_fmac_f32_e32 v86, v87, v90
	s_waitcnt vmcnt(0) lgkmcnt(0)
	v_fma_f32 v87, v88, v89, v86
	v_cndmask_b32_e64 v86, v86, v87, s[6:7]
.LBB104_417:
	s_or_b64 exec, exec, s[10:11]
	v_mov_b32_e32 v87, 0
	ds_read_b32 v87, v87 offset:12
	s_waitcnt lgkmcnt(0)
	v_mul_f32_e32 v86, v86, v87
	buffer_store_dword v86, off, s[0:3], 0 offset:12
.LBB104_418:
	s_or_b64 exec, exec, s[8:9]
	buffer_load_dword v86, off, s[0:3], 0 offset:16
	v_cmp_gt_u32_e32 vcc, 4, v0
	s_waitcnt vmcnt(0)
	ds_write_b32 v84, v86
	s_waitcnt lgkmcnt(0)
	; wave barrier
	s_and_saveexec_b64 s[6:7], vcc
	s_cbranch_execz .LBB104_428
; %bb.419:
	s_and_b64 vcc, exec, s[4:5]
	s_cbranch_vccnz .LBB104_421
; %bb.420:
	buffer_load_dword v86, v85, s[0:3], 0 offen
	ds_read_b32 v87, v84
	s_waitcnt vmcnt(0) lgkmcnt(0)
	v_mul_f32_e32 v86, v86, v87
	s_cbranch_execz .LBB104_422
	s_branch .LBB104_423
.LBB104_421:
                                        ; implicit-def: $vgpr86
.LBB104_422:
	ds_read_b32 v86, v84
.LBB104_423:
	v_cmp_ne_u32_e32 vcc, 3, v0
	s_and_saveexec_b64 s[8:9], vcc
	s_cbranch_execz .LBB104_427
; %bb.424:
	s_mov_b32 s10, 0
	v_add_u32_e32 v87, 0xb4, v83
	v_add3_u32 v88, v83, s10, 4
	s_mov_b64 s[10:11], 0
	v_mov_b32_e32 v89, v0
.LBB104_425:                            ; =>This Inner Loop Header: Depth=1
	buffer_load_dword v90, v88, s[0:3], 0 offen
	ds_read_b32 v91, v87
	v_add_u32_e32 v89, 1, v89
	v_cmp_lt_u32_e32 vcc, 2, v89
	v_add_u32_e32 v87, 4, v87
	v_add_u32_e32 v88, 4, v88
	s_or_b64 s[10:11], vcc, s[10:11]
	s_waitcnt vmcnt(0) lgkmcnt(0)
	v_fmac_f32_e32 v86, v90, v91
	s_andn2_b64 exec, exec, s[10:11]
	s_cbranch_execnz .LBB104_425
; %bb.426:
	s_or_b64 exec, exec, s[10:11]
.LBB104_427:
	s_or_b64 exec, exec, s[8:9]
	v_mov_b32_e32 v87, 0
	ds_read_b32 v87, v87 offset:16
	s_waitcnt lgkmcnt(0)
	v_mul_f32_e32 v86, v86, v87
	buffer_store_dword v86, off, s[0:3], 0 offset:16
.LBB104_428:
	s_or_b64 exec, exec, s[6:7]
	buffer_load_dword v86, off, s[0:3], 0 offset:20
	v_cmp_gt_u32_e32 vcc, 5, v0
	s_waitcnt vmcnt(0)
	ds_write_b32 v84, v86
	s_waitcnt lgkmcnt(0)
	; wave barrier
	s_and_saveexec_b64 s[6:7], vcc
	s_cbranch_execz .LBB104_438
; %bb.429:
	s_and_b64 vcc, exec, s[4:5]
	s_cbranch_vccnz .LBB104_431
; %bb.430:
	buffer_load_dword v86, v85, s[0:3], 0 offen
	ds_read_b32 v87, v84
	s_waitcnt vmcnt(0) lgkmcnt(0)
	v_mul_f32_e32 v86, v86, v87
	s_cbranch_execz .LBB104_432
	s_branch .LBB104_433
.LBB104_431:
                                        ; implicit-def: $vgpr86
.LBB104_432:
	ds_read_b32 v86, v84
.LBB104_433:
	v_cmp_ne_u32_e32 vcc, 4, v0
	s_and_saveexec_b64 s[8:9], vcc
	s_cbranch_execz .LBB104_437
; %bb.434:
	s_mov_b32 s10, 0
	v_add_u32_e32 v87, 0xb4, v83
	v_add3_u32 v88, v83, s10, 4
	s_mov_b64 s[10:11], 0
	v_mov_b32_e32 v89, v0
.LBB104_435:                            ; =>This Inner Loop Header: Depth=1
	buffer_load_dword v90, v88, s[0:3], 0 offen
	ds_read_b32 v91, v87
	v_add_u32_e32 v89, 1, v89
	v_cmp_lt_u32_e32 vcc, 3, v89
	v_add_u32_e32 v87, 4, v87
	v_add_u32_e32 v88, 4, v88
	s_or_b64 s[10:11], vcc, s[10:11]
	s_waitcnt vmcnt(0) lgkmcnt(0)
	v_fmac_f32_e32 v86, v90, v91
	s_andn2_b64 exec, exec, s[10:11]
	s_cbranch_execnz .LBB104_435
; %bb.436:
	s_or_b64 exec, exec, s[10:11]
.LBB104_437:
	s_or_b64 exec, exec, s[8:9]
	v_mov_b32_e32 v87, 0
	ds_read_b32 v87, v87 offset:20
	s_waitcnt lgkmcnt(0)
	v_mul_f32_e32 v86, v86, v87
	buffer_store_dword v86, off, s[0:3], 0 offset:20
.LBB104_438:
	;; [unrolled: 55-line block ×35, first 2 shown]
	s_or_b64 exec, exec, s[6:7]
	buffer_load_dword v86, off, s[0:3], 0 offset:156
	v_cmp_gt_u32_e64 s[6:7], 39, v0
	s_waitcnt vmcnt(0)
	ds_write_b32 v84, v86
	s_waitcnt lgkmcnt(0)
	; wave barrier
	s_and_saveexec_b64 s[8:9], s[6:7]
	s_cbranch_execz .LBB104_778
; %bb.769:
	s_and_b64 vcc, exec, s[4:5]
	s_cbranch_vccnz .LBB104_771
; %bb.770:
	buffer_load_dword v86, v85, s[0:3], 0 offen
	ds_read_b32 v87, v84
	s_waitcnt vmcnt(0) lgkmcnt(0)
	v_mul_f32_e32 v86, v86, v87
	s_cbranch_execz .LBB104_772
	s_branch .LBB104_773
.LBB104_771:
                                        ; implicit-def: $vgpr86
.LBB104_772:
	ds_read_b32 v86, v84
.LBB104_773:
	v_cmp_ne_u32_e32 vcc, 38, v0
	s_and_saveexec_b64 s[10:11], vcc
	s_cbranch_execz .LBB104_777
; %bb.774:
	s_mov_b32 s12, 0
	v_add_u32_e32 v87, 0xb4, v83
	v_add3_u32 v88, v83, s12, 4
	s_mov_b64 s[12:13], 0
	v_mov_b32_e32 v89, v0
.LBB104_775:                            ; =>This Inner Loop Header: Depth=1
	buffer_load_dword v90, v88, s[0:3], 0 offen
	ds_read_b32 v91, v87
	v_add_u32_e32 v89, 1, v89
	v_cmp_lt_u32_e32 vcc, 37, v89
	v_add_u32_e32 v87, 4, v87
	v_add_u32_e32 v88, 4, v88
	s_or_b64 s[12:13], vcc, s[12:13]
	s_waitcnt vmcnt(0) lgkmcnt(0)
	v_fmac_f32_e32 v86, v90, v91
	s_andn2_b64 exec, exec, s[12:13]
	s_cbranch_execnz .LBB104_775
; %bb.776:
	s_or_b64 exec, exec, s[12:13]
.LBB104_777:
	s_or_b64 exec, exec, s[10:11]
	v_mov_b32_e32 v87, 0
	ds_read_b32 v87, v87 offset:156
	s_waitcnt lgkmcnt(0)
	v_mul_f32_e32 v86, v86, v87
	buffer_store_dword v86, off, s[0:3], 0 offset:156
.LBB104_778:
	s_or_b64 exec, exec, s[8:9]
	buffer_load_dword v86, off, s[0:3], 0 offset:160
	v_cmp_ne_u32_e32 vcc, 40, v0
	s_waitcnt vmcnt(0)
	ds_write_b32 v84, v86
	s_waitcnt lgkmcnt(0)
	; wave barrier
	s_and_saveexec_b64 s[8:9], vcc
	s_cbranch_execz .LBB104_788
; %bb.779:
	s_and_b64 vcc, exec, s[4:5]
	s_cbranch_vccnz .LBB104_781
; %bb.780:
	buffer_load_dword v85, v85, s[0:3], 0 offen
	ds_read_b32 v86, v84
	s_waitcnt vmcnt(0) lgkmcnt(0)
	v_mul_f32_e32 v85, v85, v86
	s_cbranch_execz .LBB104_782
	s_branch .LBB104_783
.LBB104_781:
                                        ; implicit-def: $vgpr85
.LBB104_782:
	ds_read_b32 v85, v84
.LBB104_783:
	s_and_saveexec_b64 s[4:5], s[6:7]
	s_cbranch_execz .LBB104_787
; %bb.784:
	s_mov_b32 s6, 0
	v_add_u32_e32 v84, 0xb4, v83
	v_add3_u32 v83, v83, s6, 4
	s_mov_b64 s[6:7], 0
.LBB104_785:                            ; =>This Inner Loop Header: Depth=1
	buffer_load_dword v86, v83, s[0:3], 0 offen
	ds_read_b32 v87, v84
	v_add_u32_e32 v0, 1, v0
	v_cmp_lt_u32_e32 vcc, 38, v0
	v_add_u32_e32 v84, 4, v84
	v_add_u32_e32 v83, 4, v83
	s_or_b64 s[6:7], vcc, s[6:7]
	s_waitcnt vmcnt(0) lgkmcnt(0)
	v_fmac_f32_e32 v85, v86, v87
	s_andn2_b64 exec, exec, s[6:7]
	s_cbranch_execnz .LBB104_785
; %bb.786:
	s_or_b64 exec, exec, s[6:7]
.LBB104_787:
	s_or_b64 exec, exec, s[4:5]
	v_mov_b32_e32 v0, 0
	ds_read_b32 v0, v0 offset:160
	s_waitcnt lgkmcnt(0)
	v_mul_f32_e32 v0, v85, v0
	buffer_store_dword v0, off, s[0:3], 0 offset:160
.LBB104_788:
	s_or_b64 exec, exec, s[8:9]
.LBB104_789:
	buffer_load_dword v0, off, s[0:3], 0
	s_waitcnt vmcnt(0)
	flat_store_dword v[1:2], v0
	buffer_load_dword v0, off, s[0:3], 0 offset:4
	s_waitcnt vmcnt(0)
	flat_store_dword v[3:4], v0
	buffer_load_dword v0, off, s[0:3], 0 offset:8
	;; [unrolled: 3-line block ×40, first 2 shown]
	s_waitcnt vmcnt(0)
	flat_store_dword v[81:82], v0
.LBB104_790:
	s_endpgm
	.section	.rodata,"a",@progbits
	.p2align	6, 0x0
	.amdhsa_kernel _ZN9rocsolver6v33100L18trti2_kernel_smallILi41EfPKPfEEv13rocblas_fill_17rocblas_diagonal_T1_iil
		.amdhsa_group_segment_fixed_size 340
		.amdhsa_private_segment_fixed_size 176
		.amdhsa_kernarg_size 32
		.amdhsa_user_sgpr_count 6
		.amdhsa_user_sgpr_private_segment_buffer 1
		.amdhsa_user_sgpr_dispatch_ptr 0
		.amdhsa_user_sgpr_queue_ptr 0
		.amdhsa_user_sgpr_kernarg_segment_ptr 1
		.amdhsa_user_sgpr_dispatch_id 0
		.amdhsa_user_sgpr_flat_scratch_init 0
		.amdhsa_user_sgpr_private_segment_size 0
		.amdhsa_uses_dynamic_stack 0
		.amdhsa_system_sgpr_private_segment_wavefront_offset 1
		.amdhsa_system_sgpr_workgroup_id_x 1
		.amdhsa_system_sgpr_workgroup_id_y 0
		.amdhsa_system_sgpr_workgroup_id_z 0
		.amdhsa_system_sgpr_workgroup_info 0
		.amdhsa_system_vgpr_workitem_id 0
		.amdhsa_next_free_vgpr 92
		.amdhsa_next_free_sgpr 54
		.amdhsa_reserve_vcc 1
		.amdhsa_reserve_flat_scratch 0
		.amdhsa_float_round_mode_32 0
		.amdhsa_float_round_mode_16_64 0
		.amdhsa_float_denorm_mode_32 3
		.amdhsa_float_denorm_mode_16_64 3
		.amdhsa_dx10_clamp 1
		.amdhsa_ieee_mode 1
		.amdhsa_fp16_overflow 0
		.amdhsa_exception_fp_ieee_invalid_op 0
		.amdhsa_exception_fp_denorm_src 0
		.amdhsa_exception_fp_ieee_div_zero 0
		.amdhsa_exception_fp_ieee_overflow 0
		.amdhsa_exception_fp_ieee_underflow 0
		.amdhsa_exception_fp_ieee_inexact 0
		.amdhsa_exception_int_div_zero 0
	.end_amdhsa_kernel
	.section	.text._ZN9rocsolver6v33100L18trti2_kernel_smallILi41EfPKPfEEv13rocblas_fill_17rocblas_diagonal_T1_iil,"axG",@progbits,_ZN9rocsolver6v33100L18trti2_kernel_smallILi41EfPKPfEEv13rocblas_fill_17rocblas_diagonal_T1_iil,comdat
.Lfunc_end104:
	.size	_ZN9rocsolver6v33100L18trti2_kernel_smallILi41EfPKPfEEv13rocblas_fill_17rocblas_diagonal_T1_iil, .Lfunc_end104-_ZN9rocsolver6v33100L18trti2_kernel_smallILi41EfPKPfEEv13rocblas_fill_17rocblas_diagonal_T1_iil
                                        ; -- End function
	.set _ZN9rocsolver6v33100L18trti2_kernel_smallILi41EfPKPfEEv13rocblas_fill_17rocblas_diagonal_T1_iil.num_vgpr, 92
	.set _ZN9rocsolver6v33100L18trti2_kernel_smallILi41EfPKPfEEv13rocblas_fill_17rocblas_diagonal_T1_iil.num_agpr, 0
	.set _ZN9rocsolver6v33100L18trti2_kernel_smallILi41EfPKPfEEv13rocblas_fill_17rocblas_diagonal_T1_iil.numbered_sgpr, 54
	.set _ZN9rocsolver6v33100L18trti2_kernel_smallILi41EfPKPfEEv13rocblas_fill_17rocblas_diagonal_T1_iil.num_named_barrier, 0
	.set _ZN9rocsolver6v33100L18trti2_kernel_smallILi41EfPKPfEEv13rocblas_fill_17rocblas_diagonal_T1_iil.private_seg_size, 176
	.set _ZN9rocsolver6v33100L18trti2_kernel_smallILi41EfPKPfEEv13rocblas_fill_17rocblas_diagonal_T1_iil.uses_vcc, 1
	.set _ZN9rocsolver6v33100L18trti2_kernel_smallILi41EfPKPfEEv13rocblas_fill_17rocblas_diagonal_T1_iil.uses_flat_scratch, 0
	.set _ZN9rocsolver6v33100L18trti2_kernel_smallILi41EfPKPfEEv13rocblas_fill_17rocblas_diagonal_T1_iil.has_dyn_sized_stack, 0
	.set _ZN9rocsolver6v33100L18trti2_kernel_smallILi41EfPKPfEEv13rocblas_fill_17rocblas_diagonal_T1_iil.has_recursion, 0
	.set _ZN9rocsolver6v33100L18trti2_kernel_smallILi41EfPKPfEEv13rocblas_fill_17rocblas_diagonal_T1_iil.has_indirect_call, 0
	.section	.AMDGPU.csdata,"",@progbits
; Kernel info:
; codeLenInByte = 19824
; TotalNumSgprs: 58
; NumVgprs: 92
; ScratchSize: 176
; MemoryBound: 0
; FloatMode: 240
; IeeeMode: 1
; LDSByteSize: 340 bytes/workgroup (compile time only)
; SGPRBlocks: 7
; VGPRBlocks: 22
; NumSGPRsForWavesPerEU: 58
; NumVGPRsForWavesPerEU: 92
; Occupancy: 2
; WaveLimiterHint : 1
; COMPUTE_PGM_RSRC2:SCRATCH_EN: 1
; COMPUTE_PGM_RSRC2:USER_SGPR: 6
; COMPUTE_PGM_RSRC2:TRAP_HANDLER: 0
; COMPUTE_PGM_RSRC2:TGID_X_EN: 1
; COMPUTE_PGM_RSRC2:TGID_Y_EN: 0
; COMPUTE_PGM_RSRC2:TGID_Z_EN: 0
; COMPUTE_PGM_RSRC2:TIDIG_COMP_CNT: 0
	.section	.text._ZN9rocsolver6v33100L18trti2_kernel_smallILi42EfPKPfEEv13rocblas_fill_17rocblas_diagonal_T1_iil,"axG",@progbits,_ZN9rocsolver6v33100L18trti2_kernel_smallILi42EfPKPfEEv13rocblas_fill_17rocblas_diagonal_T1_iil,comdat
	.globl	_ZN9rocsolver6v33100L18trti2_kernel_smallILi42EfPKPfEEv13rocblas_fill_17rocblas_diagonal_T1_iil ; -- Begin function _ZN9rocsolver6v33100L18trti2_kernel_smallILi42EfPKPfEEv13rocblas_fill_17rocblas_diagonal_T1_iil
	.p2align	8
	.type	_ZN9rocsolver6v33100L18trti2_kernel_smallILi42EfPKPfEEv13rocblas_fill_17rocblas_diagonal_T1_iil,@function
_ZN9rocsolver6v33100L18trti2_kernel_smallILi42EfPKPfEEv13rocblas_fill_17rocblas_diagonal_T1_iil: ; @_ZN9rocsolver6v33100L18trti2_kernel_smallILi42EfPKPfEEv13rocblas_fill_17rocblas_diagonal_T1_iil
; %bb.0:
	s_add_u32 s0, s0, s7
	s_addc_u32 s1, s1, 0
	v_cmp_gt_u32_e32 vcc, 42, v0
	s_and_saveexec_b64 s[8:9], vcc
	s_cbranch_execz .LBB105_810
; %bb.1:
	s_load_dwordx2 s[12:13], s[4:5], 0x10
	s_load_dwordx4 s[8:11], s[4:5], 0x0
	s_ashr_i32 s7, s6, 31
	s_lshl_b64 s[6:7], s[6:7], 3
	v_lshlrev_b32_e32 v85, 2, v0
	s_waitcnt lgkmcnt(0)
	s_ashr_i32 s5, s12, 31
	s_add_u32 s6, s10, s6
	s_addc_u32 s7, s11, s7
	s_load_dwordx2 s[6:7], s[6:7], 0x0
	s_mov_b32 s4, s12
	s_lshl_b64 s[4:5], s[4:5], 2
	s_movk_i32 s12, 0x84
	s_waitcnt lgkmcnt(0)
	s_add_u32 s4, s6, s4
	s_addc_u32 s5, s7, s5
	v_mov_b32_e32 v2, s5
	v_add_co_u32_e32 v1, vcc, s4, v85
	v_addc_co_u32_e32 v2, vcc, 0, v2, vcc
	flat_load_dword v5, v[1:2]
	s_mov_b32 s6, s13
	s_ashr_i32 s7, s13, 31
	s_lshl_b64 s[6:7], s[6:7], 2
	v_mov_b32_e32 v4, s7
	v_add_co_u32_e32 v3, vcc, s6, v1
	v_addc_co_u32_e32 v4, vcc, v2, v4, vcc
	s_add_i32 s6, s13, s13
	v_add_u32_e32 v7, s6, v0
	v_ashrrev_i32_e32 v8, 31, v7
	v_mov_b32_e32 v10, s5
	v_mov_b32_e32 v12, s5
	;; [unrolled: 1-line block ×39, first 2 shown]
	s_cmpk_lg_i32 s9, 0x84
	s_cselect_b64 s[10:11], -1, 0
	s_cmpk_eq_i32 s9, 0x84
	s_waitcnt vmcnt(0) lgkmcnt(0)
	buffer_store_dword v5, off, s[0:3], 0
	flat_load_dword v9, v[3:4]
	v_lshlrev_b64 v[5:6], 2, v[7:8]
	v_add_co_u32_e32 v5, vcc, s4, v5
	v_addc_co_u32_e32 v6, vcc, v10, v6, vcc
	s_waitcnt vmcnt(0) lgkmcnt(0)
	buffer_store_dword v9, off, s[0:3], 0 offset:4
	flat_load_dword v11, v[5:6]
	v_add_u32_e32 v9, s13, v7
	v_ashrrev_i32_e32 v10, 31, v9
	v_lshlrev_b64 v[7:8], 2, v[9:10]
	v_add_co_u32_e32 v7, vcc, s4, v7
	v_addc_co_u32_e32 v8, vcc, v12, v8, vcc
	s_waitcnt vmcnt(0) lgkmcnt(0)
	buffer_store_dword v11, off, s[0:3], 0 offset:8
	flat_load_dword v13, v[7:8]
	v_add_u32_e32 v11, s13, v9
	v_ashrrev_i32_e32 v12, 31, v11
	;; [unrolled: 8-line block ×38, first 2 shown]
	v_lshlrev_b64 v[81:82], 2, v[83:84]
	v_add_u32_e32 v83, s13, v83
	v_add_co_u32_e32 v81, vcc, s4, v81
	v_addc_co_u32_e32 v82, vcc, v87, v82, vcc
	v_ashrrev_i32_e32 v84, 31, v83
	v_lshlrev_b64 v[83:84], 2, v[83:84]
	v_add_co_u32_e32 v83, vcc, s4, v83
	v_addc_co_u32_e32 v84, vcc, v87, v84, vcc
	s_waitcnt vmcnt(0) lgkmcnt(0)
	buffer_store_dword v86, off, s[0:3], 0 offset:156
	flat_load_dword v86, v[81:82]
	s_waitcnt vmcnt(0) lgkmcnt(0)
	buffer_store_dword v86, off, s[0:3], 0 offset:160
	flat_load_dword v86, v[83:84]
	s_waitcnt vmcnt(0) lgkmcnt(0)
	buffer_store_dword v86, off, s[0:3], 0 offset:164
	v_mov_b32_e32 v86, -1.0
	s_cbranch_scc1 .LBB105_3
; %bb.2:
	v_mov_b32_e32 v86, 0
	v_lshl_add_u32 v86, v0, 2, v86
	buffer_load_dword v87, v86, s[0:3], 0 offen
	s_waitcnt vmcnt(0)
	v_div_scale_f32 v88, s[4:5], v87, v87, 1.0
	v_div_scale_f32 v89, vcc, 1.0, v87, 1.0
	v_rcp_f32_e32 v90, v88
	v_fma_f32 v91, -v88, v90, 1.0
	v_fmac_f32_e32 v90, v91, v90
	v_mul_f32_e32 v91, v89, v90
	v_fma_f32 v92, -v88, v91, v89
	v_fmac_f32_e32 v91, v92, v90
	v_fma_f32 v88, -v88, v91, v89
	v_div_fmas_f32 v88, v88, v90, v91
	v_div_fixup_f32 v87, v88, v87, 1.0
	buffer_store_dword v87, v86, s[0:3], 0 offen
	v_xor_b32_e32 v86, 0x80000000, v87
.LBB105_3:
	ds_write_b32 v85, v86
	s_cmpk_eq_i32 s8, 0x79
	v_add_u32_e32 v86, 0xb0, v85
	v_mov_b32_e32 v87, v85
	s_mov_b64 s[4:5], -1
	s_cbranch_scc1 .LBB105_407
; %bb.4:
	buffer_load_dword v88, off, s[0:3], 0 offset:160
	s_movk_i32 s30, 0x44
	s_movk_i32 s31, 0x48
	;; [unrolled: 1-line block ×22, first 2 shown]
	v_cmp_eq_u32_e64 s[4:5], 41, v0
	s_waitcnt vmcnt(0)
	ds_write_b32 v86, v88
	s_waitcnt lgkmcnt(0)
	; wave barrier
	s_and_saveexec_b64 s[6:7], s[4:5]
	s_cbranch_execz .LBB105_10
; %bb.5:
	s_and_b64 vcc, exec, s[10:11]
	s_cbranch_vccz .LBB105_7
; %bb.6:
	buffer_load_dword v88, v87, s[0:3], 0 offen
	ds_read_b32 v89, v86
	s_waitcnt vmcnt(0) lgkmcnt(0)
	v_mul_f32_e32 v88, v88, v89
	s_cbranch_execz .LBB105_8
	s_branch .LBB105_9
.LBB105_7:
                                        ; implicit-def: $vgpr88
.LBB105_8:
	ds_read_b32 v88, v86
.LBB105_9:
	v_mov_b32_e32 v89, 0
	ds_read_b32 v89, v89 offset:160
	s_waitcnt lgkmcnt(0)
	v_mul_f32_e32 v88, v88, v89
	buffer_store_dword v88, off, s[0:3], 0 offset:160
.LBB105_10:
	s_or_b64 exec, exec, s[6:7]
	buffer_load_dword v88, off, s[0:3], 0 offset:156
	s_or_b32 s14, 0, 4
	s_or_b32 s15, 0, 8
	;; [unrolled: 1-line block ×3, first 2 shown]
	s_mov_b32 s17, 16
	s_mov_b32 s18, 20
	;; [unrolled: 1-line block ×15, first 2 shown]
	v_cmp_lt_u32_e64 s[6:7], 39, v0
	s_waitcnt vmcnt(0)
	ds_write_b32 v86, v88
	s_waitcnt lgkmcnt(0)
	; wave barrier
	s_and_saveexec_b64 s[8:9], s[6:7]
	s_cbranch_execz .LBB105_16
; %bb.11:
	s_andn2_b64 vcc, exec, s[10:11]
	s_cbranch_vccnz .LBB105_13
; %bb.12:
	buffer_load_dword v88, v87, s[0:3], 0 offen
	ds_read_b32 v89, v86
	s_waitcnt vmcnt(0) lgkmcnt(0)
	v_mul_f32_e32 v88, v88, v89
	s_cbranch_execz .LBB105_14
	s_branch .LBB105_15
.LBB105_13:
                                        ; implicit-def: $vgpr88
.LBB105_14:
	ds_read_b32 v88, v86
.LBB105_15:
	buffer_load_dword v91, off, s[0:3], 0 offset:160
	v_mov_b32_e32 v89, 0
	ds_read2_b32 v[89:90], v89 offset0:39 offset1:84
	s_waitcnt vmcnt(0) lgkmcnt(0)
	v_fma_f32 v90, v91, v90, v88
	v_cndmask_b32_e64 v88, v88, v90, s[4:5]
	v_mul_f32_e32 v88, v88, v89
	buffer_store_dword v88, off, s[0:3], 0 offset:156
.LBB105_16:
	s_or_b64 exec, exec, s[8:9]
	buffer_load_dword v88, off, s[0:3], 0 offset:152
	v_cmp_lt_u32_e64 s[4:5], 38, v0
	s_waitcnt vmcnt(0)
	ds_write_b32 v86, v88
	s_waitcnt lgkmcnt(0)
	; wave barrier
	s_and_saveexec_b64 s[8:9], s[4:5]
	s_cbranch_execz .LBB105_26
; %bb.17:
	s_andn2_b64 vcc, exec, s[10:11]
	s_cbranch_vccnz .LBB105_19
; %bb.18:
	buffer_load_dword v88, v87, s[0:3], 0 offen
	ds_read_b32 v89, v86
	s_waitcnt vmcnt(0) lgkmcnt(0)
	v_mul_f32_e32 v88, v88, v89
	s_cbranch_execz .LBB105_20
	s_branch .LBB105_21
.LBB105_19:
                                        ; implicit-def: $vgpr88
.LBB105_20:
	ds_read_b32 v88, v86
.LBB105_21:
	s_and_saveexec_b64 s[12:13], s[6:7]
	s_cbranch_execz .LBB105_25
; %bb.22:
	v_subrev_u32_e32 v89, 39, v0
	s_movk_i32 s54, 0x14c
	s_mov_b64 s[6:7], 0
.LBB105_23:                             ; =>This Inner Loop Header: Depth=1
	v_mov_b32_e32 v90, s53
	buffer_load_dword v90, v90, s[0:3], 0 offen
	v_mov_b32_e32 v91, s54
	ds_read_b32 v91, v91
	v_add_u32_e32 v89, -1, v89
	s_add_i32 s54, s54, 4
	s_add_i32 s53, s53, 4
	v_cmp_eq_u32_e32 vcc, 0, v89
	s_or_b64 s[6:7], vcc, s[6:7]
	s_waitcnt vmcnt(0) lgkmcnt(0)
	v_fmac_f32_e32 v88, v90, v91
	s_andn2_b64 exec, exec, s[6:7]
	s_cbranch_execnz .LBB105_23
; %bb.24:
	s_or_b64 exec, exec, s[6:7]
.LBB105_25:
	s_or_b64 exec, exec, s[12:13]
	v_mov_b32_e32 v89, 0
	ds_read_b32 v89, v89 offset:152
	s_waitcnt lgkmcnt(0)
	v_mul_f32_e32 v88, v88, v89
	buffer_store_dword v88, off, s[0:3], 0 offset:152
.LBB105_26:
	s_or_b64 exec, exec, s[8:9]
	buffer_load_dword v88, off, s[0:3], 0 offset:148
	v_cmp_lt_u32_e64 s[6:7], 37, v0
	s_waitcnt vmcnt(0)
	ds_write_b32 v86, v88
	s_waitcnt lgkmcnt(0)
	; wave barrier
	s_and_saveexec_b64 s[8:9], s[6:7]
	s_cbranch_execz .LBB105_36
; %bb.27:
	s_andn2_b64 vcc, exec, s[10:11]
	s_cbranch_vccnz .LBB105_29
; %bb.28:
	buffer_load_dword v88, v87, s[0:3], 0 offen
	ds_read_b32 v89, v86
	s_waitcnt vmcnt(0) lgkmcnt(0)
	v_mul_f32_e32 v88, v88, v89
	s_cbranch_execz .LBB105_30
	s_branch .LBB105_31
.LBB105_29:
                                        ; implicit-def: $vgpr88
.LBB105_30:
	ds_read_b32 v88, v86
.LBB105_31:
	s_and_saveexec_b64 s[12:13], s[4:5]
	s_cbranch_execz .LBB105_35
; %bb.32:
	v_subrev_u32_e32 v89, 38, v0
	s_movk_i32 s53, 0x148
	s_mov_b64 s[4:5], 0
.LBB105_33:                             ; =>This Inner Loop Header: Depth=1
	v_mov_b32_e32 v90, s52
	buffer_load_dword v90, v90, s[0:3], 0 offen
	v_mov_b32_e32 v91, s53
	ds_read_b32 v91, v91
	v_add_u32_e32 v89, -1, v89
	s_add_i32 s53, s53, 4
	s_add_i32 s52, s52, 4
	v_cmp_eq_u32_e32 vcc, 0, v89
	s_or_b64 s[4:5], vcc, s[4:5]
	s_waitcnt vmcnt(0) lgkmcnt(0)
	v_fmac_f32_e32 v88, v90, v91
	s_andn2_b64 exec, exec, s[4:5]
	s_cbranch_execnz .LBB105_33
; %bb.34:
	s_or_b64 exec, exec, s[4:5]
.LBB105_35:
	s_or_b64 exec, exec, s[12:13]
	v_mov_b32_e32 v89, 0
	ds_read_b32 v89, v89 offset:148
	s_waitcnt lgkmcnt(0)
	v_mul_f32_e32 v88, v88, v89
	buffer_store_dword v88, off, s[0:3], 0 offset:148
.LBB105_36:
	;; [unrolled: 54-line block ×8, first 2 shown]
	s_or_b64 exec, exec, s[8:9]
	buffer_load_dword v88, off, s[0:3], 0 offset:120
	v_cmp_lt_u32_e64 s[4:5], 30, v0
	s_waitcnt vmcnt(0)
	ds_write_b32 v86, v88
	s_waitcnt lgkmcnt(0)
	; wave barrier
	s_and_saveexec_b64 s[8:9], s[4:5]
	s_cbranch_execz .LBB105_106
; %bb.97:
	s_andn2_b64 vcc, exec, s[10:11]
	s_cbranch_vccnz .LBB105_99
; %bb.98:
	buffer_load_dword v88, v87, s[0:3], 0 offen
	ds_read_b32 v89, v86
	s_waitcnt vmcnt(0) lgkmcnt(0)
	v_mul_f32_e32 v88, v88, v89
	s_cbranch_execz .LBB105_100
	s_branch .LBB105_101
.LBB105_99:
                                        ; implicit-def: $vgpr88
.LBB105_100:
	ds_read_b32 v88, v86
.LBB105_101:
	s_and_saveexec_b64 s[12:13], s[6:7]
	s_cbranch_execz .LBB105_105
; %bb.102:
	v_subrev_u32_e32 v89, 31, v0
	s_movk_i32 s46, 0x12c
	s_mov_b64 s[6:7], 0
.LBB105_103:                            ; =>This Inner Loop Header: Depth=1
	v_mov_b32_e32 v90, s45
	buffer_load_dword v90, v90, s[0:3], 0 offen
	v_mov_b32_e32 v91, s46
	ds_read_b32 v91, v91
	v_add_u32_e32 v89, -1, v89
	s_add_i32 s46, s46, 4
	s_add_i32 s45, s45, 4
	v_cmp_eq_u32_e32 vcc, 0, v89
	s_or_b64 s[6:7], vcc, s[6:7]
	s_waitcnt vmcnt(0) lgkmcnt(0)
	v_fmac_f32_e32 v88, v90, v91
	s_andn2_b64 exec, exec, s[6:7]
	s_cbranch_execnz .LBB105_103
; %bb.104:
	s_or_b64 exec, exec, s[6:7]
.LBB105_105:
	s_or_b64 exec, exec, s[12:13]
	v_mov_b32_e32 v89, 0
	ds_read_b32 v89, v89 offset:120
	s_waitcnt lgkmcnt(0)
	v_mul_f32_e32 v88, v88, v89
	buffer_store_dword v88, off, s[0:3], 0 offset:120
.LBB105_106:
	s_or_b64 exec, exec, s[8:9]
	buffer_load_dword v88, off, s[0:3], 0 offset:116
	v_cmp_lt_u32_e64 s[6:7], 29, v0
	s_waitcnt vmcnt(0)
	ds_write_b32 v86, v88
	s_waitcnt lgkmcnt(0)
	; wave barrier
	s_and_saveexec_b64 s[8:9], s[6:7]
	s_cbranch_execz .LBB105_116
; %bb.107:
	s_andn2_b64 vcc, exec, s[10:11]
	s_cbranch_vccnz .LBB105_109
; %bb.108:
	buffer_load_dword v88, v87, s[0:3], 0 offen
	ds_read_b32 v89, v86
	s_waitcnt vmcnt(0) lgkmcnt(0)
	v_mul_f32_e32 v88, v88, v89
	s_cbranch_execz .LBB105_110
	s_branch .LBB105_111
.LBB105_109:
                                        ; implicit-def: $vgpr88
.LBB105_110:
	ds_read_b32 v88, v86
.LBB105_111:
	s_and_saveexec_b64 s[12:13], s[4:5]
	s_cbranch_execz .LBB105_115
; %bb.112:
	v_subrev_u32_e32 v89, 30, v0
	s_movk_i32 s45, 0x128
	s_mov_b64 s[4:5], 0
.LBB105_113:                            ; =>This Inner Loop Header: Depth=1
	v_mov_b32_e32 v90, s44
	buffer_load_dword v90, v90, s[0:3], 0 offen
	v_mov_b32_e32 v91, s45
	ds_read_b32 v91, v91
	v_add_u32_e32 v89, -1, v89
	s_add_i32 s45, s45, 4
	s_add_i32 s44, s44, 4
	v_cmp_eq_u32_e32 vcc, 0, v89
	s_or_b64 s[4:5], vcc, s[4:5]
	s_waitcnt vmcnt(0) lgkmcnt(0)
	v_fmac_f32_e32 v88, v90, v91
	s_andn2_b64 exec, exec, s[4:5]
	s_cbranch_execnz .LBB105_113
; %bb.114:
	s_or_b64 exec, exec, s[4:5]
.LBB105_115:
	s_or_b64 exec, exec, s[12:13]
	v_mov_b32_e32 v89, 0
	ds_read_b32 v89, v89 offset:116
	s_waitcnt lgkmcnt(0)
	v_mul_f32_e32 v88, v88, v89
	buffer_store_dword v88, off, s[0:3], 0 offset:116
.LBB105_116:
	;; [unrolled: 54-line block ×15, first 2 shown]
	s_or_b64 exec, exec, s[8:9]
	buffer_load_dword v88, off, s[0:3], 0 offset:60
	v_cmp_lt_u32_e64 s[6:7], 15, v0
	s_waitcnt vmcnt(0)
	ds_write_b32 v86, v88
	s_waitcnt lgkmcnt(0)
	; wave barrier
	s_and_saveexec_b64 s[8:9], s[6:7]
	s_cbranch_execz .LBB105_256
; %bb.247:
	s_andn2_b64 vcc, exec, s[10:11]
	s_cbranch_vccnz .LBB105_249
; %bb.248:
	buffer_load_dword v88, v87, s[0:3], 0 offen
	ds_read_b32 v89, v86
	s_waitcnt vmcnt(0) lgkmcnt(0)
	v_mul_f32_e32 v88, v88, v89
	s_cbranch_execz .LBB105_250
	s_branch .LBB105_251
.LBB105_249:
                                        ; implicit-def: $vgpr88
.LBB105_250:
	ds_read_b32 v88, v86
.LBB105_251:
	s_and_saveexec_b64 s[12:13], s[4:5]
	s_cbranch_execz .LBB105_255
; %bb.252:
	v_add_u32_e32 v89, -16, v0
	s_movk_i32 s30, 0xf0
	s_mov_b64 s[4:5], 0
.LBB105_253:                            ; =>This Inner Loop Header: Depth=1
	v_mov_b32_e32 v90, s29
	buffer_load_dword v90, v90, s[0:3], 0 offen
	v_mov_b32_e32 v91, s30
	ds_read_b32 v91, v91
	v_add_u32_e32 v89, -1, v89
	s_add_i32 s30, s30, 4
	s_add_i32 s29, s29, 4
	v_cmp_eq_u32_e32 vcc, 0, v89
	s_or_b64 s[4:5], vcc, s[4:5]
	s_waitcnt vmcnt(0) lgkmcnt(0)
	v_fmac_f32_e32 v88, v90, v91
	s_andn2_b64 exec, exec, s[4:5]
	s_cbranch_execnz .LBB105_253
; %bb.254:
	s_or_b64 exec, exec, s[4:5]
.LBB105_255:
	s_or_b64 exec, exec, s[12:13]
	v_mov_b32_e32 v89, 0
	ds_read_b32 v89, v89 offset:60
	s_waitcnt lgkmcnt(0)
	v_mul_f32_e32 v88, v88, v89
	buffer_store_dword v88, off, s[0:3], 0 offset:60
.LBB105_256:
	s_or_b64 exec, exec, s[8:9]
	buffer_load_dword v88, off, s[0:3], 0 offset:56
	v_cmp_lt_u32_e64 s[4:5], 14, v0
	s_waitcnt vmcnt(0)
	ds_write_b32 v86, v88
	s_waitcnt lgkmcnt(0)
	; wave barrier
	s_and_saveexec_b64 s[8:9], s[4:5]
	s_cbranch_execz .LBB105_266
; %bb.257:
	s_andn2_b64 vcc, exec, s[10:11]
	s_cbranch_vccnz .LBB105_259
; %bb.258:
	buffer_load_dword v88, v87, s[0:3], 0 offen
	ds_read_b32 v89, v86
	s_waitcnt vmcnt(0) lgkmcnt(0)
	v_mul_f32_e32 v88, v88, v89
	s_cbranch_execz .LBB105_260
	s_branch .LBB105_261
.LBB105_259:
                                        ; implicit-def: $vgpr88
.LBB105_260:
	ds_read_b32 v88, v86
.LBB105_261:
	s_and_saveexec_b64 s[12:13], s[6:7]
	s_cbranch_execz .LBB105_265
; %bb.262:
	v_add_u32_e32 v89, -15, v0
	s_movk_i32 s29, 0xec
	s_mov_b64 s[6:7], 0
.LBB105_263:                            ; =>This Inner Loop Header: Depth=1
	v_mov_b32_e32 v90, s28
	buffer_load_dword v90, v90, s[0:3], 0 offen
	v_mov_b32_e32 v91, s29
	ds_read_b32 v91, v91
	v_add_u32_e32 v89, -1, v89
	s_add_i32 s29, s29, 4
	s_add_i32 s28, s28, 4
	v_cmp_eq_u32_e32 vcc, 0, v89
	s_or_b64 s[6:7], vcc, s[6:7]
	s_waitcnt vmcnt(0) lgkmcnt(0)
	v_fmac_f32_e32 v88, v90, v91
	s_andn2_b64 exec, exec, s[6:7]
	s_cbranch_execnz .LBB105_263
; %bb.264:
	s_or_b64 exec, exec, s[6:7]
.LBB105_265:
	s_or_b64 exec, exec, s[12:13]
	v_mov_b32_e32 v89, 0
	ds_read_b32 v89, v89 offset:56
	s_waitcnt lgkmcnt(0)
	v_mul_f32_e32 v88, v88, v89
	buffer_store_dword v88, off, s[0:3], 0 offset:56
.LBB105_266:
	;; [unrolled: 54-line block ×15, first 2 shown]
	s_or_b64 exec, exec, s[8:9]
	buffer_load_dword v88, off, s[0:3], 0
	v_cmp_ne_u32_e32 vcc, 0, v0
	s_waitcnt vmcnt(0)
	ds_write_b32 v86, v88
	s_waitcnt lgkmcnt(0)
	; wave barrier
	s_and_saveexec_b64 s[4:5], vcc
	s_cbranch_execz .LBB105_406
; %bb.397:
	s_andn2_b64 vcc, exec, s[10:11]
	s_cbranch_vccnz .LBB105_399
; %bb.398:
	buffer_load_dword v88, v87, s[0:3], 0 offen
	ds_read_b32 v89, v86
	s_waitcnt vmcnt(0) lgkmcnt(0)
	v_mul_f32_e32 v88, v88, v89
	s_cbranch_execz .LBB105_400
	s_branch .LBB105_401
.LBB105_399:
                                        ; implicit-def: $vgpr88
.LBB105_400:
	ds_read_b32 v88, v86
.LBB105_401:
	s_and_saveexec_b64 s[8:9], s[6:7]
	s_cbranch_execz .LBB105_405
; %bb.402:
	v_add_u32_e32 v89, -1, v0
	s_movk_i32 s12, 0xb4
	s_mov_b64 s[6:7], 0
.LBB105_403:                            ; =>This Inner Loop Header: Depth=1
	v_mov_b32_e32 v90, s14
	buffer_load_dword v90, v90, s[0:3], 0 offen
	v_mov_b32_e32 v91, s12
	ds_read_b32 v91, v91
	v_add_u32_e32 v89, -1, v89
	s_add_i32 s12, s12, 4
	s_add_i32 s14, s14, 4
	v_cmp_eq_u32_e32 vcc, 0, v89
	s_or_b64 s[6:7], vcc, s[6:7]
	s_waitcnt vmcnt(0) lgkmcnt(0)
	v_fmac_f32_e32 v88, v90, v91
	s_andn2_b64 exec, exec, s[6:7]
	s_cbranch_execnz .LBB105_403
; %bb.404:
	s_or_b64 exec, exec, s[6:7]
.LBB105_405:
	s_or_b64 exec, exec, s[8:9]
	v_mov_b32_e32 v89, 0
	ds_read_b32 v89, v89
	s_waitcnt lgkmcnt(0)
	v_mul_f32_e32 v88, v88, v89
	buffer_store_dword v88, off, s[0:3], 0
.LBB105_406:
	s_or_b64 exec, exec, s[4:5]
	s_mov_b64 s[4:5], 0
.LBB105_407:
	s_and_b64 vcc, exec, s[4:5]
	s_cbranch_vccz .LBB105_809
; %bb.408:
	buffer_load_dword v88, off, s[0:3], 0 offset:4
	v_cmp_eq_u32_e64 s[6:7], 0, v0
	s_waitcnt vmcnt(0)
	ds_write_b32 v86, v88
	s_waitcnt lgkmcnt(0)
	; wave barrier
	s_and_saveexec_b64 s[4:5], s[6:7]
	s_cbranch_execz .LBB105_414
; %bb.409:
	s_and_b64 vcc, exec, s[10:11]
	s_cbranch_vccz .LBB105_411
; %bb.410:
	buffer_load_dword v88, v87, s[0:3], 0 offen
	ds_read_b32 v89, v86
	s_waitcnt vmcnt(0) lgkmcnt(0)
	v_mul_f32_e32 v88, v88, v89
	s_cbranch_execz .LBB105_412
	s_branch .LBB105_413
.LBB105_411:
                                        ; implicit-def: $vgpr88
.LBB105_412:
	ds_read_b32 v88, v86
.LBB105_413:
	v_mov_b32_e32 v89, 0
	ds_read_b32 v89, v89 offset:4
	s_waitcnt lgkmcnt(0)
	v_mul_f32_e32 v88, v88, v89
	buffer_store_dword v88, off, s[0:3], 0 offset:4
.LBB105_414:
	s_or_b64 exec, exec, s[4:5]
	buffer_load_dword v88, off, s[0:3], 0 offset:8
	v_cndmask_b32_e64 v89, 0, 1, s[10:11]
	v_cmp_gt_u32_e32 vcc, 2, v0
	v_cmp_ne_u32_e64 s[4:5], 1, v89
	s_waitcnt vmcnt(0)
	ds_write_b32 v86, v88
	s_waitcnt lgkmcnt(0)
	; wave barrier
	s_and_saveexec_b64 s[8:9], vcc
	s_cbranch_execz .LBB105_420
; %bb.415:
	s_and_b64 vcc, exec, s[4:5]
	s_cbranch_vccnz .LBB105_417
; %bb.416:
	buffer_load_dword v88, v87, s[0:3], 0 offen
	ds_read_b32 v89, v86
	s_waitcnt vmcnt(0) lgkmcnt(0)
	v_mul_f32_e32 v88, v88, v89
	s_cbranch_execz .LBB105_418
	s_branch .LBB105_419
.LBB105_417:
                                        ; implicit-def: $vgpr88
.LBB105_418:
	ds_read_b32 v88, v86
.LBB105_419:
	buffer_load_dword v91, off, s[0:3], 0 offset:4
	v_mov_b32_e32 v89, 0
	ds_read2_b32 v[89:90], v89 offset0:2 offset1:45
	s_waitcnt vmcnt(0) lgkmcnt(0)
	v_fma_f32 v90, v91, v90, v88
	v_cndmask_b32_e64 v88, v88, v90, s[6:7]
	v_mul_f32_e32 v88, v88, v89
	buffer_store_dword v88, off, s[0:3], 0 offset:8
.LBB105_420:
	s_or_b64 exec, exec, s[8:9]
	buffer_load_dword v88, off, s[0:3], 0 offset:12
	v_cmp_gt_u32_e32 vcc, 3, v0
	s_waitcnt vmcnt(0)
	ds_write_b32 v86, v88
	s_waitcnt lgkmcnt(0)
	; wave barrier
	s_and_saveexec_b64 s[8:9], vcc
	s_cbranch_execz .LBB105_428
; %bb.421:
	s_and_b64 vcc, exec, s[4:5]
	s_cbranch_vccnz .LBB105_423
; %bb.422:
	buffer_load_dword v88, v87, s[0:3], 0 offen
	ds_read_b32 v89, v86
	s_waitcnt vmcnt(0) lgkmcnt(0)
	v_mul_f32_e32 v88, v88, v89
	s_cbranch_execz .LBB105_424
	s_branch .LBB105_425
.LBB105_423:
                                        ; implicit-def: $vgpr88
.LBB105_424:
	ds_read_b32 v88, v86
.LBB105_425:
	v_cmp_ne_u32_e32 vcc, 2, v0
	s_and_saveexec_b64 s[10:11], vcc
	s_cbranch_execz .LBB105_427
; %bb.426:
	buffer_load_dword v89, v87, s[0:3], 0 offen offset:4
	buffer_load_dword v90, off, s[0:3], 0 offset:8
	v_mov_b32_e32 v91, 0
	ds_read_b32 v92, v86 offset:4
	ds_read_b32 v91, v91 offset:184
	s_waitcnt vmcnt(1) lgkmcnt(1)
	v_fmac_f32_e32 v88, v89, v92
	s_waitcnt vmcnt(0) lgkmcnt(0)
	v_fma_f32 v89, v90, v91, v88
	v_cndmask_b32_e64 v88, v88, v89, s[6:7]
.LBB105_427:
	s_or_b64 exec, exec, s[10:11]
	v_mov_b32_e32 v89, 0
	ds_read_b32 v89, v89 offset:12
	s_waitcnt lgkmcnt(0)
	v_mul_f32_e32 v88, v88, v89
	buffer_store_dword v88, off, s[0:3], 0 offset:12
.LBB105_428:
	s_or_b64 exec, exec, s[8:9]
	buffer_load_dword v88, off, s[0:3], 0 offset:16
	v_cmp_gt_u32_e32 vcc, 4, v0
	s_waitcnt vmcnt(0)
	ds_write_b32 v86, v88
	s_waitcnt lgkmcnt(0)
	; wave barrier
	s_and_saveexec_b64 s[6:7], vcc
	s_cbranch_execz .LBB105_438
; %bb.429:
	s_and_b64 vcc, exec, s[4:5]
	s_cbranch_vccnz .LBB105_431
; %bb.430:
	buffer_load_dword v88, v87, s[0:3], 0 offen
	ds_read_b32 v89, v86
	s_waitcnt vmcnt(0) lgkmcnt(0)
	v_mul_f32_e32 v88, v88, v89
	s_cbranch_execz .LBB105_432
	s_branch .LBB105_433
.LBB105_431:
                                        ; implicit-def: $vgpr88
.LBB105_432:
	ds_read_b32 v88, v86
.LBB105_433:
	v_cmp_ne_u32_e32 vcc, 3, v0
	s_and_saveexec_b64 s[8:9], vcc
	s_cbranch_execz .LBB105_437
; %bb.434:
	s_mov_b32 s10, 0
	v_add_u32_e32 v89, 0xb4, v85
	v_add3_u32 v90, v85, s10, 4
	s_mov_b64 s[10:11], 0
	v_mov_b32_e32 v91, v0
.LBB105_435:                            ; =>This Inner Loop Header: Depth=1
	buffer_load_dword v92, v90, s[0:3], 0 offen
	ds_read_b32 v93, v89
	v_add_u32_e32 v91, 1, v91
	v_cmp_lt_u32_e32 vcc, 2, v91
	v_add_u32_e32 v89, 4, v89
	v_add_u32_e32 v90, 4, v90
	s_or_b64 s[10:11], vcc, s[10:11]
	s_waitcnt vmcnt(0) lgkmcnt(0)
	v_fmac_f32_e32 v88, v92, v93
	s_andn2_b64 exec, exec, s[10:11]
	s_cbranch_execnz .LBB105_435
; %bb.436:
	s_or_b64 exec, exec, s[10:11]
.LBB105_437:
	s_or_b64 exec, exec, s[8:9]
	v_mov_b32_e32 v89, 0
	ds_read_b32 v89, v89 offset:16
	s_waitcnt lgkmcnt(0)
	v_mul_f32_e32 v88, v88, v89
	buffer_store_dword v88, off, s[0:3], 0 offset:16
.LBB105_438:
	s_or_b64 exec, exec, s[6:7]
	buffer_load_dword v88, off, s[0:3], 0 offset:20
	v_cmp_gt_u32_e32 vcc, 5, v0
	s_waitcnt vmcnt(0)
	ds_write_b32 v86, v88
	s_waitcnt lgkmcnt(0)
	; wave barrier
	s_and_saveexec_b64 s[6:7], vcc
	s_cbranch_execz .LBB105_448
; %bb.439:
	s_and_b64 vcc, exec, s[4:5]
	s_cbranch_vccnz .LBB105_441
; %bb.440:
	buffer_load_dword v88, v87, s[0:3], 0 offen
	ds_read_b32 v89, v86
	s_waitcnt vmcnt(0) lgkmcnt(0)
	v_mul_f32_e32 v88, v88, v89
	s_cbranch_execz .LBB105_442
	s_branch .LBB105_443
.LBB105_441:
                                        ; implicit-def: $vgpr88
.LBB105_442:
	ds_read_b32 v88, v86
.LBB105_443:
	v_cmp_ne_u32_e32 vcc, 4, v0
	s_and_saveexec_b64 s[8:9], vcc
	s_cbranch_execz .LBB105_447
; %bb.444:
	s_mov_b32 s10, 0
	v_add_u32_e32 v89, 0xb4, v85
	v_add3_u32 v90, v85, s10, 4
	s_mov_b64 s[10:11], 0
	v_mov_b32_e32 v91, v0
.LBB105_445:                            ; =>This Inner Loop Header: Depth=1
	buffer_load_dword v92, v90, s[0:3], 0 offen
	ds_read_b32 v93, v89
	v_add_u32_e32 v91, 1, v91
	v_cmp_lt_u32_e32 vcc, 3, v91
	v_add_u32_e32 v89, 4, v89
	v_add_u32_e32 v90, 4, v90
	s_or_b64 s[10:11], vcc, s[10:11]
	s_waitcnt vmcnt(0) lgkmcnt(0)
	v_fmac_f32_e32 v88, v92, v93
	s_andn2_b64 exec, exec, s[10:11]
	s_cbranch_execnz .LBB105_445
; %bb.446:
	s_or_b64 exec, exec, s[10:11]
.LBB105_447:
	s_or_b64 exec, exec, s[8:9]
	v_mov_b32_e32 v89, 0
	ds_read_b32 v89, v89 offset:20
	s_waitcnt lgkmcnt(0)
	v_mul_f32_e32 v88, v88, v89
	buffer_store_dword v88, off, s[0:3], 0 offset:20
.LBB105_448:
	;; [unrolled: 55-line block ×36, first 2 shown]
	s_or_b64 exec, exec, s[6:7]
	buffer_load_dword v88, off, s[0:3], 0 offset:160
	v_cmp_gt_u32_e64 s[6:7], 40, v0
	s_waitcnt vmcnt(0)
	ds_write_b32 v86, v88
	s_waitcnt lgkmcnt(0)
	; wave barrier
	s_and_saveexec_b64 s[8:9], s[6:7]
	s_cbranch_execz .LBB105_798
; %bb.789:
	s_and_b64 vcc, exec, s[4:5]
	s_cbranch_vccnz .LBB105_791
; %bb.790:
	buffer_load_dword v88, v87, s[0:3], 0 offen
	ds_read_b32 v89, v86
	s_waitcnt vmcnt(0) lgkmcnt(0)
	v_mul_f32_e32 v88, v88, v89
	s_cbranch_execz .LBB105_792
	s_branch .LBB105_793
.LBB105_791:
                                        ; implicit-def: $vgpr88
.LBB105_792:
	ds_read_b32 v88, v86
.LBB105_793:
	v_cmp_ne_u32_e32 vcc, 39, v0
	s_and_saveexec_b64 s[10:11], vcc
	s_cbranch_execz .LBB105_797
; %bb.794:
	s_mov_b32 s12, 0
	v_add_u32_e32 v89, 0xb4, v85
	v_add3_u32 v90, v85, s12, 4
	s_mov_b64 s[12:13], 0
	v_mov_b32_e32 v91, v0
.LBB105_795:                            ; =>This Inner Loop Header: Depth=1
	buffer_load_dword v92, v90, s[0:3], 0 offen
	ds_read_b32 v93, v89
	v_add_u32_e32 v91, 1, v91
	v_cmp_lt_u32_e32 vcc, 38, v91
	v_add_u32_e32 v89, 4, v89
	v_add_u32_e32 v90, 4, v90
	s_or_b64 s[12:13], vcc, s[12:13]
	s_waitcnt vmcnt(0) lgkmcnt(0)
	v_fmac_f32_e32 v88, v92, v93
	s_andn2_b64 exec, exec, s[12:13]
	s_cbranch_execnz .LBB105_795
; %bb.796:
	s_or_b64 exec, exec, s[12:13]
.LBB105_797:
	s_or_b64 exec, exec, s[10:11]
	v_mov_b32_e32 v89, 0
	ds_read_b32 v89, v89 offset:160
	s_waitcnt lgkmcnt(0)
	v_mul_f32_e32 v88, v88, v89
	buffer_store_dword v88, off, s[0:3], 0 offset:160
.LBB105_798:
	s_or_b64 exec, exec, s[8:9]
	buffer_load_dword v88, off, s[0:3], 0 offset:164
	v_cmp_ne_u32_e32 vcc, 41, v0
	s_waitcnt vmcnt(0)
	ds_write_b32 v86, v88
	s_waitcnt lgkmcnt(0)
	; wave barrier
	s_and_saveexec_b64 s[8:9], vcc
	s_cbranch_execz .LBB105_808
; %bb.799:
	s_and_b64 vcc, exec, s[4:5]
	s_cbranch_vccnz .LBB105_801
; %bb.800:
	buffer_load_dword v87, v87, s[0:3], 0 offen
	ds_read_b32 v88, v86
	s_waitcnt vmcnt(0) lgkmcnt(0)
	v_mul_f32_e32 v87, v87, v88
	s_cbranch_execz .LBB105_802
	s_branch .LBB105_803
.LBB105_801:
                                        ; implicit-def: $vgpr87
.LBB105_802:
	ds_read_b32 v87, v86
.LBB105_803:
	s_and_saveexec_b64 s[4:5], s[6:7]
	s_cbranch_execz .LBB105_807
; %bb.804:
	s_mov_b32 s6, 0
	v_add_u32_e32 v86, 0xb4, v85
	v_add3_u32 v85, v85, s6, 4
	s_mov_b64 s[6:7], 0
.LBB105_805:                            ; =>This Inner Loop Header: Depth=1
	buffer_load_dword v88, v85, s[0:3], 0 offen
	ds_read_b32 v89, v86
	v_add_u32_e32 v0, 1, v0
	v_cmp_lt_u32_e32 vcc, 39, v0
	v_add_u32_e32 v86, 4, v86
	v_add_u32_e32 v85, 4, v85
	s_or_b64 s[6:7], vcc, s[6:7]
	s_waitcnt vmcnt(0) lgkmcnt(0)
	v_fmac_f32_e32 v87, v88, v89
	s_andn2_b64 exec, exec, s[6:7]
	s_cbranch_execnz .LBB105_805
; %bb.806:
	s_or_b64 exec, exec, s[6:7]
.LBB105_807:
	s_or_b64 exec, exec, s[4:5]
	v_mov_b32_e32 v0, 0
	ds_read_b32 v0, v0 offset:164
	s_waitcnt lgkmcnt(0)
	v_mul_f32_e32 v0, v87, v0
	buffer_store_dword v0, off, s[0:3], 0 offset:164
.LBB105_808:
	s_or_b64 exec, exec, s[8:9]
.LBB105_809:
	buffer_load_dword v0, off, s[0:3], 0
	s_waitcnt vmcnt(0)
	flat_store_dword v[1:2], v0
	buffer_load_dword v0, off, s[0:3], 0 offset:4
	s_waitcnt vmcnt(0)
	flat_store_dword v[3:4], v0
	buffer_load_dword v0, off, s[0:3], 0 offset:8
	;; [unrolled: 3-line block ×41, first 2 shown]
	s_waitcnt vmcnt(0)
	flat_store_dword v[83:84], v0
.LBB105_810:
	s_endpgm
	.section	.rodata,"a",@progbits
	.p2align	6, 0x0
	.amdhsa_kernel _ZN9rocsolver6v33100L18trti2_kernel_smallILi42EfPKPfEEv13rocblas_fill_17rocblas_diagonal_T1_iil
		.amdhsa_group_segment_fixed_size 344
		.amdhsa_private_segment_fixed_size 176
		.amdhsa_kernarg_size 32
		.amdhsa_user_sgpr_count 6
		.amdhsa_user_sgpr_private_segment_buffer 1
		.amdhsa_user_sgpr_dispatch_ptr 0
		.amdhsa_user_sgpr_queue_ptr 0
		.amdhsa_user_sgpr_kernarg_segment_ptr 1
		.amdhsa_user_sgpr_dispatch_id 0
		.amdhsa_user_sgpr_flat_scratch_init 0
		.amdhsa_user_sgpr_private_segment_size 0
		.amdhsa_uses_dynamic_stack 0
		.amdhsa_system_sgpr_private_segment_wavefront_offset 1
		.amdhsa_system_sgpr_workgroup_id_x 1
		.amdhsa_system_sgpr_workgroup_id_y 0
		.amdhsa_system_sgpr_workgroup_id_z 0
		.amdhsa_system_sgpr_workgroup_info 0
		.amdhsa_system_vgpr_workitem_id 0
		.amdhsa_next_free_vgpr 94
		.amdhsa_next_free_sgpr 55
		.amdhsa_reserve_vcc 1
		.amdhsa_reserve_flat_scratch 0
		.amdhsa_float_round_mode_32 0
		.amdhsa_float_round_mode_16_64 0
		.amdhsa_float_denorm_mode_32 3
		.amdhsa_float_denorm_mode_16_64 3
		.amdhsa_dx10_clamp 1
		.amdhsa_ieee_mode 1
		.amdhsa_fp16_overflow 0
		.amdhsa_exception_fp_ieee_invalid_op 0
		.amdhsa_exception_fp_denorm_src 0
		.amdhsa_exception_fp_ieee_div_zero 0
		.amdhsa_exception_fp_ieee_overflow 0
		.amdhsa_exception_fp_ieee_underflow 0
		.amdhsa_exception_fp_ieee_inexact 0
		.amdhsa_exception_int_div_zero 0
	.end_amdhsa_kernel
	.section	.text._ZN9rocsolver6v33100L18trti2_kernel_smallILi42EfPKPfEEv13rocblas_fill_17rocblas_diagonal_T1_iil,"axG",@progbits,_ZN9rocsolver6v33100L18trti2_kernel_smallILi42EfPKPfEEv13rocblas_fill_17rocblas_diagonal_T1_iil,comdat
.Lfunc_end105:
	.size	_ZN9rocsolver6v33100L18trti2_kernel_smallILi42EfPKPfEEv13rocblas_fill_17rocblas_diagonal_T1_iil, .Lfunc_end105-_ZN9rocsolver6v33100L18trti2_kernel_smallILi42EfPKPfEEv13rocblas_fill_17rocblas_diagonal_T1_iil
                                        ; -- End function
	.set _ZN9rocsolver6v33100L18trti2_kernel_smallILi42EfPKPfEEv13rocblas_fill_17rocblas_diagonal_T1_iil.num_vgpr, 94
	.set _ZN9rocsolver6v33100L18trti2_kernel_smallILi42EfPKPfEEv13rocblas_fill_17rocblas_diagonal_T1_iil.num_agpr, 0
	.set _ZN9rocsolver6v33100L18trti2_kernel_smallILi42EfPKPfEEv13rocblas_fill_17rocblas_diagonal_T1_iil.numbered_sgpr, 55
	.set _ZN9rocsolver6v33100L18trti2_kernel_smallILi42EfPKPfEEv13rocblas_fill_17rocblas_diagonal_T1_iil.num_named_barrier, 0
	.set _ZN9rocsolver6v33100L18trti2_kernel_smallILi42EfPKPfEEv13rocblas_fill_17rocblas_diagonal_T1_iil.private_seg_size, 176
	.set _ZN9rocsolver6v33100L18trti2_kernel_smallILi42EfPKPfEEv13rocblas_fill_17rocblas_diagonal_T1_iil.uses_vcc, 1
	.set _ZN9rocsolver6v33100L18trti2_kernel_smallILi42EfPKPfEEv13rocblas_fill_17rocblas_diagonal_T1_iil.uses_flat_scratch, 0
	.set _ZN9rocsolver6v33100L18trti2_kernel_smallILi42EfPKPfEEv13rocblas_fill_17rocblas_diagonal_T1_iil.has_dyn_sized_stack, 0
	.set _ZN9rocsolver6v33100L18trti2_kernel_smallILi42EfPKPfEEv13rocblas_fill_17rocblas_diagonal_T1_iil.has_recursion, 0
	.set _ZN9rocsolver6v33100L18trti2_kernel_smallILi42EfPKPfEEv13rocblas_fill_17rocblas_diagonal_T1_iil.has_indirect_call, 0
	.section	.AMDGPU.csdata,"",@progbits
; Kernel info:
; codeLenInByte = 20320
; TotalNumSgprs: 59
; NumVgprs: 94
; ScratchSize: 176
; MemoryBound: 0
; FloatMode: 240
; IeeeMode: 1
; LDSByteSize: 344 bytes/workgroup (compile time only)
; SGPRBlocks: 7
; VGPRBlocks: 23
; NumSGPRsForWavesPerEU: 59
; NumVGPRsForWavesPerEU: 94
; Occupancy: 2
; WaveLimiterHint : 1
; COMPUTE_PGM_RSRC2:SCRATCH_EN: 1
; COMPUTE_PGM_RSRC2:USER_SGPR: 6
; COMPUTE_PGM_RSRC2:TRAP_HANDLER: 0
; COMPUTE_PGM_RSRC2:TGID_X_EN: 1
; COMPUTE_PGM_RSRC2:TGID_Y_EN: 0
; COMPUTE_PGM_RSRC2:TGID_Z_EN: 0
; COMPUTE_PGM_RSRC2:TIDIG_COMP_CNT: 0
	.section	.text._ZN9rocsolver6v33100L18trti2_kernel_smallILi43EfPKPfEEv13rocblas_fill_17rocblas_diagonal_T1_iil,"axG",@progbits,_ZN9rocsolver6v33100L18trti2_kernel_smallILi43EfPKPfEEv13rocblas_fill_17rocblas_diagonal_T1_iil,comdat
	.globl	_ZN9rocsolver6v33100L18trti2_kernel_smallILi43EfPKPfEEv13rocblas_fill_17rocblas_diagonal_T1_iil ; -- Begin function _ZN9rocsolver6v33100L18trti2_kernel_smallILi43EfPKPfEEv13rocblas_fill_17rocblas_diagonal_T1_iil
	.p2align	8
	.type	_ZN9rocsolver6v33100L18trti2_kernel_smallILi43EfPKPfEEv13rocblas_fill_17rocblas_diagonal_T1_iil,@function
_ZN9rocsolver6v33100L18trti2_kernel_smallILi43EfPKPfEEv13rocblas_fill_17rocblas_diagonal_T1_iil: ; @_ZN9rocsolver6v33100L18trti2_kernel_smallILi43EfPKPfEEv13rocblas_fill_17rocblas_diagonal_T1_iil
; %bb.0:
	s_add_u32 s0, s0, s7
	s_addc_u32 s1, s1, 0
	v_cmp_gt_u32_e32 vcc, 43, v0
	s_and_saveexec_b64 s[8:9], vcc
	s_cbranch_execz .LBB106_830
; %bb.1:
	s_load_dwordx2 s[12:13], s[4:5], 0x10
	s_load_dwordx4 s[8:11], s[4:5], 0x0
	s_ashr_i32 s7, s6, 31
	s_lshl_b64 s[6:7], s[6:7], 3
	v_lshlrev_b32_e32 v87, 2, v0
	s_waitcnt lgkmcnt(0)
	s_ashr_i32 s5, s12, 31
	s_add_u32 s6, s10, s6
	s_addc_u32 s7, s11, s7
	s_load_dwordx2 s[6:7], s[6:7], 0x0
	s_mov_b32 s4, s12
	s_lshl_b64 s[4:5], s[4:5], 2
	s_movk_i32 s12, 0x84
	s_waitcnt lgkmcnt(0)
	s_add_u32 s4, s6, s4
	s_addc_u32 s5, s7, s5
	v_mov_b32_e32 v2, s5
	v_add_co_u32_e32 v1, vcc, s4, v87
	v_addc_co_u32_e32 v2, vcc, 0, v2, vcc
	flat_load_dword v5, v[1:2]
	s_mov_b32 s6, s13
	s_ashr_i32 s7, s13, 31
	s_lshl_b64 s[6:7], s[6:7], 2
	v_mov_b32_e32 v4, s7
	v_add_co_u32_e32 v3, vcc, s6, v1
	v_addc_co_u32_e32 v4, vcc, v2, v4, vcc
	s_add_i32 s6, s13, s13
	v_add_u32_e32 v7, s6, v0
	v_ashrrev_i32_e32 v8, 31, v7
	v_mov_b32_e32 v10, s5
	v_mov_b32_e32 v12, s5
	;; [unrolled: 1-line block ×40, first 2 shown]
	s_cmpk_lg_i32 s9, 0x84
	s_cselect_b64 s[10:11], -1, 0
	s_cmpk_eq_i32 s9, 0x84
	s_waitcnt vmcnt(0) lgkmcnt(0)
	buffer_store_dword v5, off, s[0:3], 0
	flat_load_dword v9, v[3:4]
	v_lshlrev_b64 v[5:6], 2, v[7:8]
	v_add_co_u32_e32 v5, vcc, s4, v5
	v_addc_co_u32_e32 v6, vcc, v10, v6, vcc
	s_waitcnt vmcnt(0) lgkmcnt(0)
	buffer_store_dword v9, off, s[0:3], 0 offset:4
	flat_load_dword v11, v[5:6]
	v_add_u32_e32 v9, s13, v7
	v_ashrrev_i32_e32 v10, 31, v9
	v_lshlrev_b64 v[7:8], 2, v[9:10]
	v_add_co_u32_e32 v7, vcc, s4, v7
	v_addc_co_u32_e32 v8, vcc, v12, v8, vcc
	s_waitcnt vmcnt(0) lgkmcnt(0)
	buffer_store_dword v11, off, s[0:3], 0 offset:8
	flat_load_dword v13, v[7:8]
	v_add_u32_e32 v11, s13, v9
	v_ashrrev_i32_e32 v12, 31, v11
	;; [unrolled: 8-line block ×39, first 2 shown]
	v_lshlrev_b64 v[83:84], 2, v[85:86]
	v_add_u32_e32 v85, s13, v85
	v_add_co_u32_e32 v83, vcc, s4, v83
	v_addc_co_u32_e32 v84, vcc, v89, v84, vcc
	v_ashrrev_i32_e32 v86, 31, v85
	v_lshlrev_b64 v[85:86], 2, v[85:86]
	v_add_co_u32_e32 v85, vcc, s4, v85
	v_addc_co_u32_e32 v86, vcc, v89, v86, vcc
	s_waitcnt vmcnt(0) lgkmcnt(0)
	buffer_store_dword v88, off, s[0:3], 0 offset:160
	flat_load_dword v88, v[83:84]
	s_waitcnt vmcnt(0) lgkmcnt(0)
	buffer_store_dword v88, off, s[0:3], 0 offset:164
	flat_load_dword v88, v[85:86]
	s_waitcnt vmcnt(0) lgkmcnt(0)
	buffer_store_dword v88, off, s[0:3], 0 offset:168
	v_mov_b32_e32 v88, -1.0
	s_cbranch_scc1 .LBB106_3
; %bb.2:
	v_mov_b32_e32 v88, 0
	v_lshl_add_u32 v88, v0, 2, v88
	buffer_load_dword v89, v88, s[0:3], 0 offen
	s_waitcnt vmcnt(0)
	v_div_scale_f32 v90, s[4:5], v89, v89, 1.0
	v_div_scale_f32 v91, vcc, 1.0, v89, 1.0
	v_rcp_f32_e32 v92, v90
	v_fma_f32 v93, -v90, v92, 1.0
	v_fmac_f32_e32 v92, v93, v92
	v_mul_f32_e32 v93, v91, v92
	v_fma_f32 v94, -v90, v93, v91
	v_fmac_f32_e32 v93, v94, v92
	v_fma_f32 v90, -v90, v93, v91
	v_div_fmas_f32 v90, v90, v92, v93
	v_div_fixup_f32 v89, v90, v89, 1.0
	buffer_store_dword v89, v88, s[0:3], 0 offen
	v_xor_b32_e32 v88, 0x80000000, v89
.LBB106_3:
	ds_write_b32 v87, v88
	s_cmpk_eq_i32 s8, 0x79
	v_add_u32_e32 v88, 0xb0, v87
	v_mov_b32_e32 v89, v87
	s_mov_b64 s[4:5], -1
	s_cbranch_scc1 .LBB106_417
; %bb.4:
	buffer_load_dword v90, off, s[0:3], 0 offset:164
	s_movk_i32 s30, 0x44
	s_movk_i32 s31, 0x48
	;; [unrolled: 1-line block ×23, first 2 shown]
	v_cmp_eq_u32_e64 s[4:5], 42, v0
	s_waitcnt vmcnt(0)
	ds_write_b32 v88, v90
	s_waitcnt lgkmcnt(0)
	; wave barrier
	s_and_saveexec_b64 s[6:7], s[4:5]
	s_cbranch_execz .LBB106_10
; %bb.5:
	s_and_b64 vcc, exec, s[10:11]
	s_cbranch_vccz .LBB106_7
; %bb.6:
	buffer_load_dword v90, v89, s[0:3], 0 offen
	ds_read_b32 v91, v88
	s_waitcnt vmcnt(0) lgkmcnt(0)
	v_mul_f32_e32 v90, v90, v91
	s_cbranch_execz .LBB106_8
	s_branch .LBB106_9
.LBB106_7:
                                        ; implicit-def: $vgpr90
.LBB106_8:
	ds_read_b32 v90, v88
.LBB106_9:
	v_mov_b32_e32 v91, 0
	ds_read_b32 v91, v91 offset:164
	s_waitcnt lgkmcnt(0)
	v_mul_f32_e32 v90, v90, v91
	buffer_store_dword v90, off, s[0:3], 0 offset:164
.LBB106_10:
	s_or_b64 exec, exec, s[6:7]
	buffer_load_dword v90, off, s[0:3], 0 offset:160
	s_or_b32 s14, 0, 4
	s_or_b32 s15, 0, 8
	;; [unrolled: 1-line block ×3, first 2 shown]
	s_mov_b32 s17, 16
	s_mov_b32 s18, 20
	;; [unrolled: 1-line block ×15, first 2 shown]
	v_cmp_lt_u32_e64 s[6:7], 40, v0
	s_waitcnt vmcnt(0)
	ds_write_b32 v88, v90
	s_waitcnt lgkmcnt(0)
	; wave barrier
	s_and_saveexec_b64 s[8:9], s[6:7]
	s_cbranch_execz .LBB106_16
; %bb.11:
	s_andn2_b64 vcc, exec, s[10:11]
	s_cbranch_vccnz .LBB106_13
; %bb.12:
	buffer_load_dword v90, v89, s[0:3], 0 offen
	ds_read_b32 v91, v88
	s_waitcnt vmcnt(0) lgkmcnt(0)
	v_mul_f32_e32 v90, v90, v91
	s_cbranch_execz .LBB106_14
	s_branch .LBB106_15
.LBB106_13:
                                        ; implicit-def: $vgpr90
.LBB106_14:
	ds_read_b32 v90, v88
.LBB106_15:
	buffer_load_dword v93, off, s[0:3], 0 offset:164
	v_mov_b32_e32 v91, 0
	ds_read2_b32 v[91:92], v91 offset0:40 offset1:85
	s_waitcnt vmcnt(0) lgkmcnt(0)
	v_fma_f32 v92, v93, v92, v90
	v_cndmask_b32_e64 v90, v90, v92, s[4:5]
	v_mul_f32_e32 v90, v90, v91
	buffer_store_dword v90, off, s[0:3], 0 offset:160
.LBB106_16:
	s_or_b64 exec, exec, s[8:9]
	buffer_load_dword v90, off, s[0:3], 0 offset:156
	v_cmp_lt_u32_e64 s[4:5], 39, v0
	s_waitcnt vmcnt(0)
	ds_write_b32 v88, v90
	s_waitcnt lgkmcnt(0)
	; wave barrier
	s_and_saveexec_b64 s[8:9], s[4:5]
	s_cbranch_execz .LBB106_26
; %bb.17:
	s_andn2_b64 vcc, exec, s[10:11]
	s_cbranch_vccnz .LBB106_19
; %bb.18:
	buffer_load_dword v90, v89, s[0:3], 0 offen
	ds_read_b32 v91, v88
	s_waitcnt vmcnt(0) lgkmcnt(0)
	v_mul_f32_e32 v90, v90, v91
	s_cbranch_execz .LBB106_20
	s_branch .LBB106_21
.LBB106_19:
                                        ; implicit-def: $vgpr90
.LBB106_20:
	ds_read_b32 v90, v88
.LBB106_21:
	s_and_saveexec_b64 s[12:13], s[6:7]
	s_cbranch_execz .LBB106_25
; %bb.22:
	v_subrev_u32_e32 v91, 40, v0
	s_movk_i32 s55, 0x150
	s_mov_b64 s[6:7], 0
.LBB106_23:                             ; =>This Inner Loop Header: Depth=1
	v_mov_b32_e32 v92, s54
	buffer_load_dword v92, v92, s[0:3], 0 offen
	v_mov_b32_e32 v93, s55
	ds_read_b32 v93, v93
	v_add_u32_e32 v91, -1, v91
	s_add_i32 s55, s55, 4
	s_add_i32 s54, s54, 4
	v_cmp_eq_u32_e32 vcc, 0, v91
	s_or_b64 s[6:7], vcc, s[6:7]
	s_waitcnt vmcnt(0) lgkmcnt(0)
	v_fmac_f32_e32 v90, v92, v93
	s_andn2_b64 exec, exec, s[6:7]
	s_cbranch_execnz .LBB106_23
; %bb.24:
	s_or_b64 exec, exec, s[6:7]
.LBB106_25:
	s_or_b64 exec, exec, s[12:13]
	v_mov_b32_e32 v91, 0
	ds_read_b32 v91, v91 offset:156
	s_waitcnt lgkmcnt(0)
	v_mul_f32_e32 v90, v90, v91
	buffer_store_dword v90, off, s[0:3], 0 offset:156
.LBB106_26:
	s_or_b64 exec, exec, s[8:9]
	buffer_load_dword v90, off, s[0:3], 0 offset:152
	v_cmp_lt_u32_e64 s[6:7], 38, v0
	s_waitcnt vmcnt(0)
	ds_write_b32 v88, v90
	s_waitcnt lgkmcnt(0)
	; wave barrier
	s_and_saveexec_b64 s[8:9], s[6:7]
	s_cbranch_execz .LBB106_36
; %bb.27:
	s_andn2_b64 vcc, exec, s[10:11]
	s_cbranch_vccnz .LBB106_29
; %bb.28:
	buffer_load_dword v90, v89, s[0:3], 0 offen
	ds_read_b32 v91, v88
	s_waitcnt vmcnt(0) lgkmcnt(0)
	v_mul_f32_e32 v90, v90, v91
	s_cbranch_execz .LBB106_30
	s_branch .LBB106_31
.LBB106_29:
                                        ; implicit-def: $vgpr90
.LBB106_30:
	ds_read_b32 v90, v88
.LBB106_31:
	s_and_saveexec_b64 s[12:13], s[4:5]
	s_cbranch_execz .LBB106_35
; %bb.32:
	v_subrev_u32_e32 v91, 39, v0
	s_movk_i32 s54, 0x14c
	s_mov_b64 s[4:5], 0
.LBB106_33:                             ; =>This Inner Loop Header: Depth=1
	v_mov_b32_e32 v92, s53
	buffer_load_dword v92, v92, s[0:3], 0 offen
	v_mov_b32_e32 v93, s54
	ds_read_b32 v93, v93
	v_add_u32_e32 v91, -1, v91
	s_add_i32 s54, s54, 4
	s_add_i32 s53, s53, 4
	v_cmp_eq_u32_e32 vcc, 0, v91
	s_or_b64 s[4:5], vcc, s[4:5]
	s_waitcnt vmcnt(0) lgkmcnt(0)
	v_fmac_f32_e32 v90, v92, v93
	s_andn2_b64 exec, exec, s[4:5]
	s_cbranch_execnz .LBB106_33
; %bb.34:
	s_or_b64 exec, exec, s[4:5]
.LBB106_35:
	s_or_b64 exec, exec, s[12:13]
	v_mov_b32_e32 v91, 0
	ds_read_b32 v91, v91 offset:152
	s_waitcnt lgkmcnt(0)
	v_mul_f32_e32 v90, v90, v91
	buffer_store_dword v90, off, s[0:3], 0 offset:152
.LBB106_36:
	;; [unrolled: 54-line block ×8, first 2 shown]
	s_or_b64 exec, exec, s[8:9]
	buffer_load_dword v90, off, s[0:3], 0 offset:124
	v_cmp_lt_u32_e64 s[4:5], 31, v0
	s_waitcnt vmcnt(0)
	ds_write_b32 v88, v90
	s_waitcnt lgkmcnt(0)
	; wave barrier
	s_and_saveexec_b64 s[8:9], s[4:5]
	s_cbranch_execz .LBB106_106
; %bb.97:
	s_andn2_b64 vcc, exec, s[10:11]
	s_cbranch_vccnz .LBB106_99
; %bb.98:
	buffer_load_dword v90, v89, s[0:3], 0 offen
	ds_read_b32 v91, v88
	s_waitcnt vmcnt(0) lgkmcnt(0)
	v_mul_f32_e32 v90, v90, v91
	s_cbranch_execz .LBB106_100
	s_branch .LBB106_101
.LBB106_99:
                                        ; implicit-def: $vgpr90
.LBB106_100:
	ds_read_b32 v90, v88
.LBB106_101:
	s_and_saveexec_b64 s[12:13], s[6:7]
	s_cbranch_execz .LBB106_105
; %bb.102:
	v_subrev_u32_e32 v91, 32, v0
	s_movk_i32 s47, 0x130
	s_mov_b64 s[6:7], 0
.LBB106_103:                            ; =>This Inner Loop Header: Depth=1
	v_mov_b32_e32 v92, s46
	buffer_load_dword v92, v92, s[0:3], 0 offen
	v_mov_b32_e32 v93, s47
	ds_read_b32 v93, v93
	v_add_u32_e32 v91, -1, v91
	s_add_i32 s47, s47, 4
	s_add_i32 s46, s46, 4
	v_cmp_eq_u32_e32 vcc, 0, v91
	s_or_b64 s[6:7], vcc, s[6:7]
	s_waitcnt vmcnt(0) lgkmcnt(0)
	v_fmac_f32_e32 v90, v92, v93
	s_andn2_b64 exec, exec, s[6:7]
	s_cbranch_execnz .LBB106_103
; %bb.104:
	s_or_b64 exec, exec, s[6:7]
.LBB106_105:
	s_or_b64 exec, exec, s[12:13]
	v_mov_b32_e32 v91, 0
	ds_read_b32 v91, v91 offset:124
	s_waitcnt lgkmcnt(0)
	v_mul_f32_e32 v90, v90, v91
	buffer_store_dword v90, off, s[0:3], 0 offset:124
.LBB106_106:
	s_or_b64 exec, exec, s[8:9]
	buffer_load_dword v90, off, s[0:3], 0 offset:120
	v_cmp_lt_u32_e64 s[6:7], 30, v0
	s_waitcnt vmcnt(0)
	ds_write_b32 v88, v90
	s_waitcnt lgkmcnt(0)
	; wave barrier
	s_and_saveexec_b64 s[8:9], s[6:7]
	s_cbranch_execz .LBB106_116
; %bb.107:
	s_andn2_b64 vcc, exec, s[10:11]
	s_cbranch_vccnz .LBB106_109
; %bb.108:
	buffer_load_dword v90, v89, s[0:3], 0 offen
	ds_read_b32 v91, v88
	s_waitcnt vmcnt(0) lgkmcnt(0)
	v_mul_f32_e32 v90, v90, v91
	s_cbranch_execz .LBB106_110
	s_branch .LBB106_111
.LBB106_109:
                                        ; implicit-def: $vgpr90
.LBB106_110:
	ds_read_b32 v90, v88
.LBB106_111:
	s_and_saveexec_b64 s[12:13], s[4:5]
	s_cbranch_execz .LBB106_115
; %bb.112:
	v_subrev_u32_e32 v91, 31, v0
	s_movk_i32 s46, 0x12c
	s_mov_b64 s[4:5], 0
.LBB106_113:                            ; =>This Inner Loop Header: Depth=1
	v_mov_b32_e32 v92, s45
	buffer_load_dword v92, v92, s[0:3], 0 offen
	v_mov_b32_e32 v93, s46
	ds_read_b32 v93, v93
	v_add_u32_e32 v91, -1, v91
	s_add_i32 s46, s46, 4
	s_add_i32 s45, s45, 4
	v_cmp_eq_u32_e32 vcc, 0, v91
	s_or_b64 s[4:5], vcc, s[4:5]
	s_waitcnt vmcnt(0) lgkmcnt(0)
	v_fmac_f32_e32 v90, v92, v93
	s_andn2_b64 exec, exec, s[4:5]
	s_cbranch_execnz .LBB106_113
; %bb.114:
	s_or_b64 exec, exec, s[4:5]
.LBB106_115:
	s_or_b64 exec, exec, s[12:13]
	v_mov_b32_e32 v91, 0
	ds_read_b32 v91, v91 offset:120
	s_waitcnt lgkmcnt(0)
	v_mul_f32_e32 v90, v90, v91
	buffer_store_dword v90, off, s[0:3], 0 offset:120
.LBB106_116:
	;; [unrolled: 54-line block ×16, first 2 shown]
	s_or_b64 exec, exec, s[8:9]
	buffer_load_dword v90, off, s[0:3], 0 offset:60
	v_cmp_lt_u32_e64 s[4:5], 15, v0
	s_waitcnt vmcnt(0)
	ds_write_b32 v88, v90
	s_waitcnt lgkmcnt(0)
	; wave barrier
	s_and_saveexec_b64 s[8:9], s[4:5]
	s_cbranch_execz .LBB106_266
; %bb.257:
	s_andn2_b64 vcc, exec, s[10:11]
	s_cbranch_vccnz .LBB106_259
; %bb.258:
	buffer_load_dword v90, v89, s[0:3], 0 offen
	ds_read_b32 v91, v88
	s_waitcnt vmcnt(0) lgkmcnt(0)
	v_mul_f32_e32 v90, v90, v91
	s_cbranch_execz .LBB106_260
	s_branch .LBB106_261
.LBB106_259:
                                        ; implicit-def: $vgpr90
.LBB106_260:
	ds_read_b32 v90, v88
.LBB106_261:
	s_and_saveexec_b64 s[12:13], s[6:7]
	s_cbranch_execz .LBB106_265
; %bb.262:
	v_add_u32_e32 v91, -16, v0
	s_movk_i32 s30, 0xf0
	s_mov_b64 s[6:7], 0
.LBB106_263:                            ; =>This Inner Loop Header: Depth=1
	v_mov_b32_e32 v92, s29
	buffer_load_dword v92, v92, s[0:3], 0 offen
	v_mov_b32_e32 v93, s30
	ds_read_b32 v93, v93
	v_add_u32_e32 v91, -1, v91
	s_add_i32 s30, s30, 4
	s_add_i32 s29, s29, 4
	v_cmp_eq_u32_e32 vcc, 0, v91
	s_or_b64 s[6:7], vcc, s[6:7]
	s_waitcnt vmcnt(0) lgkmcnt(0)
	v_fmac_f32_e32 v90, v92, v93
	s_andn2_b64 exec, exec, s[6:7]
	s_cbranch_execnz .LBB106_263
; %bb.264:
	s_or_b64 exec, exec, s[6:7]
.LBB106_265:
	s_or_b64 exec, exec, s[12:13]
	v_mov_b32_e32 v91, 0
	ds_read_b32 v91, v91 offset:60
	s_waitcnt lgkmcnt(0)
	v_mul_f32_e32 v90, v90, v91
	buffer_store_dword v90, off, s[0:3], 0 offset:60
.LBB106_266:
	s_or_b64 exec, exec, s[8:9]
	buffer_load_dword v90, off, s[0:3], 0 offset:56
	v_cmp_lt_u32_e64 s[6:7], 14, v0
	s_waitcnt vmcnt(0)
	ds_write_b32 v88, v90
	s_waitcnt lgkmcnt(0)
	; wave barrier
	s_and_saveexec_b64 s[8:9], s[6:7]
	s_cbranch_execz .LBB106_276
; %bb.267:
	s_andn2_b64 vcc, exec, s[10:11]
	s_cbranch_vccnz .LBB106_269
; %bb.268:
	buffer_load_dword v90, v89, s[0:3], 0 offen
	ds_read_b32 v91, v88
	s_waitcnt vmcnt(0) lgkmcnt(0)
	v_mul_f32_e32 v90, v90, v91
	s_cbranch_execz .LBB106_270
	s_branch .LBB106_271
.LBB106_269:
                                        ; implicit-def: $vgpr90
.LBB106_270:
	ds_read_b32 v90, v88
.LBB106_271:
	s_and_saveexec_b64 s[12:13], s[4:5]
	s_cbranch_execz .LBB106_275
; %bb.272:
	v_add_u32_e32 v91, -15, v0
	s_movk_i32 s29, 0xec
	s_mov_b64 s[4:5], 0
.LBB106_273:                            ; =>This Inner Loop Header: Depth=1
	v_mov_b32_e32 v92, s28
	buffer_load_dword v92, v92, s[0:3], 0 offen
	v_mov_b32_e32 v93, s29
	ds_read_b32 v93, v93
	v_add_u32_e32 v91, -1, v91
	s_add_i32 s29, s29, 4
	s_add_i32 s28, s28, 4
	v_cmp_eq_u32_e32 vcc, 0, v91
	s_or_b64 s[4:5], vcc, s[4:5]
	s_waitcnt vmcnt(0) lgkmcnt(0)
	v_fmac_f32_e32 v90, v92, v93
	s_andn2_b64 exec, exec, s[4:5]
	s_cbranch_execnz .LBB106_273
; %bb.274:
	s_or_b64 exec, exec, s[4:5]
.LBB106_275:
	s_or_b64 exec, exec, s[12:13]
	v_mov_b32_e32 v91, 0
	ds_read_b32 v91, v91 offset:56
	s_waitcnt lgkmcnt(0)
	v_mul_f32_e32 v90, v90, v91
	buffer_store_dword v90, off, s[0:3], 0 offset:56
.LBB106_276:
	;; [unrolled: 54-line block ×15, first 2 shown]
	s_or_b64 exec, exec, s[8:9]
	buffer_load_dword v90, off, s[0:3], 0
	v_cmp_ne_u32_e32 vcc, 0, v0
	s_waitcnt vmcnt(0)
	ds_write_b32 v88, v90
	s_waitcnt lgkmcnt(0)
	; wave barrier
	s_and_saveexec_b64 s[6:7], vcc
	s_cbranch_execz .LBB106_416
; %bb.407:
	s_andn2_b64 vcc, exec, s[10:11]
	s_cbranch_vccnz .LBB106_409
; %bb.408:
	buffer_load_dword v90, v89, s[0:3], 0 offen
	ds_read_b32 v91, v88
	s_waitcnt vmcnt(0) lgkmcnt(0)
	v_mul_f32_e32 v90, v90, v91
	s_cbranch_execz .LBB106_410
	s_branch .LBB106_411
.LBB106_409:
                                        ; implicit-def: $vgpr90
.LBB106_410:
	ds_read_b32 v90, v88
.LBB106_411:
	s_and_saveexec_b64 s[8:9], s[4:5]
	s_cbranch_execz .LBB106_415
; %bb.412:
	v_add_u32_e32 v91, -1, v0
	s_movk_i32 s12, 0xb4
	s_mov_b64 s[4:5], 0
.LBB106_413:                            ; =>This Inner Loop Header: Depth=1
	v_mov_b32_e32 v92, s14
	buffer_load_dword v92, v92, s[0:3], 0 offen
	v_mov_b32_e32 v93, s12
	ds_read_b32 v93, v93
	v_add_u32_e32 v91, -1, v91
	s_add_i32 s12, s12, 4
	s_add_i32 s14, s14, 4
	v_cmp_eq_u32_e32 vcc, 0, v91
	s_or_b64 s[4:5], vcc, s[4:5]
	s_waitcnt vmcnt(0) lgkmcnt(0)
	v_fmac_f32_e32 v90, v92, v93
	s_andn2_b64 exec, exec, s[4:5]
	s_cbranch_execnz .LBB106_413
; %bb.414:
	s_or_b64 exec, exec, s[4:5]
.LBB106_415:
	s_or_b64 exec, exec, s[8:9]
	v_mov_b32_e32 v91, 0
	ds_read_b32 v91, v91
	s_waitcnt lgkmcnt(0)
	v_mul_f32_e32 v90, v90, v91
	buffer_store_dword v90, off, s[0:3], 0
.LBB106_416:
	s_or_b64 exec, exec, s[6:7]
	s_mov_b64 s[4:5], 0
.LBB106_417:
	s_and_b64 vcc, exec, s[4:5]
	s_cbranch_vccz .LBB106_829
; %bb.418:
	buffer_load_dword v90, off, s[0:3], 0 offset:4
	v_cmp_eq_u32_e64 s[6:7], 0, v0
	s_waitcnt vmcnt(0)
	ds_write_b32 v88, v90
	s_waitcnt lgkmcnt(0)
	; wave barrier
	s_and_saveexec_b64 s[4:5], s[6:7]
	s_cbranch_execz .LBB106_424
; %bb.419:
	s_and_b64 vcc, exec, s[10:11]
	s_cbranch_vccz .LBB106_421
; %bb.420:
	buffer_load_dword v90, v89, s[0:3], 0 offen
	ds_read_b32 v91, v88
	s_waitcnt vmcnt(0) lgkmcnt(0)
	v_mul_f32_e32 v90, v90, v91
	s_cbranch_execz .LBB106_422
	s_branch .LBB106_423
.LBB106_421:
                                        ; implicit-def: $vgpr90
.LBB106_422:
	ds_read_b32 v90, v88
.LBB106_423:
	v_mov_b32_e32 v91, 0
	ds_read_b32 v91, v91 offset:4
	s_waitcnt lgkmcnt(0)
	v_mul_f32_e32 v90, v90, v91
	buffer_store_dword v90, off, s[0:3], 0 offset:4
.LBB106_424:
	s_or_b64 exec, exec, s[4:5]
	buffer_load_dword v90, off, s[0:3], 0 offset:8
	v_cndmask_b32_e64 v91, 0, 1, s[10:11]
	v_cmp_gt_u32_e32 vcc, 2, v0
	v_cmp_ne_u32_e64 s[4:5], 1, v91
	s_waitcnt vmcnt(0)
	ds_write_b32 v88, v90
	s_waitcnt lgkmcnt(0)
	; wave barrier
	s_and_saveexec_b64 s[8:9], vcc
	s_cbranch_execz .LBB106_430
; %bb.425:
	s_and_b64 vcc, exec, s[4:5]
	s_cbranch_vccnz .LBB106_427
; %bb.426:
	buffer_load_dword v90, v89, s[0:3], 0 offen
	ds_read_b32 v91, v88
	s_waitcnt vmcnt(0) lgkmcnt(0)
	v_mul_f32_e32 v90, v90, v91
	s_cbranch_execz .LBB106_428
	s_branch .LBB106_429
.LBB106_427:
                                        ; implicit-def: $vgpr90
.LBB106_428:
	ds_read_b32 v90, v88
.LBB106_429:
	buffer_load_dword v93, off, s[0:3], 0 offset:4
	v_mov_b32_e32 v91, 0
	ds_read2_b32 v[91:92], v91 offset0:2 offset1:45
	s_waitcnt vmcnt(0) lgkmcnt(0)
	v_fma_f32 v92, v93, v92, v90
	v_cndmask_b32_e64 v90, v90, v92, s[6:7]
	v_mul_f32_e32 v90, v90, v91
	buffer_store_dword v90, off, s[0:3], 0 offset:8
.LBB106_430:
	s_or_b64 exec, exec, s[8:9]
	buffer_load_dword v90, off, s[0:3], 0 offset:12
	v_cmp_gt_u32_e32 vcc, 3, v0
	s_waitcnt vmcnt(0)
	ds_write_b32 v88, v90
	s_waitcnt lgkmcnt(0)
	; wave barrier
	s_and_saveexec_b64 s[8:9], vcc
	s_cbranch_execz .LBB106_438
; %bb.431:
	s_and_b64 vcc, exec, s[4:5]
	s_cbranch_vccnz .LBB106_433
; %bb.432:
	buffer_load_dword v90, v89, s[0:3], 0 offen
	ds_read_b32 v91, v88
	s_waitcnt vmcnt(0) lgkmcnt(0)
	v_mul_f32_e32 v90, v90, v91
	s_cbranch_execz .LBB106_434
	s_branch .LBB106_435
.LBB106_433:
                                        ; implicit-def: $vgpr90
.LBB106_434:
	ds_read_b32 v90, v88
.LBB106_435:
	v_cmp_ne_u32_e32 vcc, 2, v0
	s_and_saveexec_b64 s[10:11], vcc
	s_cbranch_execz .LBB106_437
; %bb.436:
	buffer_load_dword v91, v89, s[0:3], 0 offen offset:4
	buffer_load_dword v92, off, s[0:3], 0 offset:8
	v_mov_b32_e32 v93, 0
	ds_read_b32 v94, v88 offset:4
	ds_read_b32 v93, v93 offset:184
	s_waitcnt vmcnt(1) lgkmcnt(1)
	v_fmac_f32_e32 v90, v91, v94
	s_waitcnt vmcnt(0) lgkmcnt(0)
	v_fma_f32 v91, v92, v93, v90
	v_cndmask_b32_e64 v90, v90, v91, s[6:7]
.LBB106_437:
	s_or_b64 exec, exec, s[10:11]
	v_mov_b32_e32 v91, 0
	ds_read_b32 v91, v91 offset:12
	s_waitcnt lgkmcnt(0)
	v_mul_f32_e32 v90, v90, v91
	buffer_store_dword v90, off, s[0:3], 0 offset:12
.LBB106_438:
	s_or_b64 exec, exec, s[8:9]
	buffer_load_dword v90, off, s[0:3], 0 offset:16
	v_cmp_gt_u32_e32 vcc, 4, v0
	s_waitcnt vmcnt(0)
	ds_write_b32 v88, v90
	s_waitcnt lgkmcnt(0)
	; wave barrier
	s_and_saveexec_b64 s[6:7], vcc
	s_cbranch_execz .LBB106_448
; %bb.439:
	s_and_b64 vcc, exec, s[4:5]
	s_cbranch_vccnz .LBB106_441
; %bb.440:
	buffer_load_dword v90, v89, s[0:3], 0 offen
	ds_read_b32 v91, v88
	s_waitcnt vmcnt(0) lgkmcnt(0)
	v_mul_f32_e32 v90, v90, v91
	s_cbranch_execz .LBB106_442
	s_branch .LBB106_443
.LBB106_441:
                                        ; implicit-def: $vgpr90
.LBB106_442:
	ds_read_b32 v90, v88
.LBB106_443:
	v_cmp_ne_u32_e32 vcc, 3, v0
	s_and_saveexec_b64 s[8:9], vcc
	s_cbranch_execz .LBB106_447
; %bb.444:
	s_mov_b32 s10, 0
	v_add_u32_e32 v91, 0xb4, v87
	v_add3_u32 v92, v87, s10, 4
	s_mov_b64 s[10:11], 0
	v_mov_b32_e32 v93, v0
.LBB106_445:                            ; =>This Inner Loop Header: Depth=1
	buffer_load_dword v94, v92, s[0:3], 0 offen
	ds_read_b32 v95, v91
	v_add_u32_e32 v93, 1, v93
	v_cmp_lt_u32_e32 vcc, 2, v93
	v_add_u32_e32 v91, 4, v91
	v_add_u32_e32 v92, 4, v92
	s_or_b64 s[10:11], vcc, s[10:11]
	s_waitcnt vmcnt(0) lgkmcnt(0)
	v_fmac_f32_e32 v90, v94, v95
	s_andn2_b64 exec, exec, s[10:11]
	s_cbranch_execnz .LBB106_445
; %bb.446:
	s_or_b64 exec, exec, s[10:11]
.LBB106_447:
	s_or_b64 exec, exec, s[8:9]
	v_mov_b32_e32 v91, 0
	ds_read_b32 v91, v91 offset:16
	s_waitcnt lgkmcnt(0)
	v_mul_f32_e32 v90, v90, v91
	buffer_store_dword v90, off, s[0:3], 0 offset:16
.LBB106_448:
	s_or_b64 exec, exec, s[6:7]
	buffer_load_dword v90, off, s[0:3], 0 offset:20
	v_cmp_gt_u32_e32 vcc, 5, v0
	s_waitcnt vmcnt(0)
	ds_write_b32 v88, v90
	s_waitcnt lgkmcnt(0)
	; wave barrier
	s_and_saveexec_b64 s[6:7], vcc
	s_cbranch_execz .LBB106_458
; %bb.449:
	s_and_b64 vcc, exec, s[4:5]
	s_cbranch_vccnz .LBB106_451
; %bb.450:
	buffer_load_dword v90, v89, s[0:3], 0 offen
	ds_read_b32 v91, v88
	s_waitcnt vmcnt(0) lgkmcnt(0)
	v_mul_f32_e32 v90, v90, v91
	s_cbranch_execz .LBB106_452
	s_branch .LBB106_453
.LBB106_451:
                                        ; implicit-def: $vgpr90
.LBB106_452:
	ds_read_b32 v90, v88
.LBB106_453:
	v_cmp_ne_u32_e32 vcc, 4, v0
	s_and_saveexec_b64 s[8:9], vcc
	s_cbranch_execz .LBB106_457
; %bb.454:
	s_mov_b32 s10, 0
	v_add_u32_e32 v91, 0xb4, v87
	v_add3_u32 v92, v87, s10, 4
	s_mov_b64 s[10:11], 0
	v_mov_b32_e32 v93, v0
.LBB106_455:                            ; =>This Inner Loop Header: Depth=1
	buffer_load_dword v94, v92, s[0:3], 0 offen
	ds_read_b32 v95, v91
	v_add_u32_e32 v93, 1, v93
	v_cmp_lt_u32_e32 vcc, 3, v93
	v_add_u32_e32 v91, 4, v91
	v_add_u32_e32 v92, 4, v92
	s_or_b64 s[10:11], vcc, s[10:11]
	s_waitcnt vmcnt(0) lgkmcnt(0)
	v_fmac_f32_e32 v90, v94, v95
	s_andn2_b64 exec, exec, s[10:11]
	s_cbranch_execnz .LBB106_455
; %bb.456:
	s_or_b64 exec, exec, s[10:11]
.LBB106_457:
	s_or_b64 exec, exec, s[8:9]
	v_mov_b32_e32 v91, 0
	ds_read_b32 v91, v91 offset:20
	s_waitcnt lgkmcnt(0)
	v_mul_f32_e32 v90, v90, v91
	buffer_store_dword v90, off, s[0:3], 0 offset:20
.LBB106_458:
	;; [unrolled: 55-line block ×37, first 2 shown]
	s_or_b64 exec, exec, s[6:7]
	buffer_load_dword v90, off, s[0:3], 0 offset:164
	v_cmp_gt_u32_e64 s[6:7], 41, v0
	s_waitcnt vmcnt(0)
	ds_write_b32 v88, v90
	s_waitcnt lgkmcnt(0)
	; wave barrier
	s_and_saveexec_b64 s[8:9], s[6:7]
	s_cbranch_execz .LBB106_818
; %bb.809:
	s_and_b64 vcc, exec, s[4:5]
	s_cbranch_vccnz .LBB106_811
; %bb.810:
	buffer_load_dword v90, v89, s[0:3], 0 offen
	ds_read_b32 v91, v88
	s_waitcnt vmcnt(0) lgkmcnt(0)
	v_mul_f32_e32 v90, v90, v91
	s_cbranch_execz .LBB106_812
	s_branch .LBB106_813
.LBB106_811:
                                        ; implicit-def: $vgpr90
.LBB106_812:
	ds_read_b32 v90, v88
.LBB106_813:
	v_cmp_ne_u32_e32 vcc, 40, v0
	s_and_saveexec_b64 s[10:11], vcc
	s_cbranch_execz .LBB106_817
; %bb.814:
	s_mov_b32 s12, 0
	v_add_u32_e32 v91, 0xb4, v87
	v_add3_u32 v92, v87, s12, 4
	s_mov_b64 s[12:13], 0
	v_mov_b32_e32 v93, v0
.LBB106_815:                            ; =>This Inner Loop Header: Depth=1
	buffer_load_dword v94, v92, s[0:3], 0 offen
	ds_read_b32 v95, v91
	v_add_u32_e32 v93, 1, v93
	v_cmp_lt_u32_e32 vcc, 39, v93
	v_add_u32_e32 v91, 4, v91
	v_add_u32_e32 v92, 4, v92
	s_or_b64 s[12:13], vcc, s[12:13]
	s_waitcnt vmcnt(0) lgkmcnt(0)
	v_fmac_f32_e32 v90, v94, v95
	s_andn2_b64 exec, exec, s[12:13]
	s_cbranch_execnz .LBB106_815
; %bb.816:
	s_or_b64 exec, exec, s[12:13]
.LBB106_817:
	s_or_b64 exec, exec, s[10:11]
	v_mov_b32_e32 v91, 0
	ds_read_b32 v91, v91 offset:164
	s_waitcnt lgkmcnt(0)
	v_mul_f32_e32 v90, v90, v91
	buffer_store_dword v90, off, s[0:3], 0 offset:164
.LBB106_818:
	s_or_b64 exec, exec, s[8:9]
	buffer_load_dword v90, off, s[0:3], 0 offset:168
	v_cmp_ne_u32_e32 vcc, 42, v0
	s_waitcnt vmcnt(0)
	ds_write_b32 v88, v90
	s_waitcnt lgkmcnt(0)
	; wave barrier
	s_and_saveexec_b64 s[8:9], vcc
	s_cbranch_execz .LBB106_828
; %bb.819:
	s_and_b64 vcc, exec, s[4:5]
	s_cbranch_vccnz .LBB106_821
; %bb.820:
	buffer_load_dword v89, v89, s[0:3], 0 offen
	ds_read_b32 v90, v88
	s_waitcnt vmcnt(0) lgkmcnt(0)
	v_mul_f32_e32 v89, v89, v90
	s_cbranch_execz .LBB106_822
	s_branch .LBB106_823
.LBB106_821:
                                        ; implicit-def: $vgpr89
.LBB106_822:
	ds_read_b32 v89, v88
.LBB106_823:
	s_and_saveexec_b64 s[4:5], s[6:7]
	s_cbranch_execz .LBB106_827
; %bb.824:
	s_mov_b32 s6, 0
	v_add_u32_e32 v88, 0xb4, v87
	v_add3_u32 v87, v87, s6, 4
	s_mov_b64 s[6:7], 0
.LBB106_825:                            ; =>This Inner Loop Header: Depth=1
	buffer_load_dword v90, v87, s[0:3], 0 offen
	ds_read_b32 v91, v88
	v_add_u32_e32 v0, 1, v0
	v_cmp_lt_u32_e32 vcc, 40, v0
	v_add_u32_e32 v88, 4, v88
	v_add_u32_e32 v87, 4, v87
	s_or_b64 s[6:7], vcc, s[6:7]
	s_waitcnt vmcnt(0) lgkmcnt(0)
	v_fmac_f32_e32 v89, v90, v91
	s_andn2_b64 exec, exec, s[6:7]
	s_cbranch_execnz .LBB106_825
; %bb.826:
	s_or_b64 exec, exec, s[6:7]
.LBB106_827:
	s_or_b64 exec, exec, s[4:5]
	v_mov_b32_e32 v0, 0
	ds_read_b32 v0, v0 offset:168
	s_waitcnt lgkmcnt(0)
	v_mul_f32_e32 v0, v89, v0
	buffer_store_dword v0, off, s[0:3], 0 offset:168
.LBB106_828:
	s_or_b64 exec, exec, s[8:9]
.LBB106_829:
	buffer_load_dword v0, off, s[0:3], 0
	s_waitcnt vmcnt(0)
	flat_store_dword v[1:2], v0
	buffer_load_dword v0, off, s[0:3], 0 offset:4
	s_waitcnt vmcnt(0)
	flat_store_dword v[3:4], v0
	buffer_load_dword v0, off, s[0:3], 0 offset:8
	;; [unrolled: 3-line block ×42, first 2 shown]
	s_waitcnt vmcnt(0)
	flat_store_dword v[85:86], v0
.LBB106_830:
	s_endpgm
	.section	.rodata,"a",@progbits
	.p2align	6, 0x0
	.amdhsa_kernel _ZN9rocsolver6v33100L18trti2_kernel_smallILi43EfPKPfEEv13rocblas_fill_17rocblas_diagonal_T1_iil
		.amdhsa_group_segment_fixed_size 348
		.amdhsa_private_segment_fixed_size 176
		.amdhsa_kernarg_size 32
		.amdhsa_user_sgpr_count 6
		.amdhsa_user_sgpr_private_segment_buffer 1
		.amdhsa_user_sgpr_dispatch_ptr 0
		.amdhsa_user_sgpr_queue_ptr 0
		.amdhsa_user_sgpr_kernarg_segment_ptr 1
		.amdhsa_user_sgpr_dispatch_id 0
		.amdhsa_user_sgpr_flat_scratch_init 0
		.amdhsa_user_sgpr_private_segment_size 0
		.amdhsa_uses_dynamic_stack 0
		.amdhsa_system_sgpr_private_segment_wavefront_offset 1
		.amdhsa_system_sgpr_workgroup_id_x 1
		.amdhsa_system_sgpr_workgroup_id_y 0
		.amdhsa_system_sgpr_workgroup_id_z 0
		.amdhsa_system_sgpr_workgroup_info 0
		.amdhsa_system_vgpr_workitem_id 0
		.amdhsa_next_free_vgpr 96
		.amdhsa_next_free_sgpr 56
		.amdhsa_reserve_vcc 1
		.amdhsa_reserve_flat_scratch 0
		.amdhsa_float_round_mode_32 0
		.amdhsa_float_round_mode_16_64 0
		.amdhsa_float_denorm_mode_32 3
		.amdhsa_float_denorm_mode_16_64 3
		.amdhsa_dx10_clamp 1
		.amdhsa_ieee_mode 1
		.amdhsa_fp16_overflow 0
		.amdhsa_exception_fp_ieee_invalid_op 0
		.amdhsa_exception_fp_denorm_src 0
		.amdhsa_exception_fp_ieee_div_zero 0
		.amdhsa_exception_fp_ieee_overflow 0
		.amdhsa_exception_fp_ieee_underflow 0
		.amdhsa_exception_fp_ieee_inexact 0
		.amdhsa_exception_int_div_zero 0
	.end_amdhsa_kernel
	.section	.text._ZN9rocsolver6v33100L18trti2_kernel_smallILi43EfPKPfEEv13rocblas_fill_17rocblas_diagonal_T1_iil,"axG",@progbits,_ZN9rocsolver6v33100L18trti2_kernel_smallILi43EfPKPfEEv13rocblas_fill_17rocblas_diagonal_T1_iil,comdat
.Lfunc_end106:
	.size	_ZN9rocsolver6v33100L18trti2_kernel_smallILi43EfPKPfEEv13rocblas_fill_17rocblas_diagonal_T1_iil, .Lfunc_end106-_ZN9rocsolver6v33100L18trti2_kernel_smallILi43EfPKPfEEv13rocblas_fill_17rocblas_diagonal_T1_iil
                                        ; -- End function
	.set _ZN9rocsolver6v33100L18trti2_kernel_smallILi43EfPKPfEEv13rocblas_fill_17rocblas_diagonal_T1_iil.num_vgpr, 96
	.set _ZN9rocsolver6v33100L18trti2_kernel_smallILi43EfPKPfEEv13rocblas_fill_17rocblas_diagonal_T1_iil.num_agpr, 0
	.set _ZN9rocsolver6v33100L18trti2_kernel_smallILi43EfPKPfEEv13rocblas_fill_17rocblas_diagonal_T1_iil.numbered_sgpr, 56
	.set _ZN9rocsolver6v33100L18trti2_kernel_smallILi43EfPKPfEEv13rocblas_fill_17rocblas_diagonal_T1_iil.num_named_barrier, 0
	.set _ZN9rocsolver6v33100L18trti2_kernel_smallILi43EfPKPfEEv13rocblas_fill_17rocblas_diagonal_T1_iil.private_seg_size, 176
	.set _ZN9rocsolver6v33100L18trti2_kernel_smallILi43EfPKPfEEv13rocblas_fill_17rocblas_diagonal_T1_iil.uses_vcc, 1
	.set _ZN9rocsolver6v33100L18trti2_kernel_smallILi43EfPKPfEEv13rocblas_fill_17rocblas_diagonal_T1_iil.uses_flat_scratch, 0
	.set _ZN9rocsolver6v33100L18trti2_kernel_smallILi43EfPKPfEEv13rocblas_fill_17rocblas_diagonal_T1_iil.has_dyn_sized_stack, 0
	.set _ZN9rocsolver6v33100L18trti2_kernel_smallILi43EfPKPfEEv13rocblas_fill_17rocblas_diagonal_T1_iil.has_recursion, 0
	.set _ZN9rocsolver6v33100L18trti2_kernel_smallILi43EfPKPfEEv13rocblas_fill_17rocblas_diagonal_T1_iil.has_indirect_call, 0
	.section	.AMDGPU.csdata,"",@progbits
; Kernel info:
; codeLenInByte = 20816
; TotalNumSgprs: 60
; NumVgprs: 96
; ScratchSize: 176
; MemoryBound: 0
; FloatMode: 240
; IeeeMode: 1
; LDSByteSize: 348 bytes/workgroup (compile time only)
; SGPRBlocks: 7
; VGPRBlocks: 23
; NumSGPRsForWavesPerEU: 60
; NumVGPRsForWavesPerEU: 96
; Occupancy: 2
; WaveLimiterHint : 1
; COMPUTE_PGM_RSRC2:SCRATCH_EN: 1
; COMPUTE_PGM_RSRC2:USER_SGPR: 6
; COMPUTE_PGM_RSRC2:TRAP_HANDLER: 0
; COMPUTE_PGM_RSRC2:TGID_X_EN: 1
; COMPUTE_PGM_RSRC2:TGID_Y_EN: 0
; COMPUTE_PGM_RSRC2:TGID_Z_EN: 0
; COMPUTE_PGM_RSRC2:TIDIG_COMP_CNT: 0
	.section	.text._ZN9rocsolver6v33100L18trti2_kernel_smallILi44EfPKPfEEv13rocblas_fill_17rocblas_diagonal_T1_iil,"axG",@progbits,_ZN9rocsolver6v33100L18trti2_kernel_smallILi44EfPKPfEEv13rocblas_fill_17rocblas_diagonal_T1_iil,comdat
	.globl	_ZN9rocsolver6v33100L18trti2_kernel_smallILi44EfPKPfEEv13rocblas_fill_17rocblas_diagonal_T1_iil ; -- Begin function _ZN9rocsolver6v33100L18trti2_kernel_smallILi44EfPKPfEEv13rocblas_fill_17rocblas_diagonal_T1_iil
	.p2align	8
	.type	_ZN9rocsolver6v33100L18trti2_kernel_smallILi44EfPKPfEEv13rocblas_fill_17rocblas_diagonal_T1_iil,@function
_ZN9rocsolver6v33100L18trti2_kernel_smallILi44EfPKPfEEv13rocblas_fill_17rocblas_diagonal_T1_iil: ; @_ZN9rocsolver6v33100L18trti2_kernel_smallILi44EfPKPfEEv13rocblas_fill_17rocblas_diagonal_T1_iil
; %bb.0:
	s_add_u32 s0, s0, s7
	s_addc_u32 s1, s1, 0
	v_cmp_gt_u32_e32 vcc, 44, v0
	s_and_saveexec_b64 s[8:9], vcc
	s_cbranch_execz .LBB107_850
; %bb.1:
	s_load_dwordx2 s[12:13], s[4:5], 0x10
	s_load_dwordx4 s[8:11], s[4:5], 0x0
	s_ashr_i32 s7, s6, 31
	s_lshl_b64 s[6:7], s[6:7], 3
	v_lshlrev_b32_e32 v89, 2, v0
	s_waitcnt lgkmcnt(0)
	s_ashr_i32 s5, s12, 31
	s_add_u32 s6, s10, s6
	s_addc_u32 s7, s11, s7
	s_load_dwordx2 s[6:7], s[6:7], 0x0
	s_mov_b32 s4, s12
	s_lshl_b64 s[4:5], s[4:5], 2
	s_movk_i32 s12, 0x84
	s_waitcnt lgkmcnt(0)
	s_add_u32 s4, s6, s4
	s_addc_u32 s5, s7, s5
	v_mov_b32_e32 v2, s5
	v_add_co_u32_e32 v1, vcc, s4, v89
	v_addc_co_u32_e32 v2, vcc, 0, v2, vcc
	flat_load_dword v5, v[1:2]
	s_mov_b32 s6, s13
	s_ashr_i32 s7, s13, 31
	s_lshl_b64 s[6:7], s[6:7], 2
	v_mov_b32_e32 v4, s7
	v_add_co_u32_e32 v3, vcc, s6, v1
	v_addc_co_u32_e32 v4, vcc, v2, v4, vcc
	s_add_i32 s6, s13, s13
	v_add_u32_e32 v7, s6, v0
	v_ashrrev_i32_e32 v8, 31, v7
	v_mov_b32_e32 v10, s5
	v_mov_b32_e32 v12, s5
	;; [unrolled: 1-line block ×41, first 2 shown]
	s_cmpk_lg_i32 s9, 0x84
	s_cselect_b64 s[10:11], -1, 0
	s_cmpk_eq_i32 s9, 0x84
	s_waitcnt vmcnt(0) lgkmcnt(0)
	buffer_store_dword v5, off, s[0:3], 0
	flat_load_dword v9, v[3:4]
	v_lshlrev_b64 v[5:6], 2, v[7:8]
	v_add_co_u32_e32 v5, vcc, s4, v5
	v_addc_co_u32_e32 v6, vcc, v10, v6, vcc
	s_waitcnt vmcnt(0) lgkmcnt(0)
	buffer_store_dword v9, off, s[0:3], 0 offset:4
	flat_load_dword v11, v[5:6]
	v_add_u32_e32 v9, s13, v7
	v_ashrrev_i32_e32 v10, 31, v9
	v_lshlrev_b64 v[7:8], 2, v[9:10]
	v_add_co_u32_e32 v7, vcc, s4, v7
	v_addc_co_u32_e32 v8, vcc, v12, v8, vcc
	s_waitcnt vmcnt(0) lgkmcnt(0)
	buffer_store_dword v11, off, s[0:3], 0 offset:8
	flat_load_dword v13, v[7:8]
	v_add_u32_e32 v11, s13, v9
	v_ashrrev_i32_e32 v12, 31, v11
	;; [unrolled: 8-line block ×40, first 2 shown]
	v_lshlrev_b64 v[85:86], 2, v[87:88]
	v_add_u32_e32 v87, s13, v87
	v_add_co_u32_e32 v85, vcc, s4, v85
	v_addc_co_u32_e32 v86, vcc, v91, v86, vcc
	v_ashrrev_i32_e32 v88, 31, v87
	v_lshlrev_b64 v[87:88], 2, v[87:88]
	v_add_co_u32_e32 v87, vcc, s4, v87
	v_addc_co_u32_e32 v88, vcc, v91, v88, vcc
	s_waitcnt vmcnt(0) lgkmcnt(0)
	buffer_store_dword v90, off, s[0:3], 0 offset:164
	flat_load_dword v90, v[85:86]
	s_waitcnt vmcnt(0) lgkmcnt(0)
	buffer_store_dword v90, off, s[0:3], 0 offset:168
	flat_load_dword v90, v[87:88]
	s_waitcnt vmcnt(0) lgkmcnt(0)
	buffer_store_dword v90, off, s[0:3], 0 offset:172
	v_mov_b32_e32 v90, -1.0
	s_cbranch_scc1 .LBB107_3
; %bb.2:
	v_mov_b32_e32 v90, 0
	v_lshl_add_u32 v90, v0, 2, v90
	buffer_load_dword v91, v90, s[0:3], 0 offen
	s_waitcnt vmcnt(0)
	v_div_scale_f32 v92, s[4:5], v91, v91, 1.0
	v_div_scale_f32 v93, vcc, 1.0, v91, 1.0
	v_rcp_f32_e32 v94, v92
	v_fma_f32 v95, -v92, v94, 1.0
	v_fmac_f32_e32 v94, v95, v94
	v_mul_f32_e32 v95, v93, v94
	v_fma_f32 v96, -v92, v95, v93
	v_fmac_f32_e32 v95, v96, v94
	v_fma_f32 v92, -v92, v95, v93
	v_div_fmas_f32 v92, v92, v94, v95
	v_div_fixup_f32 v91, v92, v91, 1.0
	buffer_store_dword v91, v90, s[0:3], 0 offen
	v_xor_b32_e32 v90, 0x80000000, v91
.LBB107_3:
	ds_write_b32 v89, v90
	s_cmpk_eq_i32 s8, 0x79
	v_add_u32_e32 v90, 0xb0, v89
	v_mov_b32_e32 v91, v89
	s_mov_b64 s[4:5], -1
	s_cbranch_scc1 .LBB107_427
; %bb.4:
	buffer_load_dword v92, off, s[0:3], 0 offset:168
	s_movk_i32 s30, 0x44
	s_movk_i32 s31, 0x48
	;; [unrolled: 1-line block ×24, first 2 shown]
	v_cmp_eq_u32_e64 s[4:5], 43, v0
	s_waitcnt vmcnt(0)
	ds_write_b32 v90, v92
	s_waitcnt lgkmcnt(0)
	; wave barrier
	s_and_saveexec_b64 s[6:7], s[4:5]
	s_cbranch_execz .LBB107_10
; %bb.5:
	s_and_b64 vcc, exec, s[10:11]
	s_cbranch_vccz .LBB107_7
; %bb.6:
	buffer_load_dword v92, v91, s[0:3], 0 offen
	ds_read_b32 v93, v90
	s_waitcnt vmcnt(0) lgkmcnt(0)
	v_mul_f32_e32 v92, v92, v93
	s_cbranch_execz .LBB107_8
	s_branch .LBB107_9
.LBB107_7:
                                        ; implicit-def: $vgpr92
.LBB107_8:
	ds_read_b32 v92, v90
.LBB107_9:
	v_mov_b32_e32 v93, 0
	ds_read_b32 v93, v93 offset:168
	s_waitcnt lgkmcnt(0)
	v_mul_f32_e32 v92, v92, v93
	buffer_store_dword v92, off, s[0:3], 0 offset:168
.LBB107_10:
	s_or_b64 exec, exec, s[6:7]
	buffer_load_dword v92, off, s[0:3], 0 offset:164
	s_or_b32 s14, 0, 4
	s_or_b32 s15, 0, 8
	;; [unrolled: 1-line block ×3, first 2 shown]
	s_mov_b32 s17, 16
	s_mov_b32 s18, 20
	;; [unrolled: 1-line block ×15, first 2 shown]
	v_cmp_lt_u32_e64 s[6:7], 41, v0
	s_waitcnt vmcnt(0)
	ds_write_b32 v90, v92
	s_waitcnt lgkmcnt(0)
	; wave barrier
	s_and_saveexec_b64 s[8:9], s[6:7]
	s_cbranch_execz .LBB107_16
; %bb.11:
	s_andn2_b64 vcc, exec, s[10:11]
	s_cbranch_vccnz .LBB107_13
; %bb.12:
	buffer_load_dword v92, v91, s[0:3], 0 offen
	ds_read_b32 v93, v90
	s_waitcnt vmcnt(0) lgkmcnt(0)
	v_mul_f32_e32 v92, v92, v93
	s_cbranch_execz .LBB107_14
	s_branch .LBB107_15
.LBB107_13:
                                        ; implicit-def: $vgpr92
.LBB107_14:
	ds_read_b32 v92, v90
.LBB107_15:
	buffer_load_dword v95, off, s[0:3], 0 offset:168
	v_mov_b32_e32 v93, 0
	ds_read2_b32 v[93:94], v93 offset0:41 offset1:86
	s_waitcnt vmcnt(0) lgkmcnt(0)
	v_fma_f32 v94, v95, v94, v92
	v_cndmask_b32_e64 v92, v92, v94, s[4:5]
	v_mul_f32_e32 v92, v92, v93
	buffer_store_dword v92, off, s[0:3], 0 offset:164
.LBB107_16:
	s_or_b64 exec, exec, s[8:9]
	buffer_load_dword v92, off, s[0:3], 0 offset:160
	v_cmp_lt_u32_e64 s[4:5], 40, v0
	s_waitcnt vmcnt(0)
	ds_write_b32 v90, v92
	s_waitcnt lgkmcnt(0)
	; wave barrier
	s_and_saveexec_b64 s[8:9], s[4:5]
	s_cbranch_execz .LBB107_26
; %bb.17:
	s_andn2_b64 vcc, exec, s[10:11]
	s_cbranch_vccnz .LBB107_19
; %bb.18:
	buffer_load_dword v92, v91, s[0:3], 0 offen
	ds_read_b32 v93, v90
	s_waitcnt vmcnt(0) lgkmcnt(0)
	v_mul_f32_e32 v92, v92, v93
	s_cbranch_execz .LBB107_20
	s_branch .LBB107_21
.LBB107_19:
                                        ; implicit-def: $vgpr92
.LBB107_20:
	ds_read_b32 v92, v90
.LBB107_21:
	s_and_saveexec_b64 s[12:13], s[6:7]
	s_cbranch_execz .LBB107_25
; %bb.22:
	v_subrev_u32_e32 v93, 41, v0
	s_movk_i32 s56, 0x154
	s_mov_b64 s[6:7], 0
.LBB107_23:                             ; =>This Inner Loop Header: Depth=1
	v_mov_b32_e32 v94, s55
	buffer_load_dword v94, v94, s[0:3], 0 offen
	v_mov_b32_e32 v95, s56
	ds_read_b32 v95, v95
	v_add_u32_e32 v93, -1, v93
	s_add_i32 s56, s56, 4
	s_add_i32 s55, s55, 4
	v_cmp_eq_u32_e32 vcc, 0, v93
	s_or_b64 s[6:7], vcc, s[6:7]
	s_waitcnt vmcnt(0) lgkmcnt(0)
	v_fmac_f32_e32 v92, v94, v95
	s_andn2_b64 exec, exec, s[6:7]
	s_cbranch_execnz .LBB107_23
; %bb.24:
	s_or_b64 exec, exec, s[6:7]
.LBB107_25:
	s_or_b64 exec, exec, s[12:13]
	v_mov_b32_e32 v93, 0
	ds_read_b32 v93, v93 offset:160
	s_waitcnt lgkmcnt(0)
	v_mul_f32_e32 v92, v92, v93
	buffer_store_dword v92, off, s[0:3], 0 offset:160
.LBB107_26:
	s_or_b64 exec, exec, s[8:9]
	buffer_load_dword v92, off, s[0:3], 0 offset:156
	v_cmp_lt_u32_e64 s[6:7], 39, v0
	s_waitcnt vmcnt(0)
	ds_write_b32 v90, v92
	s_waitcnt lgkmcnt(0)
	; wave barrier
	s_and_saveexec_b64 s[8:9], s[6:7]
	s_cbranch_execz .LBB107_36
; %bb.27:
	s_andn2_b64 vcc, exec, s[10:11]
	s_cbranch_vccnz .LBB107_29
; %bb.28:
	buffer_load_dword v92, v91, s[0:3], 0 offen
	ds_read_b32 v93, v90
	s_waitcnt vmcnt(0) lgkmcnt(0)
	v_mul_f32_e32 v92, v92, v93
	s_cbranch_execz .LBB107_30
	s_branch .LBB107_31
.LBB107_29:
                                        ; implicit-def: $vgpr92
.LBB107_30:
	ds_read_b32 v92, v90
.LBB107_31:
	s_and_saveexec_b64 s[12:13], s[4:5]
	s_cbranch_execz .LBB107_35
; %bb.32:
	v_subrev_u32_e32 v93, 40, v0
	s_movk_i32 s55, 0x150
	s_mov_b64 s[4:5], 0
.LBB107_33:                             ; =>This Inner Loop Header: Depth=1
	v_mov_b32_e32 v94, s54
	buffer_load_dword v94, v94, s[0:3], 0 offen
	v_mov_b32_e32 v95, s55
	ds_read_b32 v95, v95
	v_add_u32_e32 v93, -1, v93
	s_add_i32 s55, s55, 4
	s_add_i32 s54, s54, 4
	v_cmp_eq_u32_e32 vcc, 0, v93
	s_or_b64 s[4:5], vcc, s[4:5]
	s_waitcnt vmcnt(0) lgkmcnt(0)
	v_fmac_f32_e32 v92, v94, v95
	s_andn2_b64 exec, exec, s[4:5]
	s_cbranch_execnz .LBB107_33
; %bb.34:
	s_or_b64 exec, exec, s[4:5]
.LBB107_35:
	s_or_b64 exec, exec, s[12:13]
	v_mov_b32_e32 v93, 0
	ds_read_b32 v93, v93 offset:156
	s_waitcnt lgkmcnt(0)
	v_mul_f32_e32 v92, v92, v93
	buffer_store_dword v92, off, s[0:3], 0 offset:156
.LBB107_36:
	;; [unrolled: 54-line block ×8, first 2 shown]
	s_or_b64 exec, exec, s[8:9]
	buffer_load_dword v92, off, s[0:3], 0 offset:128
	v_cmp_lt_u32_e64 s[4:5], 32, v0
	s_waitcnt vmcnt(0)
	ds_write_b32 v90, v92
	s_waitcnt lgkmcnt(0)
	; wave barrier
	s_and_saveexec_b64 s[8:9], s[4:5]
	s_cbranch_execz .LBB107_106
; %bb.97:
	s_andn2_b64 vcc, exec, s[10:11]
	s_cbranch_vccnz .LBB107_99
; %bb.98:
	buffer_load_dword v92, v91, s[0:3], 0 offen
	ds_read_b32 v93, v90
	s_waitcnt vmcnt(0) lgkmcnt(0)
	v_mul_f32_e32 v92, v92, v93
	s_cbranch_execz .LBB107_100
	s_branch .LBB107_101
.LBB107_99:
                                        ; implicit-def: $vgpr92
.LBB107_100:
	ds_read_b32 v92, v90
.LBB107_101:
	s_and_saveexec_b64 s[12:13], s[6:7]
	s_cbranch_execz .LBB107_105
; %bb.102:
	v_subrev_u32_e32 v93, 33, v0
	s_movk_i32 s48, 0x134
	s_mov_b64 s[6:7], 0
.LBB107_103:                            ; =>This Inner Loop Header: Depth=1
	v_mov_b32_e32 v94, s47
	buffer_load_dword v94, v94, s[0:3], 0 offen
	v_mov_b32_e32 v95, s48
	ds_read_b32 v95, v95
	v_add_u32_e32 v93, -1, v93
	s_add_i32 s48, s48, 4
	s_add_i32 s47, s47, 4
	v_cmp_eq_u32_e32 vcc, 0, v93
	s_or_b64 s[6:7], vcc, s[6:7]
	s_waitcnt vmcnt(0) lgkmcnt(0)
	v_fmac_f32_e32 v92, v94, v95
	s_andn2_b64 exec, exec, s[6:7]
	s_cbranch_execnz .LBB107_103
; %bb.104:
	s_or_b64 exec, exec, s[6:7]
.LBB107_105:
	s_or_b64 exec, exec, s[12:13]
	v_mov_b32_e32 v93, 0
	ds_read_b32 v93, v93 offset:128
	s_waitcnt lgkmcnt(0)
	v_mul_f32_e32 v92, v92, v93
	buffer_store_dword v92, off, s[0:3], 0 offset:128
.LBB107_106:
	s_or_b64 exec, exec, s[8:9]
	buffer_load_dword v92, off, s[0:3], 0 offset:124
	v_cmp_lt_u32_e64 s[6:7], 31, v0
	s_waitcnt vmcnt(0)
	ds_write_b32 v90, v92
	s_waitcnt lgkmcnt(0)
	; wave barrier
	s_and_saveexec_b64 s[8:9], s[6:7]
	s_cbranch_execz .LBB107_116
; %bb.107:
	s_andn2_b64 vcc, exec, s[10:11]
	s_cbranch_vccnz .LBB107_109
; %bb.108:
	buffer_load_dword v92, v91, s[0:3], 0 offen
	ds_read_b32 v93, v90
	s_waitcnt vmcnt(0) lgkmcnt(0)
	v_mul_f32_e32 v92, v92, v93
	s_cbranch_execz .LBB107_110
	s_branch .LBB107_111
.LBB107_109:
                                        ; implicit-def: $vgpr92
.LBB107_110:
	ds_read_b32 v92, v90
.LBB107_111:
	s_and_saveexec_b64 s[12:13], s[4:5]
	s_cbranch_execz .LBB107_115
; %bb.112:
	v_subrev_u32_e32 v93, 32, v0
	s_movk_i32 s47, 0x130
	s_mov_b64 s[4:5], 0
.LBB107_113:                            ; =>This Inner Loop Header: Depth=1
	v_mov_b32_e32 v94, s46
	buffer_load_dword v94, v94, s[0:3], 0 offen
	v_mov_b32_e32 v95, s47
	ds_read_b32 v95, v95
	v_add_u32_e32 v93, -1, v93
	s_add_i32 s47, s47, 4
	s_add_i32 s46, s46, 4
	v_cmp_eq_u32_e32 vcc, 0, v93
	s_or_b64 s[4:5], vcc, s[4:5]
	s_waitcnt vmcnt(0) lgkmcnt(0)
	v_fmac_f32_e32 v92, v94, v95
	s_andn2_b64 exec, exec, s[4:5]
	s_cbranch_execnz .LBB107_113
; %bb.114:
	s_or_b64 exec, exec, s[4:5]
.LBB107_115:
	s_or_b64 exec, exec, s[12:13]
	v_mov_b32_e32 v93, 0
	ds_read_b32 v93, v93 offset:124
	s_waitcnt lgkmcnt(0)
	v_mul_f32_e32 v92, v92, v93
	buffer_store_dword v92, off, s[0:3], 0 offset:124
.LBB107_116:
	;; [unrolled: 54-line block ×17, first 2 shown]
	s_or_b64 exec, exec, s[8:9]
	buffer_load_dword v92, off, s[0:3], 0 offset:60
	v_cmp_lt_u32_e64 s[6:7], 15, v0
	s_waitcnt vmcnt(0)
	ds_write_b32 v90, v92
	s_waitcnt lgkmcnt(0)
	; wave barrier
	s_and_saveexec_b64 s[8:9], s[6:7]
	s_cbranch_execz .LBB107_276
; %bb.267:
	s_andn2_b64 vcc, exec, s[10:11]
	s_cbranch_vccnz .LBB107_269
; %bb.268:
	buffer_load_dword v92, v91, s[0:3], 0 offen
	ds_read_b32 v93, v90
	s_waitcnt vmcnt(0) lgkmcnt(0)
	v_mul_f32_e32 v92, v92, v93
	s_cbranch_execz .LBB107_270
	s_branch .LBB107_271
.LBB107_269:
                                        ; implicit-def: $vgpr92
.LBB107_270:
	ds_read_b32 v92, v90
.LBB107_271:
	s_and_saveexec_b64 s[12:13], s[4:5]
	s_cbranch_execz .LBB107_275
; %bb.272:
	v_add_u32_e32 v93, -16, v0
	s_movk_i32 s30, 0xf0
	s_mov_b64 s[4:5], 0
.LBB107_273:                            ; =>This Inner Loop Header: Depth=1
	v_mov_b32_e32 v94, s29
	buffer_load_dword v94, v94, s[0:3], 0 offen
	v_mov_b32_e32 v95, s30
	ds_read_b32 v95, v95
	v_add_u32_e32 v93, -1, v93
	s_add_i32 s30, s30, 4
	s_add_i32 s29, s29, 4
	v_cmp_eq_u32_e32 vcc, 0, v93
	s_or_b64 s[4:5], vcc, s[4:5]
	s_waitcnt vmcnt(0) lgkmcnt(0)
	v_fmac_f32_e32 v92, v94, v95
	s_andn2_b64 exec, exec, s[4:5]
	s_cbranch_execnz .LBB107_273
; %bb.274:
	s_or_b64 exec, exec, s[4:5]
.LBB107_275:
	s_or_b64 exec, exec, s[12:13]
	v_mov_b32_e32 v93, 0
	ds_read_b32 v93, v93 offset:60
	s_waitcnt lgkmcnt(0)
	v_mul_f32_e32 v92, v92, v93
	buffer_store_dword v92, off, s[0:3], 0 offset:60
.LBB107_276:
	s_or_b64 exec, exec, s[8:9]
	buffer_load_dword v92, off, s[0:3], 0 offset:56
	v_cmp_lt_u32_e64 s[4:5], 14, v0
	s_waitcnt vmcnt(0)
	ds_write_b32 v90, v92
	s_waitcnt lgkmcnt(0)
	; wave barrier
	s_and_saveexec_b64 s[8:9], s[4:5]
	s_cbranch_execz .LBB107_286
; %bb.277:
	s_andn2_b64 vcc, exec, s[10:11]
	s_cbranch_vccnz .LBB107_279
; %bb.278:
	buffer_load_dword v92, v91, s[0:3], 0 offen
	ds_read_b32 v93, v90
	s_waitcnt vmcnt(0) lgkmcnt(0)
	v_mul_f32_e32 v92, v92, v93
	s_cbranch_execz .LBB107_280
	s_branch .LBB107_281
.LBB107_279:
                                        ; implicit-def: $vgpr92
.LBB107_280:
	ds_read_b32 v92, v90
.LBB107_281:
	s_and_saveexec_b64 s[12:13], s[6:7]
	s_cbranch_execz .LBB107_285
; %bb.282:
	v_add_u32_e32 v93, -15, v0
	s_movk_i32 s29, 0xec
	s_mov_b64 s[6:7], 0
.LBB107_283:                            ; =>This Inner Loop Header: Depth=1
	v_mov_b32_e32 v94, s28
	buffer_load_dword v94, v94, s[0:3], 0 offen
	v_mov_b32_e32 v95, s29
	ds_read_b32 v95, v95
	v_add_u32_e32 v93, -1, v93
	s_add_i32 s29, s29, 4
	s_add_i32 s28, s28, 4
	v_cmp_eq_u32_e32 vcc, 0, v93
	s_or_b64 s[6:7], vcc, s[6:7]
	s_waitcnt vmcnt(0) lgkmcnt(0)
	v_fmac_f32_e32 v92, v94, v95
	s_andn2_b64 exec, exec, s[6:7]
	s_cbranch_execnz .LBB107_283
; %bb.284:
	s_or_b64 exec, exec, s[6:7]
.LBB107_285:
	s_or_b64 exec, exec, s[12:13]
	v_mov_b32_e32 v93, 0
	ds_read_b32 v93, v93 offset:56
	s_waitcnt lgkmcnt(0)
	v_mul_f32_e32 v92, v92, v93
	buffer_store_dword v92, off, s[0:3], 0 offset:56
.LBB107_286:
	;; [unrolled: 54-line block ×15, first 2 shown]
	s_or_b64 exec, exec, s[8:9]
	buffer_load_dword v92, off, s[0:3], 0
	v_cmp_ne_u32_e32 vcc, 0, v0
	s_waitcnt vmcnt(0)
	ds_write_b32 v90, v92
	s_waitcnt lgkmcnt(0)
	; wave barrier
	s_and_saveexec_b64 s[4:5], vcc
	s_cbranch_execz .LBB107_426
; %bb.417:
	s_andn2_b64 vcc, exec, s[10:11]
	s_cbranch_vccnz .LBB107_419
; %bb.418:
	buffer_load_dword v92, v91, s[0:3], 0 offen
	ds_read_b32 v93, v90
	s_waitcnt vmcnt(0) lgkmcnt(0)
	v_mul_f32_e32 v92, v92, v93
	s_cbranch_execz .LBB107_420
	s_branch .LBB107_421
.LBB107_419:
                                        ; implicit-def: $vgpr92
.LBB107_420:
	ds_read_b32 v92, v90
.LBB107_421:
	s_and_saveexec_b64 s[8:9], s[6:7]
	s_cbranch_execz .LBB107_425
; %bb.422:
	v_add_u32_e32 v93, -1, v0
	s_movk_i32 s12, 0xb4
	s_mov_b64 s[6:7], 0
.LBB107_423:                            ; =>This Inner Loop Header: Depth=1
	v_mov_b32_e32 v94, s14
	buffer_load_dword v94, v94, s[0:3], 0 offen
	v_mov_b32_e32 v95, s12
	ds_read_b32 v95, v95
	v_add_u32_e32 v93, -1, v93
	s_add_i32 s12, s12, 4
	s_add_i32 s14, s14, 4
	v_cmp_eq_u32_e32 vcc, 0, v93
	s_or_b64 s[6:7], vcc, s[6:7]
	s_waitcnt vmcnt(0) lgkmcnt(0)
	v_fmac_f32_e32 v92, v94, v95
	s_andn2_b64 exec, exec, s[6:7]
	s_cbranch_execnz .LBB107_423
; %bb.424:
	s_or_b64 exec, exec, s[6:7]
.LBB107_425:
	s_or_b64 exec, exec, s[8:9]
	v_mov_b32_e32 v93, 0
	ds_read_b32 v93, v93
	s_waitcnt lgkmcnt(0)
	v_mul_f32_e32 v92, v92, v93
	buffer_store_dword v92, off, s[0:3], 0
.LBB107_426:
	s_or_b64 exec, exec, s[4:5]
	s_mov_b64 s[4:5], 0
.LBB107_427:
	s_and_b64 vcc, exec, s[4:5]
	s_cbranch_vccz .LBB107_849
; %bb.428:
	buffer_load_dword v92, off, s[0:3], 0 offset:4
	v_cmp_eq_u32_e64 s[6:7], 0, v0
	s_waitcnt vmcnt(0)
	ds_write_b32 v90, v92
	s_waitcnt lgkmcnt(0)
	; wave barrier
	s_and_saveexec_b64 s[4:5], s[6:7]
	s_cbranch_execz .LBB107_434
; %bb.429:
	s_and_b64 vcc, exec, s[10:11]
	s_cbranch_vccz .LBB107_431
; %bb.430:
	buffer_load_dword v92, v91, s[0:3], 0 offen
	ds_read_b32 v93, v90
	s_waitcnt vmcnt(0) lgkmcnt(0)
	v_mul_f32_e32 v92, v92, v93
	s_cbranch_execz .LBB107_432
	s_branch .LBB107_433
.LBB107_431:
                                        ; implicit-def: $vgpr92
.LBB107_432:
	ds_read_b32 v92, v90
.LBB107_433:
	v_mov_b32_e32 v93, 0
	ds_read_b32 v93, v93 offset:4
	s_waitcnt lgkmcnt(0)
	v_mul_f32_e32 v92, v92, v93
	buffer_store_dword v92, off, s[0:3], 0 offset:4
.LBB107_434:
	s_or_b64 exec, exec, s[4:5]
	buffer_load_dword v92, off, s[0:3], 0 offset:8
	v_cndmask_b32_e64 v93, 0, 1, s[10:11]
	v_cmp_gt_u32_e32 vcc, 2, v0
	v_cmp_ne_u32_e64 s[4:5], 1, v93
	s_waitcnt vmcnt(0)
	ds_write_b32 v90, v92
	s_waitcnt lgkmcnt(0)
	; wave barrier
	s_and_saveexec_b64 s[8:9], vcc
	s_cbranch_execz .LBB107_440
; %bb.435:
	s_and_b64 vcc, exec, s[4:5]
	s_cbranch_vccnz .LBB107_437
; %bb.436:
	buffer_load_dword v92, v91, s[0:3], 0 offen
	ds_read_b32 v93, v90
	s_waitcnt vmcnt(0) lgkmcnt(0)
	v_mul_f32_e32 v92, v92, v93
	s_cbranch_execz .LBB107_438
	s_branch .LBB107_439
.LBB107_437:
                                        ; implicit-def: $vgpr92
.LBB107_438:
	ds_read_b32 v92, v90
.LBB107_439:
	buffer_load_dword v95, off, s[0:3], 0 offset:4
	v_mov_b32_e32 v93, 0
	ds_read2_b32 v[93:94], v93 offset0:2 offset1:45
	s_waitcnt vmcnt(0) lgkmcnt(0)
	v_fma_f32 v94, v95, v94, v92
	v_cndmask_b32_e64 v92, v92, v94, s[6:7]
	v_mul_f32_e32 v92, v92, v93
	buffer_store_dword v92, off, s[0:3], 0 offset:8
.LBB107_440:
	s_or_b64 exec, exec, s[8:9]
	buffer_load_dword v92, off, s[0:3], 0 offset:12
	v_cmp_gt_u32_e32 vcc, 3, v0
	s_waitcnt vmcnt(0)
	ds_write_b32 v90, v92
	s_waitcnt lgkmcnt(0)
	; wave barrier
	s_and_saveexec_b64 s[8:9], vcc
	s_cbranch_execz .LBB107_448
; %bb.441:
	s_and_b64 vcc, exec, s[4:5]
	s_cbranch_vccnz .LBB107_443
; %bb.442:
	buffer_load_dword v92, v91, s[0:3], 0 offen
	ds_read_b32 v93, v90
	s_waitcnt vmcnt(0) lgkmcnt(0)
	v_mul_f32_e32 v92, v92, v93
	s_cbranch_execz .LBB107_444
	s_branch .LBB107_445
.LBB107_443:
                                        ; implicit-def: $vgpr92
.LBB107_444:
	ds_read_b32 v92, v90
.LBB107_445:
	v_cmp_ne_u32_e32 vcc, 2, v0
	s_and_saveexec_b64 s[10:11], vcc
	s_cbranch_execz .LBB107_447
; %bb.446:
	buffer_load_dword v93, v91, s[0:3], 0 offen offset:4
	buffer_load_dword v94, off, s[0:3], 0 offset:8
	v_mov_b32_e32 v95, 0
	ds_read_b32 v96, v90 offset:4
	ds_read_b32 v95, v95 offset:184
	s_waitcnt vmcnt(1) lgkmcnt(1)
	v_fmac_f32_e32 v92, v93, v96
	s_waitcnt vmcnt(0) lgkmcnt(0)
	v_fma_f32 v93, v94, v95, v92
	v_cndmask_b32_e64 v92, v92, v93, s[6:7]
.LBB107_447:
	s_or_b64 exec, exec, s[10:11]
	v_mov_b32_e32 v93, 0
	ds_read_b32 v93, v93 offset:12
	s_waitcnt lgkmcnt(0)
	v_mul_f32_e32 v92, v92, v93
	buffer_store_dword v92, off, s[0:3], 0 offset:12
.LBB107_448:
	s_or_b64 exec, exec, s[8:9]
	buffer_load_dword v92, off, s[0:3], 0 offset:16
	v_cmp_gt_u32_e32 vcc, 4, v0
	s_waitcnt vmcnt(0)
	ds_write_b32 v90, v92
	s_waitcnt lgkmcnt(0)
	; wave barrier
	s_and_saveexec_b64 s[6:7], vcc
	s_cbranch_execz .LBB107_458
; %bb.449:
	s_and_b64 vcc, exec, s[4:5]
	s_cbranch_vccnz .LBB107_451
; %bb.450:
	buffer_load_dword v92, v91, s[0:3], 0 offen
	ds_read_b32 v93, v90
	s_waitcnt vmcnt(0) lgkmcnt(0)
	v_mul_f32_e32 v92, v92, v93
	s_cbranch_execz .LBB107_452
	s_branch .LBB107_453
.LBB107_451:
                                        ; implicit-def: $vgpr92
.LBB107_452:
	ds_read_b32 v92, v90
.LBB107_453:
	v_cmp_ne_u32_e32 vcc, 3, v0
	s_and_saveexec_b64 s[8:9], vcc
	s_cbranch_execz .LBB107_457
; %bb.454:
	s_mov_b32 s10, 0
	v_add_u32_e32 v93, 0xb4, v89
	v_add3_u32 v94, v89, s10, 4
	s_mov_b64 s[10:11], 0
	v_mov_b32_e32 v95, v0
.LBB107_455:                            ; =>This Inner Loop Header: Depth=1
	buffer_load_dword v96, v94, s[0:3], 0 offen
	ds_read_b32 v97, v93
	v_add_u32_e32 v95, 1, v95
	v_cmp_lt_u32_e32 vcc, 2, v95
	v_add_u32_e32 v93, 4, v93
	v_add_u32_e32 v94, 4, v94
	s_or_b64 s[10:11], vcc, s[10:11]
	s_waitcnt vmcnt(0) lgkmcnt(0)
	v_fmac_f32_e32 v92, v96, v97
	s_andn2_b64 exec, exec, s[10:11]
	s_cbranch_execnz .LBB107_455
; %bb.456:
	s_or_b64 exec, exec, s[10:11]
.LBB107_457:
	s_or_b64 exec, exec, s[8:9]
	v_mov_b32_e32 v93, 0
	ds_read_b32 v93, v93 offset:16
	s_waitcnt lgkmcnt(0)
	v_mul_f32_e32 v92, v92, v93
	buffer_store_dword v92, off, s[0:3], 0 offset:16
.LBB107_458:
	s_or_b64 exec, exec, s[6:7]
	buffer_load_dword v92, off, s[0:3], 0 offset:20
	v_cmp_gt_u32_e32 vcc, 5, v0
	s_waitcnt vmcnt(0)
	ds_write_b32 v90, v92
	s_waitcnt lgkmcnt(0)
	; wave barrier
	s_and_saveexec_b64 s[6:7], vcc
	s_cbranch_execz .LBB107_468
; %bb.459:
	s_and_b64 vcc, exec, s[4:5]
	s_cbranch_vccnz .LBB107_461
; %bb.460:
	buffer_load_dword v92, v91, s[0:3], 0 offen
	ds_read_b32 v93, v90
	s_waitcnt vmcnt(0) lgkmcnt(0)
	v_mul_f32_e32 v92, v92, v93
	s_cbranch_execz .LBB107_462
	s_branch .LBB107_463
.LBB107_461:
                                        ; implicit-def: $vgpr92
.LBB107_462:
	ds_read_b32 v92, v90
.LBB107_463:
	v_cmp_ne_u32_e32 vcc, 4, v0
	s_and_saveexec_b64 s[8:9], vcc
	s_cbranch_execz .LBB107_467
; %bb.464:
	s_mov_b32 s10, 0
	v_add_u32_e32 v93, 0xb4, v89
	v_add3_u32 v94, v89, s10, 4
	s_mov_b64 s[10:11], 0
	v_mov_b32_e32 v95, v0
.LBB107_465:                            ; =>This Inner Loop Header: Depth=1
	buffer_load_dword v96, v94, s[0:3], 0 offen
	ds_read_b32 v97, v93
	v_add_u32_e32 v95, 1, v95
	v_cmp_lt_u32_e32 vcc, 3, v95
	v_add_u32_e32 v93, 4, v93
	v_add_u32_e32 v94, 4, v94
	s_or_b64 s[10:11], vcc, s[10:11]
	s_waitcnt vmcnt(0) lgkmcnt(0)
	v_fmac_f32_e32 v92, v96, v97
	s_andn2_b64 exec, exec, s[10:11]
	s_cbranch_execnz .LBB107_465
; %bb.466:
	s_or_b64 exec, exec, s[10:11]
.LBB107_467:
	s_or_b64 exec, exec, s[8:9]
	v_mov_b32_e32 v93, 0
	ds_read_b32 v93, v93 offset:20
	s_waitcnt lgkmcnt(0)
	v_mul_f32_e32 v92, v92, v93
	buffer_store_dword v92, off, s[0:3], 0 offset:20
.LBB107_468:
	;; [unrolled: 55-line block ×38, first 2 shown]
	s_or_b64 exec, exec, s[6:7]
	buffer_load_dword v92, off, s[0:3], 0 offset:168
	v_cmp_gt_u32_e64 s[6:7], 42, v0
	s_waitcnt vmcnt(0)
	ds_write_b32 v90, v92
	s_waitcnt lgkmcnt(0)
	; wave barrier
	s_and_saveexec_b64 s[8:9], s[6:7]
	s_cbranch_execz .LBB107_838
; %bb.829:
	s_and_b64 vcc, exec, s[4:5]
	s_cbranch_vccnz .LBB107_831
; %bb.830:
	buffer_load_dword v92, v91, s[0:3], 0 offen
	ds_read_b32 v93, v90
	s_waitcnt vmcnt(0) lgkmcnt(0)
	v_mul_f32_e32 v92, v92, v93
	s_cbranch_execz .LBB107_832
	s_branch .LBB107_833
.LBB107_831:
                                        ; implicit-def: $vgpr92
.LBB107_832:
	ds_read_b32 v92, v90
.LBB107_833:
	v_cmp_ne_u32_e32 vcc, 41, v0
	s_and_saveexec_b64 s[10:11], vcc
	s_cbranch_execz .LBB107_837
; %bb.834:
	s_mov_b32 s12, 0
	v_add_u32_e32 v93, 0xb4, v89
	v_add3_u32 v94, v89, s12, 4
	s_mov_b64 s[12:13], 0
	v_mov_b32_e32 v95, v0
.LBB107_835:                            ; =>This Inner Loop Header: Depth=1
	buffer_load_dword v96, v94, s[0:3], 0 offen
	ds_read_b32 v97, v93
	v_add_u32_e32 v95, 1, v95
	v_cmp_lt_u32_e32 vcc, 40, v95
	v_add_u32_e32 v93, 4, v93
	v_add_u32_e32 v94, 4, v94
	s_or_b64 s[12:13], vcc, s[12:13]
	s_waitcnt vmcnt(0) lgkmcnt(0)
	v_fmac_f32_e32 v92, v96, v97
	s_andn2_b64 exec, exec, s[12:13]
	s_cbranch_execnz .LBB107_835
; %bb.836:
	s_or_b64 exec, exec, s[12:13]
.LBB107_837:
	s_or_b64 exec, exec, s[10:11]
	v_mov_b32_e32 v93, 0
	ds_read_b32 v93, v93 offset:168
	s_waitcnt lgkmcnt(0)
	v_mul_f32_e32 v92, v92, v93
	buffer_store_dword v92, off, s[0:3], 0 offset:168
.LBB107_838:
	s_or_b64 exec, exec, s[8:9]
	buffer_load_dword v92, off, s[0:3], 0 offset:172
	v_cmp_ne_u32_e32 vcc, 43, v0
	s_waitcnt vmcnt(0)
	ds_write_b32 v90, v92
	s_waitcnt lgkmcnt(0)
	; wave barrier
	s_and_saveexec_b64 s[8:9], vcc
	s_cbranch_execz .LBB107_848
; %bb.839:
	s_and_b64 vcc, exec, s[4:5]
	s_cbranch_vccnz .LBB107_841
; %bb.840:
	buffer_load_dword v91, v91, s[0:3], 0 offen
	ds_read_b32 v92, v90
	s_waitcnt vmcnt(0) lgkmcnt(0)
	v_mul_f32_e32 v91, v91, v92
	s_cbranch_execz .LBB107_842
	s_branch .LBB107_843
.LBB107_841:
                                        ; implicit-def: $vgpr91
.LBB107_842:
	ds_read_b32 v91, v90
.LBB107_843:
	s_and_saveexec_b64 s[4:5], s[6:7]
	s_cbranch_execz .LBB107_847
; %bb.844:
	s_mov_b32 s6, 0
	v_add_u32_e32 v90, 0xb4, v89
	v_add3_u32 v89, v89, s6, 4
	s_mov_b64 s[6:7], 0
.LBB107_845:                            ; =>This Inner Loop Header: Depth=1
	buffer_load_dword v92, v89, s[0:3], 0 offen
	ds_read_b32 v93, v90
	v_add_u32_e32 v0, 1, v0
	v_cmp_lt_u32_e32 vcc, 41, v0
	v_add_u32_e32 v90, 4, v90
	v_add_u32_e32 v89, 4, v89
	s_or_b64 s[6:7], vcc, s[6:7]
	s_waitcnt vmcnt(0) lgkmcnt(0)
	v_fmac_f32_e32 v91, v92, v93
	s_andn2_b64 exec, exec, s[6:7]
	s_cbranch_execnz .LBB107_845
; %bb.846:
	s_or_b64 exec, exec, s[6:7]
.LBB107_847:
	s_or_b64 exec, exec, s[4:5]
	v_mov_b32_e32 v0, 0
	ds_read_b32 v0, v0 offset:172
	s_waitcnt lgkmcnt(0)
	v_mul_f32_e32 v0, v91, v0
	buffer_store_dword v0, off, s[0:3], 0 offset:172
.LBB107_848:
	s_or_b64 exec, exec, s[8:9]
.LBB107_849:
	buffer_load_dword v0, off, s[0:3], 0
	s_waitcnt vmcnt(0)
	flat_store_dword v[1:2], v0
	buffer_load_dword v0, off, s[0:3], 0 offset:4
	s_waitcnt vmcnt(0)
	flat_store_dword v[3:4], v0
	buffer_load_dword v0, off, s[0:3], 0 offset:8
	;; [unrolled: 3-line block ×43, first 2 shown]
	s_waitcnt vmcnt(0)
	flat_store_dword v[87:88], v0
.LBB107_850:
	s_endpgm
	.section	.rodata,"a",@progbits
	.p2align	6, 0x0
	.amdhsa_kernel _ZN9rocsolver6v33100L18trti2_kernel_smallILi44EfPKPfEEv13rocblas_fill_17rocblas_diagonal_T1_iil
		.amdhsa_group_segment_fixed_size 352
		.amdhsa_private_segment_fixed_size 192
		.amdhsa_kernarg_size 32
		.amdhsa_user_sgpr_count 6
		.amdhsa_user_sgpr_private_segment_buffer 1
		.amdhsa_user_sgpr_dispatch_ptr 0
		.amdhsa_user_sgpr_queue_ptr 0
		.amdhsa_user_sgpr_kernarg_segment_ptr 1
		.amdhsa_user_sgpr_dispatch_id 0
		.amdhsa_user_sgpr_flat_scratch_init 0
		.amdhsa_user_sgpr_private_segment_size 0
		.amdhsa_uses_dynamic_stack 0
		.amdhsa_system_sgpr_private_segment_wavefront_offset 1
		.amdhsa_system_sgpr_workgroup_id_x 1
		.amdhsa_system_sgpr_workgroup_id_y 0
		.amdhsa_system_sgpr_workgroup_id_z 0
		.amdhsa_system_sgpr_workgroup_info 0
		.amdhsa_system_vgpr_workitem_id 0
		.amdhsa_next_free_vgpr 98
		.amdhsa_next_free_sgpr 57
		.amdhsa_reserve_vcc 1
		.amdhsa_reserve_flat_scratch 0
		.amdhsa_float_round_mode_32 0
		.amdhsa_float_round_mode_16_64 0
		.amdhsa_float_denorm_mode_32 3
		.amdhsa_float_denorm_mode_16_64 3
		.amdhsa_dx10_clamp 1
		.amdhsa_ieee_mode 1
		.amdhsa_fp16_overflow 0
		.amdhsa_exception_fp_ieee_invalid_op 0
		.amdhsa_exception_fp_denorm_src 0
		.amdhsa_exception_fp_ieee_div_zero 0
		.amdhsa_exception_fp_ieee_overflow 0
		.amdhsa_exception_fp_ieee_underflow 0
		.amdhsa_exception_fp_ieee_inexact 0
		.amdhsa_exception_int_div_zero 0
	.end_amdhsa_kernel
	.section	.text._ZN9rocsolver6v33100L18trti2_kernel_smallILi44EfPKPfEEv13rocblas_fill_17rocblas_diagonal_T1_iil,"axG",@progbits,_ZN9rocsolver6v33100L18trti2_kernel_smallILi44EfPKPfEEv13rocblas_fill_17rocblas_diagonal_T1_iil,comdat
.Lfunc_end107:
	.size	_ZN9rocsolver6v33100L18trti2_kernel_smallILi44EfPKPfEEv13rocblas_fill_17rocblas_diagonal_T1_iil, .Lfunc_end107-_ZN9rocsolver6v33100L18trti2_kernel_smallILi44EfPKPfEEv13rocblas_fill_17rocblas_diagonal_T1_iil
                                        ; -- End function
	.set _ZN9rocsolver6v33100L18trti2_kernel_smallILi44EfPKPfEEv13rocblas_fill_17rocblas_diagonal_T1_iil.num_vgpr, 98
	.set _ZN9rocsolver6v33100L18trti2_kernel_smallILi44EfPKPfEEv13rocblas_fill_17rocblas_diagonal_T1_iil.num_agpr, 0
	.set _ZN9rocsolver6v33100L18trti2_kernel_smallILi44EfPKPfEEv13rocblas_fill_17rocblas_diagonal_T1_iil.numbered_sgpr, 57
	.set _ZN9rocsolver6v33100L18trti2_kernel_smallILi44EfPKPfEEv13rocblas_fill_17rocblas_diagonal_T1_iil.num_named_barrier, 0
	.set _ZN9rocsolver6v33100L18trti2_kernel_smallILi44EfPKPfEEv13rocblas_fill_17rocblas_diagonal_T1_iil.private_seg_size, 192
	.set _ZN9rocsolver6v33100L18trti2_kernel_smallILi44EfPKPfEEv13rocblas_fill_17rocblas_diagonal_T1_iil.uses_vcc, 1
	.set _ZN9rocsolver6v33100L18trti2_kernel_smallILi44EfPKPfEEv13rocblas_fill_17rocblas_diagonal_T1_iil.uses_flat_scratch, 0
	.set _ZN9rocsolver6v33100L18trti2_kernel_smallILi44EfPKPfEEv13rocblas_fill_17rocblas_diagonal_T1_iil.has_dyn_sized_stack, 0
	.set _ZN9rocsolver6v33100L18trti2_kernel_smallILi44EfPKPfEEv13rocblas_fill_17rocblas_diagonal_T1_iil.has_recursion, 0
	.set _ZN9rocsolver6v33100L18trti2_kernel_smallILi44EfPKPfEEv13rocblas_fill_17rocblas_diagonal_T1_iil.has_indirect_call, 0
	.section	.AMDGPU.csdata,"",@progbits
; Kernel info:
; codeLenInByte = 21312
; TotalNumSgprs: 61
; NumVgprs: 98
; ScratchSize: 192
; MemoryBound: 0
; FloatMode: 240
; IeeeMode: 1
; LDSByteSize: 352 bytes/workgroup (compile time only)
; SGPRBlocks: 7
; VGPRBlocks: 24
; NumSGPRsForWavesPerEU: 61
; NumVGPRsForWavesPerEU: 98
; Occupancy: 2
; WaveLimiterHint : 1
; COMPUTE_PGM_RSRC2:SCRATCH_EN: 1
; COMPUTE_PGM_RSRC2:USER_SGPR: 6
; COMPUTE_PGM_RSRC2:TRAP_HANDLER: 0
; COMPUTE_PGM_RSRC2:TGID_X_EN: 1
; COMPUTE_PGM_RSRC2:TGID_Y_EN: 0
; COMPUTE_PGM_RSRC2:TGID_Z_EN: 0
; COMPUTE_PGM_RSRC2:TIDIG_COMP_CNT: 0
	.section	.text._ZN9rocsolver6v33100L18trti2_kernel_smallILi45EfPKPfEEv13rocblas_fill_17rocblas_diagonal_T1_iil,"axG",@progbits,_ZN9rocsolver6v33100L18trti2_kernel_smallILi45EfPKPfEEv13rocblas_fill_17rocblas_diagonal_T1_iil,comdat
	.globl	_ZN9rocsolver6v33100L18trti2_kernel_smallILi45EfPKPfEEv13rocblas_fill_17rocblas_diagonal_T1_iil ; -- Begin function _ZN9rocsolver6v33100L18trti2_kernel_smallILi45EfPKPfEEv13rocblas_fill_17rocblas_diagonal_T1_iil
	.p2align	8
	.type	_ZN9rocsolver6v33100L18trti2_kernel_smallILi45EfPKPfEEv13rocblas_fill_17rocblas_diagonal_T1_iil,@function
_ZN9rocsolver6v33100L18trti2_kernel_smallILi45EfPKPfEEv13rocblas_fill_17rocblas_diagonal_T1_iil: ; @_ZN9rocsolver6v33100L18trti2_kernel_smallILi45EfPKPfEEv13rocblas_fill_17rocblas_diagonal_T1_iil
; %bb.0:
	s_add_u32 s0, s0, s7
	s_addc_u32 s1, s1, 0
	v_cmp_gt_u32_e32 vcc, 45, v0
	s_and_saveexec_b64 s[8:9], vcc
	s_cbranch_execz .LBB108_870
; %bb.1:
	s_load_dwordx2 s[12:13], s[4:5], 0x10
	s_load_dwordx4 s[8:11], s[4:5], 0x0
	s_ashr_i32 s7, s6, 31
	s_lshl_b64 s[6:7], s[6:7], 3
	v_lshlrev_b32_e32 v91, 2, v0
	s_waitcnt lgkmcnt(0)
	s_ashr_i32 s5, s12, 31
	s_add_u32 s6, s10, s6
	s_addc_u32 s7, s11, s7
	s_load_dwordx2 s[6:7], s[6:7], 0x0
	s_mov_b32 s4, s12
	s_lshl_b64 s[4:5], s[4:5], 2
	s_movk_i32 s12, 0x84
	s_waitcnt lgkmcnt(0)
	s_add_u32 s4, s6, s4
	s_addc_u32 s5, s7, s5
	v_mov_b32_e32 v2, s5
	v_add_co_u32_e32 v1, vcc, s4, v91
	v_addc_co_u32_e32 v2, vcc, 0, v2, vcc
	flat_load_dword v5, v[1:2]
	s_mov_b32 s6, s13
	s_ashr_i32 s7, s13, 31
	s_lshl_b64 s[6:7], s[6:7], 2
	v_mov_b32_e32 v4, s7
	v_add_co_u32_e32 v3, vcc, s6, v1
	v_addc_co_u32_e32 v4, vcc, v2, v4, vcc
	s_add_i32 s6, s13, s13
	v_add_u32_e32 v7, s6, v0
	v_ashrrev_i32_e32 v8, 31, v7
	v_mov_b32_e32 v10, s5
	v_mov_b32_e32 v12, s5
	;; [unrolled: 1-line block ×42, first 2 shown]
	s_cmpk_lg_i32 s9, 0x84
	s_cselect_b64 s[10:11], -1, 0
	s_cmpk_eq_i32 s9, 0x84
	s_waitcnt vmcnt(0) lgkmcnt(0)
	buffer_store_dword v5, off, s[0:3], 0
	flat_load_dword v9, v[3:4]
	v_lshlrev_b64 v[5:6], 2, v[7:8]
	v_add_co_u32_e32 v5, vcc, s4, v5
	v_addc_co_u32_e32 v6, vcc, v10, v6, vcc
	s_waitcnt vmcnt(0) lgkmcnt(0)
	buffer_store_dword v9, off, s[0:3], 0 offset:4
	flat_load_dword v11, v[5:6]
	v_add_u32_e32 v9, s13, v7
	v_ashrrev_i32_e32 v10, 31, v9
	v_lshlrev_b64 v[7:8], 2, v[9:10]
	v_add_co_u32_e32 v7, vcc, s4, v7
	v_addc_co_u32_e32 v8, vcc, v12, v8, vcc
	s_waitcnt vmcnt(0) lgkmcnt(0)
	buffer_store_dword v11, off, s[0:3], 0 offset:8
	flat_load_dword v13, v[7:8]
	v_add_u32_e32 v11, s13, v9
	v_ashrrev_i32_e32 v12, 31, v11
	;; [unrolled: 8-line block ×41, first 2 shown]
	v_lshlrev_b64 v[87:88], 2, v[89:90]
	v_add_u32_e32 v89, s13, v89
	v_add_co_u32_e32 v87, vcc, s4, v87
	v_addc_co_u32_e32 v88, vcc, v93, v88, vcc
	v_ashrrev_i32_e32 v90, 31, v89
	v_lshlrev_b64 v[89:90], 2, v[89:90]
	v_add_co_u32_e32 v89, vcc, s4, v89
	v_addc_co_u32_e32 v90, vcc, v93, v90, vcc
	s_waitcnt vmcnt(0) lgkmcnt(0)
	buffer_store_dword v92, off, s[0:3], 0 offset:168
	flat_load_dword v92, v[87:88]
	s_waitcnt vmcnt(0) lgkmcnt(0)
	buffer_store_dword v92, off, s[0:3], 0 offset:172
	flat_load_dword v92, v[89:90]
	s_waitcnt vmcnt(0) lgkmcnt(0)
	buffer_store_dword v92, off, s[0:3], 0 offset:176
	v_mov_b32_e32 v92, -1.0
	s_cbranch_scc1 .LBB108_3
; %bb.2:
	v_mov_b32_e32 v92, 0
	v_lshl_add_u32 v92, v0, 2, v92
	buffer_load_dword v93, v92, s[0:3], 0 offen
	s_waitcnt vmcnt(0)
	v_div_scale_f32 v94, s[4:5], v93, v93, 1.0
	v_div_scale_f32 v95, vcc, 1.0, v93, 1.0
	v_rcp_f32_e32 v96, v94
	v_fma_f32 v97, -v94, v96, 1.0
	v_fmac_f32_e32 v96, v97, v96
	v_mul_f32_e32 v97, v95, v96
	v_fma_f32 v98, -v94, v97, v95
	v_fmac_f32_e32 v97, v98, v96
	v_fma_f32 v94, -v94, v97, v95
	v_div_fmas_f32 v94, v94, v96, v97
	v_div_fixup_f32 v93, v94, v93, 1.0
	buffer_store_dword v93, v92, s[0:3], 0 offen
	v_xor_b32_e32 v92, 0x80000000, v93
.LBB108_3:
	ds_write_b32 v91, v92
	s_cmpk_eq_i32 s8, 0x79
	v_add_u32_e32 v92, 0xc0, v91
	v_mov_b32_e32 v93, v91
	s_mov_b64 s[4:5], -1
	s_cbranch_scc1 .LBB108_437
; %bb.4:
	buffer_load_dword v94, off, s[0:3], 0 offset:172
	s_movk_i32 s30, 0x44
	s_movk_i32 s31, 0x48
	;; [unrolled: 1-line block ×25, first 2 shown]
	v_cmp_eq_u32_e64 s[4:5], 44, v0
	s_waitcnt vmcnt(0)
	ds_write_b32 v92, v94
	s_waitcnt lgkmcnt(0)
	; wave barrier
	s_and_saveexec_b64 s[6:7], s[4:5]
	s_cbranch_execz .LBB108_10
; %bb.5:
	s_and_b64 vcc, exec, s[10:11]
	s_cbranch_vccz .LBB108_7
; %bb.6:
	buffer_load_dword v94, v93, s[0:3], 0 offen
	ds_read_b32 v95, v92
	s_waitcnt vmcnt(0) lgkmcnt(0)
	v_mul_f32_e32 v94, v94, v95
	s_cbranch_execz .LBB108_8
	s_branch .LBB108_9
.LBB108_7:
                                        ; implicit-def: $vgpr94
.LBB108_8:
	ds_read_b32 v94, v92
.LBB108_9:
	v_mov_b32_e32 v95, 0
	ds_read_b32 v95, v95 offset:172
	s_waitcnt lgkmcnt(0)
	v_mul_f32_e32 v94, v94, v95
	buffer_store_dword v94, off, s[0:3], 0 offset:172
.LBB108_10:
	s_or_b64 exec, exec, s[6:7]
	buffer_load_dword v94, off, s[0:3], 0 offset:168
	s_or_b32 s14, 0, 4
	s_or_b32 s15, 0, 8
	s_or_b32 s16, 0, 12
	s_mov_b32 s17, 16
	s_mov_b32 s18, 20
	;; [unrolled: 1-line block ×15, first 2 shown]
	v_cmp_lt_u32_e64 s[6:7], 42, v0
	s_waitcnt vmcnt(0)
	ds_write_b32 v92, v94
	s_waitcnt lgkmcnt(0)
	; wave barrier
	s_and_saveexec_b64 s[8:9], s[6:7]
	s_cbranch_execz .LBB108_16
; %bb.11:
	s_andn2_b64 vcc, exec, s[10:11]
	s_cbranch_vccnz .LBB108_13
; %bb.12:
	buffer_load_dword v94, v93, s[0:3], 0 offen
	ds_read_b32 v95, v92
	s_waitcnt vmcnt(0) lgkmcnt(0)
	v_mul_f32_e32 v94, v94, v95
	s_cbranch_execz .LBB108_14
	s_branch .LBB108_15
.LBB108_13:
                                        ; implicit-def: $vgpr94
.LBB108_14:
	ds_read_b32 v94, v92
.LBB108_15:
	buffer_load_dword v97, off, s[0:3], 0 offset:172
	v_mov_b32_e32 v95, 0
	ds_read2_b32 v[95:96], v95 offset0:42 offset1:91
	s_waitcnt vmcnt(0) lgkmcnt(0)
	v_fma_f32 v96, v97, v96, v94
	v_cndmask_b32_e64 v94, v94, v96, s[4:5]
	v_mul_f32_e32 v94, v94, v95
	buffer_store_dword v94, off, s[0:3], 0 offset:168
.LBB108_16:
	s_or_b64 exec, exec, s[8:9]
	buffer_load_dword v94, off, s[0:3], 0 offset:164
	v_cmp_lt_u32_e64 s[4:5], 41, v0
	s_waitcnt vmcnt(0)
	ds_write_b32 v92, v94
	s_waitcnt lgkmcnt(0)
	; wave barrier
	s_and_saveexec_b64 s[8:9], s[4:5]
	s_cbranch_execz .LBB108_26
; %bb.17:
	s_andn2_b64 vcc, exec, s[10:11]
	s_cbranch_vccnz .LBB108_19
; %bb.18:
	buffer_load_dword v94, v93, s[0:3], 0 offen
	ds_read_b32 v95, v92
	s_waitcnt vmcnt(0) lgkmcnt(0)
	v_mul_f32_e32 v94, v94, v95
	s_cbranch_execz .LBB108_20
	s_branch .LBB108_21
.LBB108_19:
                                        ; implicit-def: $vgpr94
.LBB108_20:
	ds_read_b32 v94, v92
.LBB108_21:
	s_and_saveexec_b64 s[12:13], s[6:7]
	s_cbranch_execz .LBB108_25
; %bb.22:
	v_subrev_u32_e32 v95, 42, v0
	s_movk_i32 s57, 0x168
	s_mov_b64 s[6:7], 0
.LBB108_23:                             ; =>This Inner Loop Header: Depth=1
	v_mov_b32_e32 v96, s56
	buffer_load_dword v96, v96, s[0:3], 0 offen
	v_mov_b32_e32 v97, s57
	ds_read_b32 v97, v97
	v_add_u32_e32 v95, -1, v95
	s_add_i32 s57, s57, 4
	s_add_i32 s56, s56, 4
	v_cmp_eq_u32_e32 vcc, 0, v95
	s_or_b64 s[6:7], vcc, s[6:7]
	s_waitcnt vmcnt(0) lgkmcnt(0)
	v_fmac_f32_e32 v94, v96, v97
	s_andn2_b64 exec, exec, s[6:7]
	s_cbranch_execnz .LBB108_23
; %bb.24:
	s_or_b64 exec, exec, s[6:7]
.LBB108_25:
	s_or_b64 exec, exec, s[12:13]
	v_mov_b32_e32 v95, 0
	ds_read_b32 v95, v95 offset:164
	s_waitcnt lgkmcnt(0)
	v_mul_f32_e32 v94, v94, v95
	buffer_store_dword v94, off, s[0:3], 0 offset:164
.LBB108_26:
	s_or_b64 exec, exec, s[8:9]
	buffer_load_dword v94, off, s[0:3], 0 offset:160
	v_cmp_lt_u32_e64 s[6:7], 40, v0
	s_waitcnt vmcnt(0)
	ds_write_b32 v92, v94
	s_waitcnt lgkmcnt(0)
	; wave barrier
	s_and_saveexec_b64 s[8:9], s[6:7]
	s_cbranch_execz .LBB108_36
; %bb.27:
	s_andn2_b64 vcc, exec, s[10:11]
	s_cbranch_vccnz .LBB108_29
; %bb.28:
	buffer_load_dword v94, v93, s[0:3], 0 offen
	ds_read_b32 v95, v92
	s_waitcnt vmcnt(0) lgkmcnt(0)
	v_mul_f32_e32 v94, v94, v95
	s_cbranch_execz .LBB108_30
	s_branch .LBB108_31
.LBB108_29:
                                        ; implicit-def: $vgpr94
.LBB108_30:
	ds_read_b32 v94, v92
.LBB108_31:
	s_and_saveexec_b64 s[12:13], s[4:5]
	s_cbranch_execz .LBB108_35
; %bb.32:
	v_subrev_u32_e32 v95, 41, v0
	s_movk_i32 s56, 0x164
	s_mov_b64 s[4:5], 0
.LBB108_33:                             ; =>This Inner Loop Header: Depth=1
	v_mov_b32_e32 v96, s55
	buffer_load_dword v96, v96, s[0:3], 0 offen
	v_mov_b32_e32 v97, s56
	ds_read_b32 v97, v97
	v_add_u32_e32 v95, -1, v95
	s_add_i32 s56, s56, 4
	s_add_i32 s55, s55, 4
	v_cmp_eq_u32_e32 vcc, 0, v95
	s_or_b64 s[4:5], vcc, s[4:5]
	s_waitcnt vmcnt(0) lgkmcnt(0)
	v_fmac_f32_e32 v94, v96, v97
	s_andn2_b64 exec, exec, s[4:5]
	s_cbranch_execnz .LBB108_33
; %bb.34:
	s_or_b64 exec, exec, s[4:5]
.LBB108_35:
	s_or_b64 exec, exec, s[12:13]
	v_mov_b32_e32 v95, 0
	ds_read_b32 v95, v95 offset:160
	s_waitcnt lgkmcnt(0)
	v_mul_f32_e32 v94, v94, v95
	buffer_store_dword v94, off, s[0:3], 0 offset:160
.LBB108_36:
	;; [unrolled: 54-line block ×8, first 2 shown]
	s_or_b64 exec, exec, s[8:9]
	buffer_load_dword v94, off, s[0:3], 0 offset:132
	v_cmp_lt_u32_e64 s[4:5], 33, v0
	s_waitcnt vmcnt(0)
	ds_write_b32 v92, v94
	s_waitcnt lgkmcnt(0)
	; wave barrier
	s_and_saveexec_b64 s[8:9], s[4:5]
	s_cbranch_execz .LBB108_106
; %bb.97:
	s_andn2_b64 vcc, exec, s[10:11]
	s_cbranch_vccnz .LBB108_99
; %bb.98:
	buffer_load_dword v94, v93, s[0:3], 0 offen
	ds_read_b32 v95, v92
	s_waitcnt vmcnt(0) lgkmcnt(0)
	v_mul_f32_e32 v94, v94, v95
	s_cbranch_execz .LBB108_100
	s_branch .LBB108_101
.LBB108_99:
                                        ; implicit-def: $vgpr94
.LBB108_100:
	ds_read_b32 v94, v92
.LBB108_101:
	s_and_saveexec_b64 s[12:13], s[6:7]
	s_cbranch_execz .LBB108_105
; %bb.102:
	v_subrev_u32_e32 v95, 34, v0
	s_movk_i32 s49, 0x148
	s_mov_b64 s[6:7], 0
.LBB108_103:                            ; =>This Inner Loop Header: Depth=1
	v_mov_b32_e32 v96, s48
	buffer_load_dword v96, v96, s[0:3], 0 offen
	v_mov_b32_e32 v97, s49
	ds_read_b32 v97, v97
	v_add_u32_e32 v95, -1, v95
	s_add_i32 s49, s49, 4
	s_add_i32 s48, s48, 4
	v_cmp_eq_u32_e32 vcc, 0, v95
	s_or_b64 s[6:7], vcc, s[6:7]
	s_waitcnt vmcnt(0) lgkmcnt(0)
	v_fmac_f32_e32 v94, v96, v97
	s_andn2_b64 exec, exec, s[6:7]
	s_cbranch_execnz .LBB108_103
; %bb.104:
	s_or_b64 exec, exec, s[6:7]
.LBB108_105:
	s_or_b64 exec, exec, s[12:13]
	v_mov_b32_e32 v95, 0
	ds_read_b32 v95, v95 offset:132
	s_waitcnt lgkmcnt(0)
	v_mul_f32_e32 v94, v94, v95
	buffer_store_dword v94, off, s[0:3], 0 offset:132
.LBB108_106:
	s_or_b64 exec, exec, s[8:9]
	buffer_load_dword v94, off, s[0:3], 0 offset:128
	v_cmp_lt_u32_e64 s[6:7], 32, v0
	s_waitcnt vmcnt(0)
	ds_write_b32 v92, v94
	s_waitcnt lgkmcnt(0)
	; wave barrier
	s_and_saveexec_b64 s[8:9], s[6:7]
	s_cbranch_execz .LBB108_116
; %bb.107:
	s_andn2_b64 vcc, exec, s[10:11]
	s_cbranch_vccnz .LBB108_109
; %bb.108:
	buffer_load_dword v94, v93, s[0:3], 0 offen
	ds_read_b32 v95, v92
	s_waitcnt vmcnt(0) lgkmcnt(0)
	v_mul_f32_e32 v94, v94, v95
	s_cbranch_execz .LBB108_110
	s_branch .LBB108_111
.LBB108_109:
                                        ; implicit-def: $vgpr94
.LBB108_110:
	ds_read_b32 v94, v92
.LBB108_111:
	s_and_saveexec_b64 s[12:13], s[4:5]
	s_cbranch_execz .LBB108_115
; %bb.112:
	v_subrev_u32_e32 v95, 33, v0
	s_movk_i32 s48, 0x144
	s_mov_b64 s[4:5], 0
.LBB108_113:                            ; =>This Inner Loop Header: Depth=1
	v_mov_b32_e32 v96, s47
	buffer_load_dword v96, v96, s[0:3], 0 offen
	v_mov_b32_e32 v97, s48
	ds_read_b32 v97, v97
	v_add_u32_e32 v95, -1, v95
	s_add_i32 s48, s48, 4
	s_add_i32 s47, s47, 4
	v_cmp_eq_u32_e32 vcc, 0, v95
	s_or_b64 s[4:5], vcc, s[4:5]
	s_waitcnt vmcnt(0) lgkmcnt(0)
	v_fmac_f32_e32 v94, v96, v97
	s_andn2_b64 exec, exec, s[4:5]
	s_cbranch_execnz .LBB108_113
; %bb.114:
	s_or_b64 exec, exec, s[4:5]
.LBB108_115:
	s_or_b64 exec, exec, s[12:13]
	v_mov_b32_e32 v95, 0
	ds_read_b32 v95, v95 offset:128
	s_waitcnt lgkmcnt(0)
	v_mul_f32_e32 v94, v94, v95
	buffer_store_dword v94, off, s[0:3], 0 offset:128
.LBB108_116:
	;; [unrolled: 54-line block ×18, first 2 shown]
	s_or_b64 exec, exec, s[8:9]
	buffer_load_dword v94, off, s[0:3], 0 offset:60
	v_cmp_lt_u32_e64 s[4:5], 15, v0
	s_waitcnt vmcnt(0)
	ds_write_b32 v92, v94
	s_waitcnt lgkmcnt(0)
	; wave barrier
	s_and_saveexec_b64 s[8:9], s[4:5]
	s_cbranch_execz .LBB108_286
; %bb.277:
	s_andn2_b64 vcc, exec, s[10:11]
	s_cbranch_vccnz .LBB108_279
; %bb.278:
	buffer_load_dword v94, v93, s[0:3], 0 offen
	ds_read_b32 v95, v92
	s_waitcnt vmcnt(0) lgkmcnt(0)
	v_mul_f32_e32 v94, v94, v95
	s_cbranch_execz .LBB108_280
	s_branch .LBB108_281
.LBB108_279:
                                        ; implicit-def: $vgpr94
.LBB108_280:
	ds_read_b32 v94, v92
.LBB108_281:
	s_and_saveexec_b64 s[12:13], s[6:7]
	s_cbranch_execz .LBB108_285
; %bb.282:
	v_add_u32_e32 v95, -16, v0
	s_movk_i32 s30, 0x100
	s_mov_b64 s[6:7], 0
.LBB108_283:                            ; =>This Inner Loop Header: Depth=1
	v_mov_b32_e32 v96, s29
	buffer_load_dword v96, v96, s[0:3], 0 offen
	v_mov_b32_e32 v97, s30
	ds_read_b32 v97, v97
	v_add_u32_e32 v95, -1, v95
	s_add_i32 s30, s30, 4
	s_add_i32 s29, s29, 4
	v_cmp_eq_u32_e32 vcc, 0, v95
	s_or_b64 s[6:7], vcc, s[6:7]
	s_waitcnt vmcnt(0) lgkmcnt(0)
	v_fmac_f32_e32 v94, v96, v97
	s_andn2_b64 exec, exec, s[6:7]
	s_cbranch_execnz .LBB108_283
; %bb.284:
	s_or_b64 exec, exec, s[6:7]
.LBB108_285:
	s_or_b64 exec, exec, s[12:13]
	v_mov_b32_e32 v95, 0
	ds_read_b32 v95, v95 offset:60
	s_waitcnt lgkmcnt(0)
	v_mul_f32_e32 v94, v94, v95
	buffer_store_dword v94, off, s[0:3], 0 offset:60
.LBB108_286:
	s_or_b64 exec, exec, s[8:9]
	buffer_load_dword v94, off, s[0:3], 0 offset:56
	v_cmp_lt_u32_e64 s[6:7], 14, v0
	s_waitcnt vmcnt(0)
	ds_write_b32 v92, v94
	s_waitcnt lgkmcnt(0)
	; wave barrier
	s_and_saveexec_b64 s[8:9], s[6:7]
	s_cbranch_execz .LBB108_296
; %bb.287:
	s_andn2_b64 vcc, exec, s[10:11]
	s_cbranch_vccnz .LBB108_289
; %bb.288:
	buffer_load_dword v94, v93, s[0:3], 0 offen
	ds_read_b32 v95, v92
	s_waitcnt vmcnt(0) lgkmcnt(0)
	v_mul_f32_e32 v94, v94, v95
	s_cbranch_execz .LBB108_290
	s_branch .LBB108_291
.LBB108_289:
                                        ; implicit-def: $vgpr94
.LBB108_290:
	ds_read_b32 v94, v92
.LBB108_291:
	s_and_saveexec_b64 s[12:13], s[4:5]
	s_cbranch_execz .LBB108_295
; %bb.292:
	v_add_u32_e32 v95, -15, v0
	s_movk_i32 s29, 0xfc
	s_mov_b64 s[4:5], 0
.LBB108_293:                            ; =>This Inner Loop Header: Depth=1
	v_mov_b32_e32 v96, s28
	buffer_load_dword v96, v96, s[0:3], 0 offen
	v_mov_b32_e32 v97, s29
	ds_read_b32 v97, v97
	v_add_u32_e32 v95, -1, v95
	s_add_i32 s29, s29, 4
	s_add_i32 s28, s28, 4
	v_cmp_eq_u32_e32 vcc, 0, v95
	s_or_b64 s[4:5], vcc, s[4:5]
	s_waitcnt vmcnt(0) lgkmcnt(0)
	v_fmac_f32_e32 v94, v96, v97
	s_andn2_b64 exec, exec, s[4:5]
	s_cbranch_execnz .LBB108_293
; %bb.294:
	s_or_b64 exec, exec, s[4:5]
.LBB108_295:
	s_or_b64 exec, exec, s[12:13]
	v_mov_b32_e32 v95, 0
	ds_read_b32 v95, v95 offset:56
	s_waitcnt lgkmcnt(0)
	v_mul_f32_e32 v94, v94, v95
	buffer_store_dword v94, off, s[0:3], 0 offset:56
.LBB108_296:
	s_or_b64 exec, exec, s[8:9]
	buffer_load_dword v94, off, s[0:3], 0 offset:52
	v_cmp_lt_u32_e64 s[4:5], 13, v0
	s_waitcnt vmcnt(0)
	ds_write_b32 v92, v94
	s_waitcnt lgkmcnt(0)
	; wave barrier
	s_and_saveexec_b64 s[8:9], s[4:5]
	s_cbranch_execz .LBB108_306
; %bb.297:
	s_andn2_b64 vcc, exec, s[10:11]
	s_cbranch_vccnz .LBB108_299
; %bb.298:
	buffer_load_dword v94, v93, s[0:3], 0 offen
	ds_read_b32 v95, v92
	s_waitcnt vmcnt(0) lgkmcnt(0)
	v_mul_f32_e32 v94, v94, v95
	s_cbranch_execz .LBB108_300
	s_branch .LBB108_301
.LBB108_299:
                                        ; implicit-def: $vgpr94
.LBB108_300:
	ds_read_b32 v94, v92
.LBB108_301:
	s_and_saveexec_b64 s[12:13], s[6:7]
	s_cbranch_execz .LBB108_305
; %bb.302:
	v_add_u32_e32 v95, -14, v0
	s_movk_i32 s28, 0xf8
	s_mov_b64 s[6:7], 0
.LBB108_303:                            ; =>This Inner Loop Header: Depth=1
	v_mov_b32_e32 v96, s27
	buffer_load_dword v96, v96, s[0:3], 0 offen
	v_mov_b32_e32 v97, s28
	ds_read_b32 v97, v97
	v_add_u32_e32 v95, -1, v95
	s_add_i32 s28, s28, 4
	s_add_i32 s27, s27, 4
	v_cmp_eq_u32_e32 vcc, 0, v95
	s_or_b64 s[6:7], vcc, s[6:7]
	s_waitcnt vmcnt(0) lgkmcnt(0)
	v_fmac_f32_e32 v94, v96, v97
	s_andn2_b64 exec, exec, s[6:7]
	s_cbranch_execnz .LBB108_303
; %bb.304:
	s_or_b64 exec, exec, s[6:7]
.LBB108_305:
	s_or_b64 exec, exec, s[12:13]
	v_mov_b32_e32 v95, 0
	ds_read_b32 v95, v95 offset:52
	s_waitcnt lgkmcnt(0)
	v_mul_f32_e32 v94, v94, v95
	buffer_store_dword v94, off, s[0:3], 0 offset:52
.LBB108_306:
	s_or_b64 exec, exec, s[8:9]
	buffer_load_dword v94, off, s[0:3], 0 offset:48
	v_cmp_lt_u32_e64 s[6:7], 12, v0
	s_waitcnt vmcnt(0)
	ds_write_b32 v92, v94
	s_waitcnt lgkmcnt(0)
	; wave barrier
	s_and_saveexec_b64 s[8:9], s[6:7]
	s_cbranch_execz .LBB108_316
; %bb.307:
	s_andn2_b64 vcc, exec, s[10:11]
	s_cbranch_vccnz .LBB108_309
; %bb.308:
	buffer_load_dword v94, v93, s[0:3], 0 offen
	ds_read_b32 v95, v92
	s_waitcnt vmcnt(0) lgkmcnt(0)
	v_mul_f32_e32 v94, v94, v95
	s_cbranch_execz .LBB108_310
	s_branch .LBB108_311
.LBB108_309:
                                        ; implicit-def: $vgpr94
.LBB108_310:
	ds_read_b32 v94, v92
.LBB108_311:
	s_and_saveexec_b64 s[12:13], s[4:5]
	s_cbranch_execz .LBB108_315
; %bb.312:
	v_add_u32_e32 v95, -13, v0
	s_movk_i32 s27, 0xf4
	s_mov_b64 s[4:5], 0
.LBB108_313:                            ; =>This Inner Loop Header: Depth=1
	v_mov_b32_e32 v96, s26
	buffer_load_dword v96, v96, s[0:3], 0 offen
	v_mov_b32_e32 v97, s27
	ds_read_b32 v97, v97
	v_add_u32_e32 v95, -1, v95
	s_add_i32 s27, s27, 4
	s_add_i32 s26, s26, 4
	v_cmp_eq_u32_e32 vcc, 0, v95
	s_or_b64 s[4:5], vcc, s[4:5]
	s_waitcnt vmcnt(0) lgkmcnt(0)
	v_fmac_f32_e32 v94, v96, v97
	s_andn2_b64 exec, exec, s[4:5]
	s_cbranch_execnz .LBB108_313
; %bb.314:
	s_or_b64 exec, exec, s[4:5]
.LBB108_315:
	s_or_b64 exec, exec, s[12:13]
	v_mov_b32_e32 v95, 0
	ds_read_b32 v95, v95 offset:48
	s_waitcnt lgkmcnt(0)
	v_mul_f32_e32 v94, v94, v95
	buffer_store_dword v94, off, s[0:3], 0 offset:48
.LBB108_316:
	s_or_b64 exec, exec, s[8:9]
	buffer_load_dword v94, off, s[0:3], 0 offset:44
	v_cmp_lt_u32_e64 s[4:5], 11, v0
	s_waitcnt vmcnt(0)
	ds_write_b32 v92, v94
	s_waitcnt lgkmcnt(0)
	; wave barrier
	s_and_saveexec_b64 s[8:9], s[4:5]
	s_cbranch_execz .LBB108_326
; %bb.317:
	s_andn2_b64 vcc, exec, s[10:11]
	s_cbranch_vccnz .LBB108_319
; %bb.318:
	buffer_load_dword v94, v93, s[0:3], 0 offen
	ds_read_b32 v95, v92
	s_waitcnt vmcnt(0) lgkmcnt(0)
	v_mul_f32_e32 v94, v94, v95
	s_cbranch_execz .LBB108_320
	s_branch .LBB108_321
.LBB108_319:
                                        ; implicit-def: $vgpr94
.LBB108_320:
	ds_read_b32 v94, v92
.LBB108_321:
	s_and_saveexec_b64 s[12:13], s[6:7]
	s_cbranch_execz .LBB108_325
; %bb.322:
	v_add_u32_e32 v95, -12, v0
	s_movk_i32 s26, 0xf0
	s_mov_b64 s[6:7], 0
.LBB108_323:                            ; =>This Inner Loop Header: Depth=1
	v_mov_b32_e32 v96, s25
	buffer_load_dword v96, v96, s[0:3], 0 offen
	v_mov_b32_e32 v97, s26
	ds_read_b32 v97, v97
	v_add_u32_e32 v95, -1, v95
	s_add_i32 s26, s26, 4
	s_add_i32 s25, s25, 4
	v_cmp_eq_u32_e32 vcc, 0, v95
	s_or_b64 s[6:7], vcc, s[6:7]
	s_waitcnt vmcnt(0) lgkmcnt(0)
	v_fmac_f32_e32 v94, v96, v97
	s_andn2_b64 exec, exec, s[6:7]
	s_cbranch_execnz .LBB108_323
; %bb.324:
	s_or_b64 exec, exec, s[6:7]
.LBB108_325:
	s_or_b64 exec, exec, s[12:13]
	v_mov_b32_e32 v95, 0
	ds_read_b32 v95, v95 offset:44
	s_waitcnt lgkmcnt(0)
	v_mul_f32_e32 v94, v94, v95
	buffer_store_dword v94, off, s[0:3], 0 offset:44
.LBB108_326:
	s_or_b64 exec, exec, s[8:9]
	buffer_load_dword v94, off, s[0:3], 0 offset:40
	v_cmp_lt_u32_e64 s[6:7], 10, v0
	s_waitcnt vmcnt(0)
	ds_write_b32 v92, v94
	s_waitcnt lgkmcnt(0)
	; wave barrier
	s_and_saveexec_b64 s[8:9], s[6:7]
	s_cbranch_execz .LBB108_336
; %bb.327:
	s_andn2_b64 vcc, exec, s[10:11]
	s_cbranch_vccnz .LBB108_329
; %bb.328:
	buffer_load_dword v94, v93, s[0:3], 0 offen
	ds_read_b32 v95, v92
	s_waitcnt vmcnt(0) lgkmcnt(0)
	v_mul_f32_e32 v94, v94, v95
	s_cbranch_execz .LBB108_330
	s_branch .LBB108_331
.LBB108_329:
                                        ; implicit-def: $vgpr94
.LBB108_330:
	ds_read_b32 v94, v92
.LBB108_331:
	s_and_saveexec_b64 s[12:13], s[4:5]
	s_cbranch_execz .LBB108_335
; %bb.332:
	v_add_u32_e32 v95, -11, v0
	s_movk_i32 s25, 0xec
	s_mov_b64 s[4:5], 0
.LBB108_333:                            ; =>This Inner Loop Header: Depth=1
	v_mov_b32_e32 v96, s24
	buffer_load_dword v96, v96, s[0:3], 0 offen
	v_mov_b32_e32 v97, s25
	ds_read_b32 v97, v97
	v_add_u32_e32 v95, -1, v95
	s_add_i32 s25, s25, 4
	s_add_i32 s24, s24, 4
	v_cmp_eq_u32_e32 vcc, 0, v95
	s_or_b64 s[4:5], vcc, s[4:5]
	s_waitcnt vmcnt(0) lgkmcnt(0)
	v_fmac_f32_e32 v94, v96, v97
	s_andn2_b64 exec, exec, s[4:5]
	s_cbranch_execnz .LBB108_333
; %bb.334:
	s_or_b64 exec, exec, s[4:5]
.LBB108_335:
	s_or_b64 exec, exec, s[12:13]
	v_mov_b32_e32 v95, 0
	ds_read_b32 v95, v95 offset:40
	s_waitcnt lgkmcnt(0)
	v_mul_f32_e32 v94, v94, v95
	buffer_store_dword v94, off, s[0:3], 0 offset:40
.LBB108_336:
	s_or_b64 exec, exec, s[8:9]
	buffer_load_dword v94, off, s[0:3], 0 offset:36
	v_cmp_lt_u32_e64 s[4:5], 9, v0
	s_waitcnt vmcnt(0)
	ds_write_b32 v92, v94
	s_waitcnt lgkmcnt(0)
	; wave barrier
	s_and_saveexec_b64 s[8:9], s[4:5]
	s_cbranch_execz .LBB108_346
; %bb.337:
	s_andn2_b64 vcc, exec, s[10:11]
	s_cbranch_vccnz .LBB108_339
; %bb.338:
	buffer_load_dword v94, v93, s[0:3], 0 offen
	ds_read_b32 v95, v92
	s_waitcnt vmcnt(0) lgkmcnt(0)
	v_mul_f32_e32 v94, v94, v95
	s_cbranch_execz .LBB108_340
	s_branch .LBB108_341
.LBB108_339:
                                        ; implicit-def: $vgpr94
.LBB108_340:
	ds_read_b32 v94, v92
.LBB108_341:
	s_and_saveexec_b64 s[12:13], s[6:7]
	s_cbranch_execz .LBB108_345
; %bb.342:
	v_add_u32_e32 v95, -10, v0
	s_movk_i32 s24, 0xe8
	s_mov_b64 s[6:7], 0
.LBB108_343:                            ; =>This Inner Loop Header: Depth=1
	v_mov_b32_e32 v96, s23
	buffer_load_dword v96, v96, s[0:3], 0 offen
	v_mov_b32_e32 v97, s24
	ds_read_b32 v97, v97
	v_add_u32_e32 v95, -1, v95
	s_add_i32 s24, s24, 4
	s_add_i32 s23, s23, 4
	v_cmp_eq_u32_e32 vcc, 0, v95
	s_or_b64 s[6:7], vcc, s[6:7]
	s_waitcnt vmcnt(0) lgkmcnt(0)
	v_fmac_f32_e32 v94, v96, v97
	s_andn2_b64 exec, exec, s[6:7]
	s_cbranch_execnz .LBB108_343
; %bb.344:
	s_or_b64 exec, exec, s[6:7]
.LBB108_345:
	s_or_b64 exec, exec, s[12:13]
	v_mov_b32_e32 v95, 0
	ds_read_b32 v95, v95 offset:36
	s_waitcnt lgkmcnt(0)
	v_mul_f32_e32 v94, v94, v95
	buffer_store_dword v94, off, s[0:3], 0 offset:36
.LBB108_346:
	s_or_b64 exec, exec, s[8:9]
	buffer_load_dword v94, off, s[0:3], 0 offset:32
	v_cmp_lt_u32_e64 s[6:7], 8, v0
	s_waitcnt vmcnt(0)
	ds_write_b32 v92, v94
	s_waitcnt lgkmcnt(0)
	; wave barrier
	s_and_saveexec_b64 s[8:9], s[6:7]
	s_cbranch_execz .LBB108_356
; %bb.347:
	s_andn2_b64 vcc, exec, s[10:11]
	s_cbranch_vccnz .LBB108_349
; %bb.348:
	buffer_load_dword v94, v93, s[0:3], 0 offen
	ds_read_b32 v95, v92
	s_waitcnt vmcnt(0) lgkmcnt(0)
	v_mul_f32_e32 v94, v94, v95
	s_cbranch_execz .LBB108_350
	s_branch .LBB108_351
.LBB108_349:
                                        ; implicit-def: $vgpr94
.LBB108_350:
	ds_read_b32 v94, v92
.LBB108_351:
	s_and_saveexec_b64 s[12:13], s[4:5]
	s_cbranch_execz .LBB108_355
; %bb.352:
	v_add_u32_e32 v95, -9, v0
	s_movk_i32 s23, 0xe4
	s_mov_b64 s[4:5], 0
.LBB108_353:                            ; =>This Inner Loop Header: Depth=1
	v_mov_b32_e32 v96, s22
	buffer_load_dword v96, v96, s[0:3], 0 offen
	v_mov_b32_e32 v97, s23
	ds_read_b32 v97, v97
	v_add_u32_e32 v95, -1, v95
	s_add_i32 s23, s23, 4
	s_add_i32 s22, s22, 4
	v_cmp_eq_u32_e32 vcc, 0, v95
	s_or_b64 s[4:5], vcc, s[4:5]
	s_waitcnt vmcnt(0) lgkmcnt(0)
	v_fmac_f32_e32 v94, v96, v97
	s_andn2_b64 exec, exec, s[4:5]
	s_cbranch_execnz .LBB108_353
; %bb.354:
	s_or_b64 exec, exec, s[4:5]
.LBB108_355:
	s_or_b64 exec, exec, s[12:13]
	v_mov_b32_e32 v95, 0
	ds_read_b32 v95, v95 offset:32
	s_waitcnt lgkmcnt(0)
	v_mul_f32_e32 v94, v94, v95
	buffer_store_dword v94, off, s[0:3], 0 offset:32
.LBB108_356:
	s_or_b64 exec, exec, s[8:9]
	buffer_load_dword v94, off, s[0:3], 0 offset:28
	v_cmp_lt_u32_e64 s[4:5], 7, v0
	s_waitcnt vmcnt(0)
	ds_write_b32 v92, v94
	s_waitcnt lgkmcnt(0)
	; wave barrier
	s_and_saveexec_b64 s[8:9], s[4:5]
	s_cbranch_execz .LBB108_366
; %bb.357:
	s_andn2_b64 vcc, exec, s[10:11]
	s_cbranch_vccnz .LBB108_359
; %bb.358:
	buffer_load_dword v94, v93, s[0:3], 0 offen
	ds_read_b32 v95, v92
	s_waitcnt vmcnt(0) lgkmcnt(0)
	v_mul_f32_e32 v94, v94, v95
	s_cbranch_execz .LBB108_360
	s_branch .LBB108_361
.LBB108_359:
                                        ; implicit-def: $vgpr94
.LBB108_360:
	ds_read_b32 v94, v92
.LBB108_361:
	s_and_saveexec_b64 s[12:13], s[6:7]
	s_cbranch_execz .LBB108_365
; %bb.362:
	v_add_u32_e32 v95, -8, v0
	s_movk_i32 s22, 0xe0
	s_mov_b64 s[6:7], 0
.LBB108_363:                            ; =>This Inner Loop Header: Depth=1
	v_mov_b32_e32 v96, s21
	buffer_load_dword v96, v96, s[0:3], 0 offen
	v_mov_b32_e32 v97, s22
	ds_read_b32 v97, v97
	v_add_u32_e32 v95, -1, v95
	s_add_i32 s22, s22, 4
	s_add_i32 s21, s21, 4
	v_cmp_eq_u32_e32 vcc, 0, v95
	s_or_b64 s[6:7], vcc, s[6:7]
	s_waitcnt vmcnt(0) lgkmcnt(0)
	v_fmac_f32_e32 v94, v96, v97
	s_andn2_b64 exec, exec, s[6:7]
	s_cbranch_execnz .LBB108_363
; %bb.364:
	s_or_b64 exec, exec, s[6:7]
.LBB108_365:
	s_or_b64 exec, exec, s[12:13]
	v_mov_b32_e32 v95, 0
	ds_read_b32 v95, v95 offset:28
	s_waitcnt lgkmcnt(0)
	v_mul_f32_e32 v94, v94, v95
	buffer_store_dword v94, off, s[0:3], 0 offset:28
.LBB108_366:
	s_or_b64 exec, exec, s[8:9]
	buffer_load_dword v94, off, s[0:3], 0 offset:24
	v_cmp_lt_u32_e64 s[6:7], 6, v0
	s_waitcnt vmcnt(0)
	ds_write_b32 v92, v94
	s_waitcnt lgkmcnt(0)
	; wave barrier
	s_and_saveexec_b64 s[8:9], s[6:7]
	s_cbranch_execz .LBB108_376
; %bb.367:
	s_andn2_b64 vcc, exec, s[10:11]
	s_cbranch_vccnz .LBB108_369
; %bb.368:
	buffer_load_dword v94, v93, s[0:3], 0 offen
	ds_read_b32 v95, v92
	s_waitcnt vmcnt(0) lgkmcnt(0)
	v_mul_f32_e32 v94, v94, v95
	s_cbranch_execz .LBB108_370
	s_branch .LBB108_371
.LBB108_369:
                                        ; implicit-def: $vgpr94
.LBB108_370:
	ds_read_b32 v94, v92
.LBB108_371:
	s_and_saveexec_b64 s[12:13], s[4:5]
	s_cbranch_execz .LBB108_375
; %bb.372:
	v_add_u32_e32 v95, -7, v0
	s_movk_i32 s21, 0xdc
	s_mov_b64 s[4:5], 0
.LBB108_373:                            ; =>This Inner Loop Header: Depth=1
	v_mov_b32_e32 v96, s20
	buffer_load_dword v96, v96, s[0:3], 0 offen
	v_mov_b32_e32 v97, s21
	ds_read_b32 v97, v97
	v_add_u32_e32 v95, -1, v95
	s_add_i32 s21, s21, 4
	s_add_i32 s20, s20, 4
	v_cmp_eq_u32_e32 vcc, 0, v95
	s_or_b64 s[4:5], vcc, s[4:5]
	s_waitcnt vmcnt(0) lgkmcnt(0)
	v_fmac_f32_e32 v94, v96, v97
	s_andn2_b64 exec, exec, s[4:5]
	s_cbranch_execnz .LBB108_373
; %bb.374:
	s_or_b64 exec, exec, s[4:5]
.LBB108_375:
	s_or_b64 exec, exec, s[12:13]
	v_mov_b32_e32 v95, 0
	ds_read_b32 v95, v95 offset:24
	s_waitcnt lgkmcnt(0)
	v_mul_f32_e32 v94, v94, v95
	buffer_store_dword v94, off, s[0:3], 0 offset:24
.LBB108_376:
	s_or_b64 exec, exec, s[8:9]
	buffer_load_dword v94, off, s[0:3], 0 offset:20
	v_cmp_lt_u32_e64 s[4:5], 5, v0
	s_waitcnt vmcnt(0)
	ds_write_b32 v92, v94
	s_waitcnt lgkmcnt(0)
	; wave barrier
	s_and_saveexec_b64 s[8:9], s[4:5]
	s_cbranch_execz .LBB108_386
; %bb.377:
	s_andn2_b64 vcc, exec, s[10:11]
	s_cbranch_vccnz .LBB108_379
; %bb.378:
	buffer_load_dword v94, v93, s[0:3], 0 offen
	ds_read_b32 v95, v92
	s_waitcnt vmcnt(0) lgkmcnt(0)
	v_mul_f32_e32 v94, v94, v95
	s_cbranch_execz .LBB108_380
	s_branch .LBB108_381
.LBB108_379:
                                        ; implicit-def: $vgpr94
.LBB108_380:
	ds_read_b32 v94, v92
.LBB108_381:
	s_and_saveexec_b64 s[12:13], s[6:7]
	s_cbranch_execz .LBB108_385
; %bb.382:
	v_add_u32_e32 v95, -6, v0
	s_movk_i32 s20, 0xd8
	s_mov_b64 s[6:7], 0
.LBB108_383:                            ; =>This Inner Loop Header: Depth=1
	v_mov_b32_e32 v96, s19
	buffer_load_dword v96, v96, s[0:3], 0 offen
	v_mov_b32_e32 v97, s20
	ds_read_b32 v97, v97
	v_add_u32_e32 v95, -1, v95
	s_add_i32 s20, s20, 4
	s_add_i32 s19, s19, 4
	v_cmp_eq_u32_e32 vcc, 0, v95
	s_or_b64 s[6:7], vcc, s[6:7]
	s_waitcnt vmcnt(0) lgkmcnt(0)
	v_fmac_f32_e32 v94, v96, v97
	s_andn2_b64 exec, exec, s[6:7]
	s_cbranch_execnz .LBB108_383
; %bb.384:
	s_or_b64 exec, exec, s[6:7]
.LBB108_385:
	s_or_b64 exec, exec, s[12:13]
	v_mov_b32_e32 v95, 0
	ds_read_b32 v95, v95 offset:20
	s_waitcnt lgkmcnt(0)
	v_mul_f32_e32 v94, v94, v95
	buffer_store_dword v94, off, s[0:3], 0 offset:20
.LBB108_386:
	s_or_b64 exec, exec, s[8:9]
	buffer_load_dword v94, off, s[0:3], 0 offset:16
	v_cmp_lt_u32_e64 s[6:7], 4, v0
	s_waitcnt vmcnt(0)
	ds_write_b32 v92, v94
	s_waitcnt lgkmcnt(0)
	; wave barrier
	s_and_saveexec_b64 s[8:9], s[6:7]
	s_cbranch_execz .LBB108_396
; %bb.387:
	s_andn2_b64 vcc, exec, s[10:11]
	s_cbranch_vccnz .LBB108_389
; %bb.388:
	buffer_load_dword v94, v93, s[0:3], 0 offen
	ds_read_b32 v95, v92
	s_waitcnt vmcnt(0) lgkmcnt(0)
	v_mul_f32_e32 v94, v94, v95
	s_cbranch_execz .LBB108_390
	s_branch .LBB108_391
.LBB108_389:
                                        ; implicit-def: $vgpr94
.LBB108_390:
	ds_read_b32 v94, v92
.LBB108_391:
	s_and_saveexec_b64 s[12:13], s[4:5]
	s_cbranch_execz .LBB108_395
; %bb.392:
	v_add_u32_e32 v95, -5, v0
	s_movk_i32 s19, 0xd4
	s_mov_b64 s[4:5], 0
.LBB108_393:                            ; =>This Inner Loop Header: Depth=1
	v_mov_b32_e32 v96, s18
	buffer_load_dword v96, v96, s[0:3], 0 offen
	v_mov_b32_e32 v97, s19
	ds_read_b32 v97, v97
	v_add_u32_e32 v95, -1, v95
	s_add_i32 s19, s19, 4
	s_add_i32 s18, s18, 4
	v_cmp_eq_u32_e32 vcc, 0, v95
	s_or_b64 s[4:5], vcc, s[4:5]
	s_waitcnt vmcnt(0) lgkmcnt(0)
	v_fmac_f32_e32 v94, v96, v97
	s_andn2_b64 exec, exec, s[4:5]
	s_cbranch_execnz .LBB108_393
; %bb.394:
	s_or_b64 exec, exec, s[4:5]
.LBB108_395:
	s_or_b64 exec, exec, s[12:13]
	v_mov_b32_e32 v95, 0
	ds_read_b32 v95, v95 offset:16
	s_waitcnt lgkmcnt(0)
	v_mul_f32_e32 v94, v94, v95
	buffer_store_dword v94, off, s[0:3], 0 offset:16
.LBB108_396:
	s_or_b64 exec, exec, s[8:9]
	buffer_load_dword v94, off, s[0:3], 0 offset:12
	v_cmp_lt_u32_e64 s[4:5], 3, v0
	s_waitcnt vmcnt(0)
	ds_write_b32 v92, v94
	s_waitcnt lgkmcnt(0)
	; wave barrier
	s_and_saveexec_b64 s[8:9], s[4:5]
	s_cbranch_execz .LBB108_406
; %bb.397:
	s_andn2_b64 vcc, exec, s[10:11]
	s_cbranch_vccnz .LBB108_399
; %bb.398:
	buffer_load_dword v94, v93, s[0:3], 0 offen
	ds_read_b32 v95, v92
	s_waitcnt vmcnt(0) lgkmcnt(0)
	v_mul_f32_e32 v94, v94, v95
	s_cbranch_execz .LBB108_400
	s_branch .LBB108_401
.LBB108_399:
                                        ; implicit-def: $vgpr94
.LBB108_400:
	ds_read_b32 v94, v92
.LBB108_401:
	s_and_saveexec_b64 s[12:13], s[6:7]
	s_cbranch_execz .LBB108_405
; %bb.402:
	v_add_u32_e32 v95, -4, v0
	s_movk_i32 s18, 0xd0
	s_mov_b64 s[6:7], 0
.LBB108_403:                            ; =>This Inner Loop Header: Depth=1
	v_mov_b32_e32 v96, s17
	buffer_load_dword v96, v96, s[0:3], 0 offen
	v_mov_b32_e32 v97, s18
	ds_read_b32 v97, v97
	v_add_u32_e32 v95, -1, v95
	s_add_i32 s18, s18, 4
	s_add_i32 s17, s17, 4
	v_cmp_eq_u32_e32 vcc, 0, v95
	s_or_b64 s[6:7], vcc, s[6:7]
	s_waitcnt vmcnt(0) lgkmcnt(0)
	v_fmac_f32_e32 v94, v96, v97
	s_andn2_b64 exec, exec, s[6:7]
	s_cbranch_execnz .LBB108_403
; %bb.404:
	s_or_b64 exec, exec, s[6:7]
.LBB108_405:
	s_or_b64 exec, exec, s[12:13]
	v_mov_b32_e32 v95, 0
	ds_read_b32 v95, v95 offset:12
	s_waitcnt lgkmcnt(0)
	v_mul_f32_e32 v94, v94, v95
	buffer_store_dword v94, off, s[0:3], 0 offset:12
.LBB108_406:
	s_or_b64 exec, exec, s[8:9]
	buffer_load_dword v94, off, s[0:3], 0 offset:8
	v_cmp_lt_u32_e64 s[6:7], 2, v0
	s_waitcnt vmcnt(0)
	ds_write_b32 v92, v94
	s_waitcnt lgkmcnt(0)
	; wave barrier
	s_and_saveexec_b64 s[8:9], s[6:7]
	s_cbranch_execz .LBB108_416
; %bb.407:
	s_andn2_b64 vcc, exec, s[10:11]
	s_cbranch_vccnz .LBB108_409
; %bb.408:
	buffer_load_dword v94, v93, s[0:3], 0 offen
	ds_read_b32 v95, v92
	s_waitcnt vmcnt(0) lgkmcnt(0)
	v_mul_f32_e32 v94, v94, v95
	s_cbranch_execz .LBB108_410
	s_branch .LBB108_411
.LBB108_409:
                                        ; implicit-def: $vgpr94
.LBB108_410:
	ds_read_b32 v94, v92
.LBB108_411:
	s_and_saveexec_b64 s[12:13], s[4:5]
	s_cbranch_execz .LBB108_415
; %bb.412:
	v_add_u32_e32 v95, -3, v0
	s_movk_i32 s17, 0xcc
	s_mov_b64 s[4:5], 0
.LBB108_413:                            ; =>This Inner Loop Header: Depth=1
	v_mov_b32_e32 v96, s16
	buffer_load_dword v96, v96, s[0:3], 0 offen
	v_mov_b32_e32 v97, s17
	ds_read_b32 v97, v97
	v_add_u32_e32 v95, -1, v95
	s_add_i32 s17, s17, 4
	s_add_i32 s16, s16, 4
	v_cmp_eq_u32_e32 vcc, 0, v95
	s_or_b64 s[4:5], vcc, s[4:5]
	s_waitcnt vmcnt(0) lgkmcnt(0)
	v_fmac_f32_e32 v94, v96, v97
	s_andn2_b64 exec, exec, s[4:5]
	s_cbranch_execnz .LBB108_413
; %bb.414:
	s_or_b64 exec, exec, s[4:5]
.LBB108_415:
	s_or_b64 exec, exec, s[12:13]
	v_mov_b32_e32 v95, 0
	ds_read_b32 v95, v95 offset:8
	s_waitcnt lgkmcnt(0)
	v_mul_f32_e32 v94, v94, v95
	buffer_store_dword v94, off, s[0:3], 0 offset:8
.LBB108_416:
	s_or_b64 exec, exec, s[8:9]
	buffer_load_dword v94, off, s[0:3], 0 offset:4
	v_cmp_lt_u32_e64 s[4:5], 1, v0
	s_waitcnt vmcnt(0)
	ds_write_b32 v92, v94
	s_waitcnt lgkmcnt(0)
	; wave barrier
	s_and_saveexec_b64 s[8:9], s[4:5]
	s_cbranch_execz .LBB108_426
; %bb.417:
	s_andn2_b64 vcc, exec, s[10:11]
	s_cbranch_vccnz .LBB108_419
; %bb.418:
	buffer_load_dword v94, v93, s[0:3], 0 offen
	ds_read_b32 v95, v92
	s_waitcnt vmcnt(0) lgkmcnt(0)
	v_mul_f32_e32 v94, v94, v95
	s_cbranch_execz .LBB108_420
	s_branch .LBB108_421
.LBB108_419:
                                        ; implicit-def: $vgpr94
.LBB108_420:
	ds_read_b32 v94, v92
.LBB108_421:
	s_and_saveexec_b64 s[12:13], s[6:7]
	s_cbranch_execz .LBB108_425
; %bb.422:
	v_add_u32_e32 v95, -2, v0
	s_movk_i32 s16, 0xc8
	s_mov_b64 s[6:7], 0
.LBB108_423:                            ; =>This Inner Loop Header: Depth=1
	v_mov_b32_e32 v96, s15
	buffer_load_dword v96, v96, s[0:3], 0 offen
	v_mov_b32_e32 v97, s16
	ds_read_b32 v97, v97
	v_add_u32_e32 v95, -1, v95
	s_add_i32 s16, s16, 4
	s_add_i32 s15, s15, 4
	v_cmp_eq_u32_e32 vcc, 0, v95
	s_or_b64 s[6:7], vcc, s[6:7]
	s_waitcnt vmcnt(0) lgkmcnt(0)
	v_fmac_f32_e32 v94, v96, v97
	s_andn2_b64 exec, exec, s[6:7]
	s_cbranch_execnz .LBB108_423
; %bb.424:
	s_or_b64 exec, exec, s[6:7]
.LBB108_425:
	s_or_b64 exec, exec, s[12:13]
	v_mov_b32_e32 v95, 0
	ds_read_b32 v95, v95 offset:4
	s_waitcnt lgkmcnt(0)
	v_mul_f32_e32 v94, v94, v95
	buffer_store_dword v94, off, s[0:3], 0 offset:4
.LBB108_426:
	s_or_b64 exec, exec, s[8:9]
	buffer_load_dword v94, off, s[0:3], 0
	v_cmp_ne_u32_e32 vcc, 0, v0
	s_waitcnt vmcnt(0)
	ds_write_b32 v92, v94
	s_waitcnt lgkmcnt(0)
	; wave barrier
	s_and_saveexec_b64 s[6:7], vcc
	s_cbranch_execz .LBB108_436
; %bb.427:
	s_andn2_b64 vcc, exec, s[10:11]
	s_cbranch_vccnz .LBB108_429
; %bb.428:
	buffer_load_dword v94, v93, s[0:3], 0 offen
	ds_read_b32 v95, v92
	s_waitcnt vmcnt(0) lgkmcnt(0)
	v_mul_f32_e32 v94, v94, v95
	s_cbranch_execz .LBB108_430
	s_branch .LBB108_431
.LBB108_429:
                                        ; implicit-def: $vgpr94
.LBB108_430:
	ds_read_b32 v94, v92
.LBB108_431:
	s_and_saveexec_b64 s[8:9], s[4:5]
	s_cbranch_execz .LBB108_435
; %bb.432:
	v_add_u32_e32 v95, -1, v0
	s_movk_i32 s12, 0xc4
	s_mov_b64 s[4:5], 0
.LBB108_433:                            ; =>This Inner Loop Header: Depth=1
	v_mov_b32_e32 v96, s14
	buffer_load_dword v96, v96, s[0:3], 0 offen
	v_mov_b32_e32 v97, s12
	ds_read_b32 v97, v97
	v_add_u32_e32 v95, -1, v95
	s_add_i32 s12, s12, 4
	s_add_i32 s14, s14, 4
	v_cmp_eq_u32_e32 vcc, 0, v95
	s_or_b64 s[4:5], vcc, s[4:5]
	s_waitcnt vmcnt(0) lgkmcnt(0)
	v_fmac_f32_e32 v94, v96, v97
	s_andn2_b64 exec, exec, s[4:5]
	s_cbranch_execnz .LBB108_433
; %bb.434:
	s_or_b64 exec, exec, s[4:5]
.LBB108_435:
	s_or_b64 exec, exec, s[8:9]
	v_mov_b32_e32 v95, 0
	ds_read_b32 v95, v95
	s_waitcnt lgkmcnt(0)
	v_mul_f32_e32 v94, v94, v95
	buffer_store_dword v94, off, s[0:3], 0
.LBB108_436:
	s_or_b64 exec, exec, s[6:7]
	s_mov_b64 s[4:5], 0
.LBB108_437:
	s_and_b64 vcc, exec, s[4:5]
	s_cbranch_vccz .LBB108_869
; %bb.438:
	buffer_load_dword v94, off, s[0:3], 0 offset:4
	v_cmp_eq_u32_e64 s[6:7], 0, v0
	s_waitcnt vmcnt(0)
	ds_write_b32 v92, v94
	s_waitcnt lgkmcnt(0)
	; wave barrier
	s_and_saveexec_b64 s[4:5], s[6:7]
	s_cbranch_execz .LBB108_444
; %bb.439:
	s_and_b64 vcc, exec, s[10:11]
	s_cbranch_vccz .LBB108_441
; %bb.440:
	buffer_load_dword v94, v93, s[0:3], 0 offen
	ds_read_b32 v95, v92
	s_waitcnt vmcnt(0) lgkmcnt(0)
	v_mul_f32_e32 v94, v94, v95
	s_cbranch_execz .LBB108_442
	s_branch .LBB108_443
.LBB108_441:
                                        ; implicit-def: $vgpr94
.LBB108_442:
	ds_read_b32 v94, v92
.LBB108_443:
	v_mov_b32_e32 v95, 0
	ds_read_b32 v95, v95 offset:4
	s_waitcnt lgkmcnt(0)
	v_mul_f32_e32 v94, v94, v95
	buffer_store_dword v94, off, s[0:3], 0 offset:4
.LBB108_444:
	s_or_b64 exec, exec, s[4:5]
	buffer_load_dword v94, off, s[0:3], 0 offset:8
	v_cndmask_b32_e64 v95, 0, 1, s[10:11]
	v_cmp_gt_u32_e32 vcc, 2, v0
	v_cmp_ne_u32_e64 s[4:5], 1, v95
	s_waitcnt vmcnt(0)
	ds_write_b32 v92, v94
	s_waitcnt lgkmcnt(0)
	; wave barrier
	s_and_saveexec_b64 s[8:9], vcc
	s_cbranch_execz .LBB108_450
; %bb.445:
	s_and_b64 vcc, exec, s[4:5]
	s_cbranch_vccnz .LBB108_447
; %bb.446:
	buffer_load_dword v94, v93, s[0:3], 0 offen
	ds_read_b32 v95, v92
	s_waitcnt vmcnt(0) lgkmcnt(0)
	v_mul_f32_e32 v94, v94, v95
	s_cbranch_execz .LBB108_448
	s_branch .LBB108_449
.LBB108_447:
                                        ; implicit-def: $vgpr94
.LBB108_448:
	ds_read_b32 v94, v92
.LBB108_449:
	buffer_load_dword v97, off, s[0:3], 0 offset:4
	v_mov_b32_e32 v95, 0
	ds_read2_b32 v[95:96], v95 offset0:2 offset1:49
	s_waitcnt vmcnt(0) lgkmcnt(0)
	v_fma_f32 v96, v97, v96, v94
	v_cndmask_b32_e64 v94, v94, v96, s[6:7]
	v_mul_f32_e32 v94, v94, v95
	buffer_store_dword v94, off, s[0:3], 0 offset:8
.LBB108_450:
	s_or_b64 exec, exec, s[8:9]
	buffer_load_dword v94, off, s[0:3], 0 offset:12
	v_cmp_gt_u32_e32 vcc, 3, v0
	s_waitcnt vmcnt(0)
	ds_write_b32 v92, v94
	s_waitcnt lgkmcnt(0)
	; wave barrier
	s_and_saveexec_b64 s[8:9], vcc
	s_cbranch_execz .LBB108_458
; %bb.451:
	s_and_b64 vcc, exec, s[4:5]
	s_cbranch_vccnz .LBB108_453
; %bb.452:
	buffer_load_dword v94, v93, s[0:3], 0 offen
	ds_read_b32 v95, v92
	s_waitcnt vmcnt(0) lgkmcnt(0)
	v_mul_f32_e32 v94, v94, v95
	s_cbranch_execz .LBB108_454
	s_branch .LBB108_455
.LBB108_453:
                                        ; implicit-def: $vgpr94
.LBB108_454:
	ds_read_b32 v94, v92
.LBB108_455:
	v_cmp_ne_u32_e32 vcc, 2, v0
	s_and_saveexec_b64 s[10:11], vcc
	s_cbranch_execz .LBB108_457
; %bb.456:
	buffer_load_dword v95, v93, s[0:3], 0 offen offset:4
	buffer_load_dword v96, off, s[0:3], 0 offset:8
	v_mov_b32_e32 v97, 0
	ds_read_b32 v98, v92 offset:4
	ds_read_b32 v97, v97 offset:200
	s_waitcnt vmcnt(1) lgkmcnt(1)
	v_fmac_f32_e32 v94, v95, v98
	s_waitcnt vmcnt(0) lgkmcnt(0)
	v_fma_f32 v95, v96, v97, v94
	v_cndmask_b32_e64 v94, v94, v95, s[6:7]
.LBB108_457:
	s_or_b64 exec, exec, s[10:11]
	v_mov_b32_e32 v95, 0
	ds_read_b32 v95, v95 offset:12
	s_waitcnt lgkmcnt(0)
	v_mul_f32_e32 v94, v94, v95
	buffer_store_dword v94, off, s[0:3], 0 offset:12
.LBB108_458:
	s_or_b64 exec, exec, s[8:9]
	buffer_load_dword v94, off, s[0:3], 0 offset:16
	v_cmp_gt_u32_e32 vcc, 4, v0
	s_waitcnt vmcnt(0)
	ds_write_b32 v92, v94
	s_waitcnt lgkmcnt(0)
	; wave barrier
	s_and_saveexec_b64 s[6:7], vcc
	s_cbranch_execz .LBB108_468
; %bb.459:
	s_and_b64 vcc, exec, s[4:5]
	s_cbranch_vccnz .LBB108_461
; %bb.460:
	buffer_load_dword v94, v93, s[0:3], 0 offen
	ds_read_b32 v95, v92
	s_waitcnt vmcnt(0) lgkmcnt(0)
	v_mul_f32_e32 v94, v94, v95
	s_cbranch_execz .LBB108_462
	s_branch .LBB108_463
.LBB108_461:
                                        ; implicit-def: $vgpr94
.LBB108_462:
	ds_read_b32 v94, v92
.LBB108_463:
	v_cmp_ne_u32_e32 vcc, 3, v0
	s_and_saveexec_b64 s[8:9], vcc
	s_cbranch_execz .LBB108_467
; %bb.464:
	s_mov_b32 s10, 0
	v_add_u32_e32 v95, 0xc4, v91
	v_add3_u32 v96, v91, s10, 4
	s_mov_b64 s[10:11], 0
	v_mov_b32_e32 v97, v0
.LBB108_465:                            ; =>This Inner Loop Header: Depth=1
	buffer_load_dword v98, v96, s[0:3], 0 offen
	ds_read_b32 v99, v95
	v_add_u32_e32 v97, 1, v97
	v_cmp_lt_u32_e32 vcc, 2, v97
	v_add_u32_e32 v95, 4, v95
	v_add_u32_e32 v96, 4, v96
	s_or_b64 s[10:11], vcc, s[10:11]
	s_waitcnt vmcnt(0) lgkmcnt(0)
	v_fmac_f32_e32 v94, v98, v99
	s_andn2_b64 exec, exec, s[10:11]
	s_cbranch_execnz .LBB108_465
; %bb.466:
	s_or_b64 exec, exec, s[10:11]
.LBB108_467:
	s_or_b64 exec, exec, s[8:9]
	v_mov_b32_e32 v95, 0
	ds_read_b32 v95, v95 offset:16
	s_waitcnt lgkmcnt(0)
	v_mul_f32_e32 v94, v94, v95
	buffer_store_dword v94, off, s[0:3], 0 offset:16
.LBB108_468:
	s_or_b64 exec, exec, s[6:7]
	buffer_load_dword v94, off, s[0:3], 0 offset:20
	v_cmp_gt_u32_e32 vcc, 5, v0
	s_waitcnt vmcnt(0)
	ds_write_b32 v92, v94
	s_waitcnt lgkmcnt(0)
	; wave barrier
	s_and_saveexec_b64 s[6:7], vcc
	s_cbranch_execz .LBB108_478
; %bb.469:
	s_and_b64 vcc, exec, s[4:5]
	s_cbranch_vccnz .LBB108_471
; %bb.470:
	buffer_load_dword v94, v93, s[0:3], 0 offen
	ds_read_b32 v95, v92
	s_waitcnt vmcnt(0) lgkmcnt(0)
	v_mul_f32_e32 v94, v94, v95
	s_cbranch_execz .LBB108_472
	s_branch .LBB108_473
.LBB108_471:
                                        ; implicit-def: $vgpr94
.LBB108_472:
	ds_read_b32 v94, v92
.LBB108_473:
	v_cmp_ne_u32_e32 vcc, 4, v0
	s_and_saveexec_b64 s[8:9], vcc
	s_cbranch_execz .LBB108_477
; %bb.474:
	s_mov_b32 s10, 0
	v_add_u32_e32 v95, 0xc4, v91
	v_add3_u32 v96, v91, s10, 4
	s_mov_b64 s[10:11], 0
	v_mov_b32_e32 v97, v0
.LBB108_475:                            ; =>This Inner Loop Header: Depth=1
	buffer_load_dword v98, v96, s[0:3], 0 offen
	ds_read_b32 v99, v95
	v_add_u32_e32 v97, 1, v97
	v_cmp_lt_u32_e32 vcc, 3, v97
	v_add_u32_e32 v95, 4, v95
	v_add_u32_e32 v96, 4, v96
	s_or_b64 s[10:11], vcc, s[10:11]
	s_waitcnt vmcnt(0) lgkmcnt(0)
	v_fmac_f32_e32 v94, v98, v99
	s_andn2_b64 exec, exec, s[10:11]
	s_cbranch_execnz .LBB108_475
; %bb.476:
	s_or_b64 exec, exec, s[10:11]
.LBB108_477:
	s_or_b64 exec, exec, s[8:9]
	v_mov_b32_e32 v95, 0
	ds_read_b32 v95, v95 offset:20
	s_waitcnt lgkmcnt(0)
	v_mul_f32_e32 v94, v94, v95
	buffer_store_dword v94, off, s[0:3], 0 offset:20
.LBB108_478:
	;; [unrolled: 55-line block ×39, first 2 shown]
	s_or_b64 exec, exec, s[6:7]
	buffer_load_dword v94, off, s[0:3], 0 offset:172
	v_cmp_gt_u32_e64 s[6:7], 43, v0
	s_waitcnt vmcnt(0)
	ds_write_b32 v92, v94
	s_waitcnt lgkmcnt(0)
	; wave barrier
	s_and_saveexec_b64 s[8:9], s[6:7]
	s_cbranch_execz .LBB108_858
; %bb.849:
	s_and_b64 vcc, exec, s[4:5]
	s_cbranch_vccnz .LBB108_851
; %bb.850:
	buffer_load_dword v94, v93, s[0:3], 0 offen
	ds_read_b32 v95, v92
	s_waitcnt vmcnt(0) lgkmcnt(0)
	v_mul_f32_e32 v94, v94, v95
	s_cbranch_execz .LBB108_852
	s_branch .LBB108_853
.LBB108_851:
                                        ; implicit-def: $vgpr94
.LBB108_852:
	ds_read_b32 v94, v92
.LBB108_853:
	v_cmp_ne_u32_e32 vcc, 42, v0
	s_and_saveexec_b64 s[10:11], vcc
	s_cbranch_execz .LBB108_857
; %bb.854:
	s_mov_b32 s12, 0
	v_add_u32_e32 v95, 0xc4, v91
	v_add3_u32 v96, v91, s12, 4
	s_mov_b64 s[12:13], 0
	v_mov_b32_e32 v97, v0
.LBB108_855:                            ; =>This Inner Loop Header: Depth=1
	buffer_load_dword v98, v96, s[0:3], 0 offen
	ds_read_b32 v99, v95
	v_add_u32_e32 v97, 1, v97
	v_cmp_lt_u32_e32 vcc, 41, v97
	v_add_u32_e32 v95, 4, v95
	v_add_u32_e32 v96, 4, v96
	s_or_b64 s[12:13], vcc, s[12:13]
	s_waitcnt vmcnt(0) lgkmcnt(0)
	v_fmac_f32_e32 v94, v98, v99
	s_andn2_b64 exec, exec, s[12:13]
	s_cbranch_execnz .LBB108_855
; %bb.856:
	s_or_b64 exec, exec, s[12:13]
.LBB108_857:
	s_or_b64 exec, exec, s[10:11]
	v_mov_b32_e32 v95, 0
	ds_read_b32 v95, v95 offset:172
	s_waitcnt lgkmcnt(0)
	v_mul_f32_e32 v94, v94, v95
	buffer_store_dword v94, off, s[0:3], 0 offset:172
.LBB108_858:
	s_or_b64 exec, exec, s[8:9]
	buffer_load_dword v94, off, s[0:3], 0 offset:176
	v_cmp_ne_u32_e32 vcc, 44, v0
	s_waitcnt vmcnt(0)
	ds_write_b32 v92, v94
	s_waitcnt lgkmcnt(0)
	; wave barrier
	s_and_saveexec_b64 s[8:9], vcc
	s_cbranch_execz .LBB108_868
; %bb.859:
	s_and_b64 vcc, exec, s[4:5]
	s_cbranch_vccnz .LBB108_861
; %bb.860:
	buffer_load_dword v93, v93, s[0:3], 0 offen
	ds_read_b32 v94, v92
	s_waitcnt vmcnt(0) lgkmcnt(0)
	v_mul_f32_e32 v93, v93, v94
	s_cbranch_execz .LBB108_862
	s_branch .LBB108_863
.LBB108_861:
                                        ; implicit-def: $vgpr93
.LBB108_862:
	ds_read_b32 v93, v92
.LBB108_863:
	s_and_saveexec_b64 s[4:5], s[6:7]
	s_cbranch_execz .LBB108_867
; %bb.864:
	s_mov_b32 s6, 0
	v_add_u32_e32 v92, 0xc4, v91
	v_add3_u32 v91, v91, s6, 4
	s_mov_b64 s[6:7], 0
.LBB108_865:                            ; =>This Inner Loop Header: Depth=1
	buffer_load_dword v94, v91, s[0:3], 0 offen
	ds_read_b32 v95, v92
	v_add_u32_e32 v0, 1, v0
	v_cmp_lt_u32_e32 vcc, 42, v0
	v_add_u32_e32 v92, 4, v92
	v_add_u32_e32 v91, 4, v91
	s_or_b64 s[6:7], vcc, s[6:7]
	s_waitcnt vmcnt(0) lgkmcnt(0)
	v_fmac_f32_e32 v93, v94, v95
	s_andn2_b64 exec, exec, s[6:7]
	s_cbranch_execnz .LBB108_865
; %bb.866:
	s_or_b64 exec, exec, s[6:7]
.LBB108_867:
	s_or_b64 exec, exec, s[4:5]
	v_mov_b32_e32 v0, 0
	ds_read_b32 v0, v0 offset:176
	s_waitcnt lgkmcnt(0)
	v_mul_f32_e32 v0, v93, v0
	buffer_store_dword v0, off, s[0:3], 0 offset:176
.LBB108_868:
	s_or_b64 exec, exec, s[8:9]
.LBB108_869:
	buffer_load_dword v0, off, s[0:3], 0
	s_waitcnt vmcnt(0)
	flat_store_dword v[1:2], v0
	buffer_load_dword v0, off, s[0:3], 0 offset:4
	s_waitcnt vmcnt(0)
	flat_store_dword v[3:4], v0
	buffer_load_dword v0, off, s[0:3], 0 offset:8
	;; [unrolled: 3-line block ×44, first 2 shown]
	s_waitcnt vmcnt(0)
	flat_store_dword v[89:90], v0
.LBB108_870:
	s_endpgm
	.section	.rodata,"a",@progbits
	.p2align	6, 0x0
	.amdhsa_kernel _ZN9rocsolver6v33100L18trti2_kernel_smallILi45EfPKPfEEv13rocblas_fill_17rocblas_diagonal_T1_iil
		.amdhsa_group_segment_fixed_size 372
		.amdhsa_private_segment_fixed_size 192
		.amdhsa_kernarg_size 32
		.amdhsa_user_sgpr_count 6
		.amdhsa_user_sgpr_private_segment_buffer 1
		.amdhsa_user_sgpr_dispatch_ptr 0
		.amdhsa_user_sgpr_queue_ptr 0
		.amdhsa_user_sgpr_kernarg_segment_ptr 1
		.amdhsa_user_sgpr_dispatch_id 0
		.amdhsa_user_sgpr_flat_scratch_init 0
		.amdhsa_user_sgpr_private_segment_size 0
		.amdhsa_uses_dynamic_stack 0
		.amdhsa_system_sgpr_private_segment_wavefront_offset 1
		.amdhsa_system_sgpr_workgroup_id_x 1
		.amdhsa_system_sgpr_workgroup_id_y 0
		.amdhsa_system_sgpr_workgroup_id_z 0
		.amdhsa_system_sgpr_workgroup_info 0
		.amdhsa_system_vgpr_workitem_id 0
		.amdhsa_next_free_vgpr 100
		.amdhsa_next_free_sgpr 58
		.amdhsa_reserve_vcc 1
		.amdhsa_reserve_flat_scratch 0
		.amdhsa_float_round_mode_32 0
		.amdhsa_float_round_mode_16_64 0
		.amdhsa_float_denorm_mode_32 3
		.amdhsa_float_denorm_mode_16_64 3
		.amdhsa_dx10_clamp 1
		.amdhsa_ieee_mode 1
		.amdhsa_fp16_overflow 0
		.amdhsa_exception_fp_ieee_invalid_op 0
		.amdhsa_exception_fp_denorm_src 0
		.amdhsa_exception_fp_ieee_div_zero 0
		.amdhsa_exception_fp_ieee_overflow 0
		.amdhsa_exception_fp_ieee_underflow 0
		.amdhsa_exception_fp_ieee_inexact 0
		.amdhsa_exception_int_div_zero 0
	.end_amdhsa_kernel
	.section	.text._ZN9rocsolver6v33100L18trti2_kernel_smallILi45EfPKPfEEv13rocblas_fill_17rocblas_diagonal_T1_iil,"axG",@progbits,_ZN9rocsolver6v33100L18trti2_kernel_smallILi45EfPKPfEEv13rocblas_fill_17rocblas_diagonal_T1_iil,comdat
.Lfunc_end108:
	.size	_ZN9rocsolver6v33100L18trti2_kernel_smallILi45EfPKPfEEv13rocblas_fill_17rocblas_diagonal_T1_iil, .Lfunc_end108-_ZN9rocsolver6v33100L18trti2_kernel_smallILi45EfPKPfEEv13rocblas_fill_17rocblas_diagonal_T1_iil
                                        ; -- End function
	.set _ZN9rocsolver6v33100L18trti2_kernel_smallILi45EfPKPfEEv13rocblas_fill_17rocblas_diagonal_T1_iil.num_vgpr, 100
	.set _ZN9rocsolver6v33100L18trti2_kernel_smallILi45EfPKPfEEv13rocblas_fill_17rocblas_diagonal_T1_iil.num_agpr, 0
	.set _ZN9rocsolver6v33100L18trti2_kernel_smallILi45EfPKPfEEv13rocblas_fill_17rocblas_diagonal_T1_iil.numbered_sgpr, 58
	.set _ZN9rocsolver6v33100L18trti2_kernel_smallILi45EfPKPfEEv13rocblas_fill_17rocblas_diagonal_T1_iil.num_named_barrier, 0
	.set _ZN9rocsolver6v33100L18trti2_kernel_smallILi45EfPKPfEEv13rocblas_fill_17rocblas_diagonal_T1_iil.private_seg_size, 192
	.set _ZN9rocsolver6v33100L18trti2_kernel_smallILi45EfPKPfEEv13rocblas_fill_17rocblas_diagonal_T1_iil.uses_vcc, 1
	.set _ZN9rocsolver6v33100L18trti2_kernel_smallILi45EfPKPfEEv13rocblas_fill_17rocblas_diagonal_T1_iil.uses_flat_scratch, 0
	.set _ZN9rocsolver6v33100L18trti2_kernel_smallILi45EfPKPfEEv13rocblas_fill_17rocblas_diagonal_T1_iil.has_dyn_sized_stack, 0
	.set _ZN9rocsolver6v33100L18trti2_kernel_smallILi45EfPKPfEEv13rocblas_fill_17rocblas_diagonal_T1_iil.has_recursion, 0
	.set _ZN9rocsolver6v33100L18trti2_kernel_smallILi45EfPKPfEEv13rocblas_fill_17rocblas_diagonal_T1_iil.has_indirect_call, 0
	.section	.AMDGPU.csdata,"",@progbits
; Kernel info:
; codeLenInByte = 21808
; TotalNumSgprs: 62
; NumVgprs: 100
; ScratchSize: 192
; MemoryBound: 0
; FloatMode: 240
; IeeeMode: 1
; LDSByteSize: 372 bytes/workgroup (compile time only)
; SGPRBlocks: 7
; VGPRBlocks: 24
; NumSGPRsForWavesPerEU: 62
; NumVGPRsForWavesPerEU: 100
; Occupancy: 2
; WaveLimiterHint : 1
; COMPUTE_PGM_RSRC2:SCRATCH_EN: 1
; COMPUTE_PGM_RSRC2:USER_SGPR: 6
; COMPUTE_PGM_RSRC2:TRAP_HANDLER: 0
; COMPUTE_PGM_RSRC2:TGID_X_EN: 1
; COMPUTE_PGM_RSRC2:TGID_Y_EN: 0
; COMPUTE_PGM_RSRC2:TGID_Z_EN: 0
; COMPUTE_PGM_RSRC2:TIDIG_COMP_CNT: 0
	.section	.text._ZN9rocsolver6v33100L18trti2_kernel_smallILi46EfPKPfEEv13rocblas_fill_17rocblas_diagonal_T1_iil,"axG",@progbits,_ZN9rocsolver6v33100L18trti2_kernel_smallILi46EfPKPfEEv13rocblas_fill_17rocblas_diagonal_T1_iil,comdat
	.globl	_ZN9rocsolver6v33100L18trti2_kernel_smallILi46EfPKPfEEv13rocblas_fill_17rocblas_diagonal_T1_iil ; -- Begin function _ZN9rocsolver6v33100L18trti2_kernel_smallILi46EfPKPfEEv13rocblas_fill_17rocblas_diagonal_T1_iil
	.p2align	8
	.type	_ZN9rocsolver6v33100L18trti2_kernel_smallILi46EfPKPfEEv13rocblas_fill_17rocblas_diagonal_T1_iil,@function
_ZN9rocsolver6v33100L18trti2_kernel_smallILi46EfPKPfEEv13rocblas_fill_17rocblas_diagonal_T1_iil: ; @_ZN9rocsolver6v33100L18trti2_kernel_smallILi46EfPKPfEEv13rocblas_fill_17rocblas_diagonal_T1_iil
; %bb.0:
	s_add_u32 s0, s0, s7
	s_addc_u32 s1, s1, 0
	v_cmp_gt_u32_e32 vcc, 46, v0
	s_and_saveexec_b64 s[8:9], vcc
	s_cbranch_execz .LBB109_890
; %bb.1:
	s_load_dwordx2 s[12:13], s[4:5], 0x10
	s_load_dwordx4 s[8:11], s[4:5], 0x0
	s_ashr_i32 s7, s6, 31
	s_lshl_b64 s[6:7], s[6:7], 3
	v_lshlrev_b32_e32 v93, 2, v0
	s_waitcnt lgkmcnt(0)
	s_ashr_i32 s5, s12, 31
	s_add_u32 s6, s10, s6
	s_addc_u32 s7, s11, s7
	s_load_dwordx2 s[6:7], s[6:7], 0x0
	s_mov_b32 s4, s12
	s_lshl_b64 s[4:5], s[4:5], 2
	s_movk_i32 s12, 0x84
	s_waitcnt lgkmcnt(0)
	s_add_u32 s4, s6, s4
	s_addc_u32 s5, s7, s5
	v_mov_b32_e32 v2, s5
	v_add_co_u32_e32 v1, vcc, s4, v93
	v_addc_co_u32_e32 v2, vcc, 0, v2, vcc
	flat_load_dword v5, v[1:2]
	s_mov_b32 s6, s13
	s_ashr_i32 s7, s13, 31
	s_lshl_b64 s[6:7], s[6:7], 2
	v_mov_b32_e32 v4, s7
	v_add_co_u32_e32 v3, vcc, s6, v1
	v_addc_co_u32_e32 v4, vcc, v2, v4, vcc
	s_add_i32 s6, s13, s13
	v_add_u32_e32 v7, s6, v0
	v_ashrrev_i32_e32 v8, 31, v7
	v_mov_b32_e32 v10, s5
	v_mov_b32_e32 v12, s5
	v_mov_b32_e32 v14, s5
	v_mov_b32_e32 v16, s5
	v_mov_b32_e32 v18, s5
	v_mov_b32_e32 v20, s5
	v_mov_b32_e32 v22, s5
	v_mov_b32_e32 v24, s5
	v_mov_b32_e32 v26, s5
	v_mov_b32_e32 v28, s5
	v_mov_b32_e32 v30, s5
	v_mov_b32_e32 v32, s5
	v_mov_b32_e32 v34, s5
	v_mov_b32_e32 v36, s5
	v_mov_b32_e32 v38, s5
	v_mov_b32_e32 v40, s5
	v_mov_b32_e32 v42, s5
	v_mov_b32_e32 v44, s5
	v_mov_b32_e32 v46, s5
	v_mov_b32_e32 v48, s5
	v_mov_b32_e32 v50, s5
	v_mov_b32_e32 v52, s5
	v_mov_b32_e32 v54, s5
	v_mov_b32_e32 v56, s5
	v_mov_b32_e32 v58, s5
	v_mov_b32_e32 v60, s5
	v_mov_b32_e32 v62, s5
	v_mov_b32_e32 v64, s5
	v_mov_b32_e32 v66, s5
	v_mov_b32_e32 v68, s5
	v_mov_b32_e32 v70, s5
	v_mov_b32_e32 v72, s5
	v_mov_b32_e32 v74, s5
	v_mov_b32_e32 v76, s5
	v_mov_b32_e32 v78, s5
	v_mov_b32_e32 v80, s5
	v_mov_b32_e32 v82, s5
	v_mov_b32_e32 v84, s5
	v_mov_b32_e32 v86, s5
	v_mov_b32_e32 v88, s5
	v_mov_b32_e32 v90, s5
	v_mov_b32_e32 v92, s5
	v_mov_b32_e32 v95, s5
	s_cmpk_lg_i32 s9, 0x84
	s_cselect_b64 s[10:11], -1, 0
	s_cmpk_eq_i32 s9, 0x84
	s_waitcnt vmcnt(0) lgkmcnt(0)
	buffer_store_dword v5, off, s[0:3], 0
	flat_load_dword v9, v[3:4]
	v_lshlrev_b64 v[5:6], 2, v[7:8]
	v_add_co_u32_e32 v5, vcc, s4, v5
	v_addc_co_u32_e32 v6, vcc, v10, v6, vcc
	s_waitcnt vmcnt(0) lgkmcnt(0)
	buffer_store_dword v9, off, s[0:3], 0 offset:4
	flat_load_dword v11, v[5:6]
	v_add_u32_e32 v9, s13, v7
	v_ashrrev_i32_e32 v10, 31, v9
	v_lshlrev_b64 v[7:8], 2, v[9:10]
	v_add_co_u32_e32 v7, vcc, s4, v7
	v_addc_co_u32_e32 v8, vcc, v12, v8, vcc
	s_waitcnt vmcnt(0) lgkmcnt(0)
	buffer_store_dword v11, off, s[0:3], 0 offset:8
	flat_load_dword v13, v[7:8]
	v_add_u32_e32 v11, s13, v9
	v_ashrrev_i32_e32 v12, 31, v11
	;; [unrolled: 8-line block ×42, first 2 shown]
	v_lshlrev_b64 v[89:90], 2, v[91:92]
	v_add_u32_e32 v91, s13, v91
	v_add_co_u32_e32 v89, vcc, s4, v89
	v_addc_co_u32_e32 v90, vcc, v95, v90, vcc
	v_ashrrev_i32_e32 v92, 31, v91
	v_lshlrev_b64 v[91:92], 2, v[91:92]
	v_add_co_u32_e32 v91, vcc, s4, v91
	v_addc_co_u32_e32 v92, vcc, v95, v92, vcc
	s_waitcnt vmcnt(0) lgkmcnt(0)
	buffer_store_dword v94, off, s[0:3], 0 offset:172
	flat_load_dword v94, v[89:90]
	s_waitcnt vmcnt(0) lgkmcnt(0)
	buffer_store_dword v94, off, s[0:3], 0 offset:176
	flat_load_dword v94, v[91:92]
	s_waitcnt vmcnt(0) lgkmcnt(0)
	buffer_store_dword v94, off, s[0:3], 0 offset:180
	v_mov_b32_e32 v94, -1.0
	s_cbranch_scc1 .LBB109_3
; %bb.2:
	v_mov_b32_e32 v94, 0
	v_lshl_add_u32 v94, v0, 2, v94
	buffer_load_dword v95, v94, s[0:3], 0 offen
	s_waitcnt vmcnt(0)
	v_div_scale_f32 v96, s[4:5], v95, v95, 1.0
	v_div_scale_f32 v97, vcc, 1.0, v95, 1.0
	v_rcp_f32_e32 v98, v96
	v_fma_f32 v99, -v96, v98, 1.0
	v_fmac_f32_e32 v98, v99, v98
	v_mul_f32_e32 v99, v97, v98
	v_fma_f32 v100, -v96, v99, v97
	v_fmac_f32_e32 v99, v100, v98
	v_fma_f32 v96, -v96, v99, v97
	v_div_fmas_f32 v96, v96, v98, v99
	v_div_fixup_f32 v95, v96, v95, 1.0
	buffer_store_dword v95, v94, s[0:3], 0 offen
	v_xor_b32_e32 v94, 0x80000000, v95
.LBB109_3:
	ds_write_b32 v93, v94
	s_cmpk_eq_i32 s8, 0x79
	v_add_u32_e32 v94, 0xc0, v93
	v_mov_b32_e32 v95, v93
	s_mov_b64 s[4:5], -1
	s_cbranch_scc1 .LBB109_447
; %bb.4:
	buffer_load_dword v96, off, s[0:3], 0 offset:176
	s_movk_i32 s30, 0x44
	s_movk_i32 s31, 0x48
	s_movk_i32 s33, 0x4c
	s_movk_i32 s34, 0x50
	s_movk_i32 s35, 0x54
	s_movk_i32 s36, 0x58
	s_movk_i32 s37, 0x5c
	s_movk_i32 s38, 0x60
	s_movk_i32 s39, 0x64
	s_movk_i32 s40, 0x68
	s_movk_i32 s41, 0x6c
	s_movk_i32 s42, 0x70
	s_movk_i32 s43, 0x74
	s_movk_i32 s44, 0x78
	s_movk_i32 s45, 0x7c
	s_movk_i32 s46, 0x80
	s_movk_i32 s13, 0x88
	s_movk_i32 s49, 0x8c
	s_movk_i32 s50, 0x90
	s_movk_i32 s51, 0x94
	s_movk_i32 s52, 0x98
	s_movk_i32 s53, 0x9c
	s_movk_i32 s54, 0xa0
	s_movk_i32 s55, 0xa4
	s_movk_i32 s56, 0xa8
	s_movk_i32 s57, 0xac
	v_cmp_eq_u32_e64 s[4:5], 45, v0
	s_waitcnt vmcnt(0)
	ds_write_b32 v94, v96
	s_waitcnt lgkmcnt(0)
	; wave barrier
	s_and_saveexec_b64 s[6:7], s[4:5]
	s_cbranch_execz .LBB109_10
; %bb.5:
	s_and_b64 vcc, exec, s[10:11]
	s_cbranch_vccz .LBB109_7
; %bb.6:
	buffer_load_dword v96, v95, s[0:3], 0 offen
	ds_read_b32 v97, v94
	s_waitcnt vmcnt(0) lgkmcnt(0)
	v_mul_f32_e32 v96, v96, v97
	s_cbranch_execz .LBB109_8
	s_branch .LBB109_9
.LBB109_7:
                                        ; implicit-def: $vgpr96
.LBB109_8:
	ds_read_b32 v96, v94
.LBB109_9:
	v_mov_b32_e32 v97, 0
	ds_read_b32 v97, v97 offset:176
	s_waitcnt lgkmcnt(0)
	v_mul_f32_e32 v96, v96, v97
	buffer_store_dword v96, off, s[0:3], 0 offset:176
.LBB109_10:
	s_or_b64 exec, exec, s[6:7]
	buffer_load_dword v96, off, s[0:3], 0 offset:172
	s_or_b32 s14, 0, 4
	s_or_b32 s15, 0, 8
	;; [unrolled: 1-line block ×3, first 2 shown]
	s_mov_b32 s17, 16
	s_mov_b32 s18, 20
	;; [unrolled: 1-line block ×15, first 2 shown]
	v_cmp_lt_u32_e64 s[6:7], 43, v0
	s_waitcnt vmcnt(0)
	ds_write_b32 v94, v96
	s_waitcnt lgkmcnt(0)
	; wave barrier
	s_and_saveexec_b64 s[8:9], s[6:7]
	s_cbranch_execz .LBB109_16
; %bb.11:
	s_andn2_b64 vcc, exec, s[10:11]
	s_cbranch_vccnz .LBB109_13
; %bb.12:
	buffer_load_dword v96, v95, s[0:3], 0 offen
	ds_read_b32 v97, v94
	s_waitcnt vmcnt(0) lgkmcnt(0)
	v_mul_f32_e32 v96, v96, v97
	s_cbranch_execz .LBB109_14
	s_branch .LBB109_15
.LBB109_13:
                                        ; implicit-def: $vgpr96
.LBB109_14:
	ds_read_b32 v96, v94
.LBB109_15:
	buffer_load_dword v99, off, s[0:3], 0 offset:176
	v_mov_b32_e32 v97, 0
	ds_read2_b32 v[97:98], v97 offset0:43 offset1:92
	s_waitcnt vmcnt(0) lgkmcnt(0)
	v_fma_f32 v98, v99, v98, v96
	v_cndmask_b32_e64 v96, v96, v98, s[4:5]
	v_mul_f32_e32 v96, v96, v97
	buffer_store_dword v96, off, s[0:3], 0 offset:172
.LBB109_16:
	s_or_b64 exec, exec, s[8:9]
	buffer_load_dword v96, off, s[0:3], 0 offset:168
	v_cmp_lt_u32_e64 s[4:5], 42, v0
	s_waitcnt vmcnt(0)
	ds_write_b32 v94, v96
	s_waitcnt lgkmcnt(0)
	; wave barrier
	s_and_saveexec_b64 s[8:9], s[4:5]
	s_cbranch_execz .LBB109_26
; %bb.17:
	s_andn2_b64 vcc, exec, s[10:11]
	s_cbranch_vccnz .LBB109_19
; %bb.18:
	buffer_load_dword v96, v95, s[0:3], 0 offen
	ds_read_b32 v97, v94
	s_waitcnt vmcnt(0) lgkmcnt(0)
	v_mul_f32_e32 v96, v96, v97
	s_cbranch_execz .LBB109_20
	s_branch .LBB109_21
.LBB109_19:
                                        ; implicit-def: $vgpr96
.LBB109_20:
	ds_read_b32 v96, v94
.LBB109_21:
	s_and_saveexec_b64 s[12:13], s[6:7]
	s_cbranch_execz .LBB109_25
; %bb.22:
	v_subrev_u32_e32 v97, 43, v0
	s_movk_i32 s58, 0x16c
	s_mov_b64 s[6:7], 0
.LBB109_23:                             ; =>This Inner Loop Header: Depth=1
	v_mov_b32_e32 v98, s57
	buffer_load_dword v98, v98, s[0:3], 0 offen
	v_mov_b32_e32 v99, s58
	ds_read_b32 v99, v99
	v_add_u32_e32 v97, -1, v97
	s_add_i32 s58, s58, 4
	s_add_i32 s57, s57, 4
	v_cmp_eq_u32_e32 vcc, 0, v97
	s_or_b64 s[6:7], vcc, s[6:7]
	s_waitcnt vmcnt(0) lgkmcnt(0)
	v_fmac_f32_e32 v96, v98, v99
	s_andn2_b64 exec, exec, s[6:7]
	s_cbranch_execnz .LBB109_23
; %bb.24:
	s_or_b64 exec, exec, s[6:7]
.LBB109_25:
	s_or_b64 exec, exec, s[12:13]
	v_mov_b32_e32 v97, 0
	ds_read_b32 v97, v97 offset:168
	s_waitcnt lgkmcnt(0)
	v_mul_f32_e32 v96, v96, v97
	buffer_store_dword v96, off, s[0:3], 0 offset:168
.LBB109_26:
	s_or_b64 exec, exec, s[8:9]
	buffer_load_dword v96, off, s[0:3], 0 offset:164
	v_cmp_lt_u32_e64 s[6:7], 41, v0
	s_waitcnt vmcnt(0)
	ds_write_b32 v94, v96
	s_waitcnt lgkmcnt(0)
	; wave barrier
	s_and_saveexec_b64 s[8:9], s[6:7]
	s_cbranch_execz .LBB109_36
; %bb.27:
	s_andn2_b64 vcc, exec, s[10:11]
	s_cbranch_vccnz .LBB109_29
; %bb.28:
	buffer_load_dword v96, v95, s[0:3], 0 offen
	ds_read_b32 v97, v94
	s_waitcnt vmcnt(0) lgkmcnt(0)
	v_mul_f32_e32 v96, v96, v97
	s_cbranch_execz .LBB109_30
	s_branch .LBB109_31
.LBB109_29:
                                        ; implicit-def: $vgpr96
.LBB109_30:
	ds_read_b32 v96, v94
.LBB109_31:
	s_and_saveexec_b64 s[12:13], s[4:5]
	s_cbranch_execz .LBB109_35
; %bb.32:
	v_subrev_u32_e32 v97, 42, v0
	s_movk_i32 s57, 0x168
	s_mov_b64 s[4:5], 0
.LBB109_33:                             ; =>This Inner Loop Header: Depth=1
	v_mov_b32_e32 v98, s56
	buffer_load_dword v98, v98, s[0:3], 0 offen
	v_mov_b32_e32 v99, s57
	ds_read_b32 v99, v99
	v_add_u32_e32 v97, -1, v97
	s_add_i32 s57, s57, 4
	s_add_i32 s56, s56, 4
	v_cmp_eq_u32_e32 vcc, 0, v97
	s_or_b64 s[4:5], vcc, s[4:5]
	s_waitcnt vmcnt(0) lgkmcnt(0)
	v_fmac_f32_e32 v96, v98, v99
	s_andn2_b64 exec, exec, s[4:5]
	s_cbranch_execnz .LBB109_33
; %bb.34:
	s_or_b64 exec, exec, s[4:5]
.LBB109_35:
	s_or_b64 exec, exec, s[12:13]
	v_mov_b32_e32 v97, 0
	ds_read_b32 v97, v97 offset:164
	s_waitcnt lgkmcnt(0)
	v_mul_f32_e32 v96, v96, v97
	buffer_store_dword v96, off, s[0:3], 0 offset:164
.LBB109_36:
	s_or_b64 exec, exec, s[8:9]
	buffer_load_dword v96, off, s[0:3], 0 offset:160
	v_cmp_lt_u32_e64 s[4:5], 40, v0
	s_waitcnt vmcnt(0)
	ds_write_b32 v94, v96
	s_waitcnt lgkmcnt(0)
	; wave barrier
	s_and_saveexec_b64 s[8:9], s[4:5]
	s_cbranch_execz .LBB109_46
; %bb.37:
	s_andn2_b64 vcc, exec, s[10:11]
	s_cbranch_vccnz .LBB109_39
; %bb.38:
	buffer_load_dword v96, v95, s[0:3], 0 offen
	ds_read_b32 v97, v94
	s_waitcnt vmcnt(0) lgkmcnt(0)
	v_mul_f32_e32 v96, v96, v97
	s_cbranch_execz .LBB109_40
	s_branch .LBB109_41
.LBB109_39:
                                        ; implicit-def: $vgpr96
.LBB109_40:
	ds_read_b32 v96, v94
.LBB109_41:
	s_and_saveexec_b64 s[12:13], s[6:7]
	s_cbranch_execz .LBB109_45
; %bb.42:
	v_subrev_u32_e32 v97, 41, v0
	s_movk_i32 s56, 0x164
	s_mov_b64 s[6:7], 0
.LBB109_43:                             ; =>This Inner Loop Header: Depth=1
	v_mov_b32_e32 v98, s55
	buffer_load_dword v98, v98, s[0:3], 0 offen
	v_mov_b32_e32 v99, s56
	ds_read_b32 v99, v99
	v_add_u32_e32 v97, -1, v97
	s_add_i32 s56, s56, 4
	s_add_i32 s55, s55, 4
	v_cmp_eq_u32_e32 vcc, 0, v97
	s_or_b64 s[6:7], vcc, s[6:7]
	s_waitcnt vmcnt(0) lgkmcnt(0)
	v_fmac_f32_e32 v96, v98, v99
	s_andn2_b64 exec, exec, s[6:7]
	s_cbranch_execnz .LBB109_43
; %bb.44:
	s_or_b64 exec, exec, s[6:7]
.LBB109_45:
	s_or_b64 exec, exec, s[12:13]
	v_mov_b32_e32 v97, 0
	ds_read_b32 v97, v97 offset:160
	s_waitcnt lgkmcnt(0)
	v_mul_f32_e32 v96, v96, v97
	buffer_store_dword v96, off, s[0:3], 0 offset:160
.LBB109_46:
	s_or_b64 exec, exec, s[8:9]
	buffer_load_dword v96, off, s[0:3], 0 offset:156
	v_cmp_lt_u32_e64 s[6:7], 39, v0
	s_waitcnt vmcnt(0)
	ds_write_b32 v94, v96
	s_waitcnt lgkmcnt(0)
	; wave barrier
	s_and_saveexec_b64 s[8:9], s[6:7]
	s_cbranch_execz .LBB109_56
; %bb.47:
	s_andn2_b64 vcc, exec, s[10:11]
	s_cbranch_vccnz .LBB109_49
; %bb.48:
	buffer_load_dword v96, v95, s[0:3], 0 offen
	ds_read_b32 v97, v94
	s_waitcnt vmcnt(0) lgkmcnt(0)
	v_mul_f32_e32 v96, v96, v97
	s_cbranch_execz .LBB109_50
	s_branch .LBB109_51
.LBB109_49:
                                        ; implicit-def: $vgpr96
.LBB109_50:
	ds_read_b32 v96, v94
.LBB109_51:
	s_and_saveexec_b64 s[12:13], s[4:5]
	s_cbranch_execz .LBB109_55
; %bb.52:
	v_subrev_u32_e32 v97, 40, v0
	s_movk_i32 s55, 0x160
	s_mov_b64 s[4:5], 0
.LBB109_53:                             ; =>This Inner Loop Header: Depth=1
	v_mov_b32_e32 v98, s54
	buffer_load_dword v98, v98, s[0:3], 0 offen
	v_mov_b32_e32 v99, s55
	ds_read_b32 v99, v99
	v_add_u32_e32 v97, -1, v97
	s_add_i32 s55, s55, 4
	s_add_i32 s54, s54, 4
	v_cmp_eq_u32_e32 vcc, 0, v97
	s_or_b64 s[4:5], vcc, s[4:5]
	s_waitcnt vmcnt(0) lgkmcnt(0)
	v_fmac_f32_e32 v96, v98, v99
	s_andn2_b64 exec, exec, s[4:5]
	s_cbranch_execnz .LBB109_53
; %bb.54:
	s_or_b64 exec, exec, s[4:5]
.LBB109_55:
	s_or_b64 exec, exec, s[12:13]
	v_mov_b32_e32 v97, 0
	ds_read_b32 v97, v97 offset:156
	s_waitcnt lgkmcnt(0)
	v_mul_f32_e32 v96, v96, v97
	buffer_store_dword v96, off, s[0:3], 0 offset:156
.LBB109_56:
	s_or_b64 exec, exec, s[8:9]
	buffer_load_dword v96, off, s[0:3], 0 offset:152
	v_cmp_lt_u32_e64 s[4:5], 38, v0
	s_waitcnt vmcnt(0)
	ds_write_b32 v94, v96
	s_waitcnt lgkmcnt(0)
	; wave barrier
	s_and_saveexec_b64 s[8:9], s[4:5]
	s_cbranch_execz .LBB109_66
; %bb.57:
	s_andn2_b64 vcc, exec, s[10:11]
	s_cbranch_vccnz .LBB109_59
; %bb.58:
	buffer_load_dword v96, v95, s[0:3], 0 offen
	ds_read_b32 v97, v94
	s_waitcnt vmcnt(0) lgkmcnt(0)
	v_mul_f32_e32 v96, v96, v97
	s_cbranch_execz .LBB109_60
	s_branch .LBB109_61
.LBB109_59:
                                        ; implicit-def: $vgpr96
.LBB109_60:
	ds_read_b32 v96, v94
.LBB109_61:
	s_and_saveexec_b64 s[12:13], s[6:7]
	s_cbranch_execz .LBB109_65
; %bb.62:
	v_subrev_u32_e32 v97, 39, v0
	s_movk_i32 s54, 0x15c
	s_mov_b64 s[6:7], 0
.LBB109_63:                             ; =>This Inner Loop Header: Depth=1
	v_mov_b32_e32 v98, s53
	buffer_load_dword v98, v98, s[0:3], 0 offen
	v_mov_b32_e32 v99, s54
	ds_read_b32 v99, v99
	v_add_u32_e32 v97, -1, v97
	s_add_i32 s54, s54, 4
	s_add_i32 s53, s53, 4
	v_cmp_eq_u32_e32 vcc, 0, v97
	s_or_b64 s[6:7], vcc, s[6:7]
	s_waitcnt vmcnt(0) lgkmcnt(0)
	v_fmac_f32_e32 v96, v98, v99
	s_andn2_b64 exec, exec, s[6:7]
	s_cbranch_execnz .LBB109_63
; %bb.64:
	s_or_b64 exec, exec, s[6:7]
.LBB109_65:
	s_or_b64 exec, exec, s[12:13]
	v_mov_b32_e32 v97, 0
	ds_read_b32 v97, v97 offset:152
	s_waitcnt lgkmcnt(0)
	v_mul_f32_e32 v96, v96, v97
	buffer_store_dword v96, off, s[0:3], 0 offset:152
.LBB109_66:
	s_or_b64 exec, exec, s[8:9]
	buffer_load_dword v96, off, s[0:3], 0 offset:148
	v_cmp_lt_u32_e64 s[6:7], 37, v0
	s_waitcnt vmcnt(0)
	ds_write_b32 v94, v96
	s_waitcnt lgkmcnt(0)
	; wave barrier
	s_and_saveexec_b64 s[8:9], s[6:7]
	s_cbranch_execz .LBB109_76
; %bb.67:
	s_andn2_b64 vcc, exec, s[10:11]
	s_cbranch_vccnz .LBB109_69
; %bb.68:
	buffer_load_dword v96, v95, s[0:3], 0 offen
	ds_read_b32 v97, v94
	s_waitcnt vmcnt(0) lgkmcnt(0)
	v_mul_f32_e32 v96, v96, v97
	s_cbranch_execz .LBB109_70
	s_branch .LBB109_71
.LBB109_69:
                                        ; implicit-def: $vgpr96
.LBB109_70:
	ds_read_b32 v96, v94
.LBB109_71:
	s_and_saveexec_b64 s[12:13], s[4:5]
	s_cbranch_execz .LBB109_75
; %bb.72:
	v_subrev_u32_e32 v97, 38, v0
	s_movk_i32 s53, 0x158
	s_mov_b64 s[4:5], 0
.LBB109_73:                             ; =>This Inner Loop Header: Depth=1
	v_mov_b32_e32 v98, s52
	buffer_load_dword v98, v98, s[0:3], 0 offen
	v_mov_b32_e32 v99, s53
	ds_read_b32 v99, v99
	v_add_u32_e32 v97, -1, v97
	s_add_i32 s53, s53, 4
	s_add_i32 s52, s52, 4
	v_cmp_eq_u32_e32 vcc, 0, v97
	s_or_b64 s[4:5], vcc, s[4:5]
	s_waitcnt vmcnt(0) lgkmcnt(0)
	v_fmac_f32_e32 v96, v98, v99
	s_andn2_b64 exec, exec, s[4:5]
	s_cbranch_execnz .LBB109_73
; %bb.74:
	s_or_b64 exec, exec, s[4:5]
.LBB109_75:
	s_or_b64 exec, exec, s[12:13]
	v_mov_b32_e32 v97, 0
	ds_read_b32 v97, v97 offset:148
	s_waitcnt lgkmcnt(0)
	v_mul_f32_e32 v96, v96, v97
	buffer_store_dword v96, off, s[0:3], 0 offset:148
.LBB109_76:
	s_or_b64 exec, exec, s[8:9]
	buffer_load_dword v96, off, s[0:3], 0 offset:144
	v_cmp_lt_u32_e64 s[4:5], 36, v0
	s_waitcnt vmcnt(0)
	ds_write_b32 v94, v96
	s_waitcnt lgkmcnt(0)
	; wave barrier
	s_and_saveexec_b64 s[8:9], s[4:5]
	s_cbranch_execz .LBB109_86
; %bb.77:
	s_andn2_b64 vcc, exec, s[10:11]
	s_cbranch_vccnz .LBB109_79
; %bb.78:
	buffer_load_dword v96, v95, s[0:3], 0 offen
	ds_read_b32 v97, v94
	s_waitcnt vmcnt(0) lgkmcnt(0)
	v_mul_f32_e32 v96, v96, v97
	s_cbranch_execz .LBB109_80
	s_branch .LBB109_81
.LBB109_79:
                                        ; implicit-def: $vgpr96
.LBB109_80:
	ds_read_b32 v96, v94
.LBB109_81:
	s_and_saveexec_b64 s[12:13], s[6:7]
	s_cbranch_execz .LBB109_85
; %bb.82:
	v_subrev_u32_e32 v97, 37, v0
	s_movk_i32 s52, 0x154
	s_mov_b64 s[6:7], 0
.LBB109_83:                             ; =>This Inner Loop Header: Depth=1
	v_mov_b32_e32 v98, s51
	buffer_load_dword v98, v98, s[0:3], 0 offen
	v_mov_b32_e32 v99, s52
	ds_read_b32 v99, v99
	v_add_u32_e32 v97, -1, v97
	s_add_i32 s52, s52, 4
	s_add_i32 s51, s51, 4
	v_cmp_eq_u32_e32 vcc, 0, v97
	s_or_b64 s[6:7], vcc, s[6:7]
	s_waitcnt vmcnt(0) lgkmcnt(0)
	v_fmac_f32_e32 v96, v98, v99
	s_andn2_b64 exec, exec, s[6:7]
	s_cbranch_execnz .LBB109_83
; %bb.84:
	s_or_b64 exec, exec, s[6:7]
.LBB109_85:
	s_or_b64 exec, exec, s[12:13]
	v_mov_b32_e32 v97, 0
	ds_read_b32 v97, v97 offset:144
	s_waitcnt lgkmcnt(0)
	v_mul_f32_e32 v96, v96, v97
	buffer_store_dword v96, off, s[0:3], 0 offset:144
.LBB109_86:
	s_or_b64 exec, exec, s[8:9]
	buffer_load_dword v96, off, s[0:3], 0 offset:140
	v_cmp_lt_u32_e64 s[6:7], 35, v0
	s_waitcnt vmcnt(0)
	ds_write_b32 v94, v96
	s_waitcnt lgkmcnt(0)
	; wave barrier
	s_and_saveexec_b64 s[8:9], s[6:7]
	s_cbranch_execz .LBB109_96
; %bb.87:
	s_andn2_b64 vcc, exec, s[10:11]
	s_cbranch_vccnz .LBB109_89
; %bb.88:
	buffer_load_dword v96, v95, s[0:3], 0 offen
	ds_read_b32 v97, v94
	s_waitcnt vmcnt(0) lgkmcnt(0)
	v_mul_f32_e32 v96, v96, v97
	s_cbranch_execz .LBB109_90
	s_branch .LBB109_91
.LBB109_89:
                                        ; implicit-def: $vgpr96
.LBB109_90:
	ds_read_b32 v96, v94
.LBB109_91:
	s_and_saveexec_b64 s[12:13], s[4:5]
	s_cbranch_execz .LBB109_95
; %bb.92:
	v_subrev_u32_e32 v97, 36, v0
	s_movk_i32 s51, 0x150
	s_mov_b64 s[4:5], 0
.LBB109_93:                             ; =>This Inner Loop Header: Depth=1
	v_mov_b32_e32 v98, s50
	buffer_load_dword v98, v98, s[0:3], 0 offen
	v_mov_b32_e32 v99, s51
	ds_read_b32 v99, v99
	v_add_u32_e32 v97, -1, v97
	s_add_i32 s51, s51, 4
	s_add_i32 s50, s50, 4
	v_cmp_eq_u32_e32 vcc, 0, v97
	s_or_b64 s[4:5], vcc, s[4:5]
	s_waitcnt vmcnt(0) lgkmcnt(0)
	v_fmac_f32_e32 v96, v98, v99
	s_andn2_b64 exec, exec, s[4:5]
	s_cbranch_execnz .LBB109_93
; %bb.94:
	s_or_b64 exec, exec, s[4:5]
.LBB109_95:
	s_or_b64 exec, exec, s[12:13]
	v_mov_b32_e32 v97, 0
	ds_read_b32 v97, v97 offset:140
	s_waitcnt lgkmcnt(0)
	v_mul_f32_e32 v96, v96, v97
	buffer_store_dword v96, off, s[0:3], 0 offset:140
.LBB109_96:
	s_or_b64 exec, exec, s[8:9]
	buffer_load_dword v96, off, s[0:3], 0 offset:136
	v_cmp_lt_u32_e64 s[4:5], 34, v0
	s_waitcnt vmcnt(0)
	ds_write_b32 v94, v96
	s_waitcnt lgkmcnt(0)
	; wave barrier
	s_and_saveexec_b64 s[8:9], s[4:5]
	s_cbranch_execz .LBB109_106
; %bb.97:
	s_andn2_b64 vcc, exec, s[10:11]
	s_cbranch_vccnz .LBB109_99
; %bb.98:
	buffer_load_dword v96, v95, s[0:3], 0 offen
	ds_read_b32 v97, v94
	s_waitcnt vmcnt(0) lgkmcnt(0)
	v_mul_f32_e32 v96, v96, v97
	s_cbranch_execz .LBB109_100
	s_branch .LBB109_101
.LBB109_99:
                                        ; implicit-def: $vgpr96
.LBB109_100:
	ds_read_b32 v96, v94
.LBB109_101:
	s_and_saveexec_b64 s[12:13], s[6:7]
	s_cbranch_execz .LBB109_105
; %bb.102:
	v_subrev_u32_e32 v97, 35, v0
	s_movk_i32 s50, 0x14c
	s_mov_b64 s[6:7], 0
.LBB109_103:                            ; =>This Inner Loop Header: Depth=1
	v_mov_b32_e32 v98, s49
	buffer_load_dword v98, v98, s[0:3], 0 offen
	v_mov_b32_e32 v99, s50
	ds_read_b32 v99, v99
	v_add_u32_e32 v97, -1, v97
	s_add_i32 s50, s50, 4
	s_add_i32 s49, s49, 4
	v_cmp_eq_u32_e32 vcc, 0, v97
	s_or_b64 s[6:7], vcc, s[6:7]
	s_waitcnt vmcnt(0) lgkmcnt(0)
	v_fmac_f32_e32 v96, v98, v99
	s_andn2_b64 exec, exec, s[6:7]
	s_cbranch_execnz .LBB109_103
; %bb.104:
	s_or_b64 exec, exec, s[6:7]
.LBB109_105:
	s_or_b64 exec, exec, s[12:13]
	v_mov_b32_e32 v97, 0
	ds_read_b32 v97, v97 offset:136
	s_waitcnt lgkmcnt(0)
	v_mul_f32_e32 v96, v96, v97
	buffer_store_dword v96, off, s[0:3], 0 offset:136
.LBB109_106:
	s_or_b64 exec, exec, s[8:9]
	buffer_load_dword v96, off, s[0:3], 0 offset:132
	v_cmp_lt_u32_e64 s[6:7], 33, v0
	s_waitcnt vmcnt(0)
	ds_write_b32 v94, v96
	s_waitcnt lgkmcnt(0)
	; wave barrier
	s_and_saveexec_b64 s[8:9], s[6:7]
	s_cbranch_execz .LBB109_116
; %bb.107:
	s_andn2_b64 vcc, exec, s[10:11]
	s_cbranch_vccnz .LBB109_109
; %bb.108:
	buffer_load_dword v96, v95, s[0:3], 0 offen
	ds_read_b32 v97, v94
	s_waitcnt vmcnt(0) lgkmcnt(0)
	v_mul_f32_e32 v96, v96, v97
	s_cbranch_execz .LBB109_110
	s_branch .LBB109_111
.LBB109_109:
                                        ; implicit-def: $vgpr96
.LBB109_110:
	ds_read_b32 v96, v94
.LBB109_111:
	s_and_saveexec_b64 s[12:13], s[4:5]
	s_cbranch_execz .LBB109_115
; %bb.112:
	v_subrev_u32_e32 v97, 34, v0
	s_movk_i32 s49, 0x148
	s_mov_b64 s[4:5], 0
.LBB109_113:                            ; =>This Inner Loop Header: Depth=1
	v_mov_b32_e32 v98, s48
	buffer_load_dword v98, v98, s[0:3], 0 offen
	v_mov_b32_e32 v99, s49
	ds_read_b32 v99, v99
	v_add_u32_e32 v97, -1, v97
	s_add_i32 s49, s49, 4
	s_add_i32 s48, s48, 4
	v_cmp_eq_u32_e32 vcc, 0, v97
	s_or_b64 s[4:5], vcc, s[4:5]
	s_waitcnt vmcnt(0) lgkmcnt(0)
	v_fmac_f32_e32 v96, v98, v99
	s_andn2_b64 exec, exec, s[4:5]
	s_cbranch_execnz .LBB109_113
; %bb.114:
	s_or_b64 exec, exec, s[4:5]
.LBB109_115:
	s_or_b64 exec, exec, s[12:13]
	v_mov_b32_e32 v97, 0
	ds_read_b32 v97, v97 offset:132
	s_waitcnt lgkmcnt(0)
	v_mul_f32_e32 v96, v96, v97
	buffer_store_dword v96, off, s[0:3], 0 offset:132
.LBB109_116:
	;; [unrolled: 54-line block ×19, first 2 shown]
	s_or_b64 exec, exec, s[8:9]
	buffer_load_dword v96, off, s[0:3], 0 offset:60
	v_cmp_lt_u32_e64 s[6:7], 15, v0
	s_waitcnt vmcnt(0)
	ds_write_b32 v94, v96
	s_waitcnt lgkmcnt(0)
	; wave barrier
	s_and_saveexec_b64 s[8:9], s[6:7]
	s_cbranch_execz .LBB109_296
; %bb.287:
	s_andn2_b64 vcc, exec, s[10:11]
	s_cbranch_vccnz .LBB109_289
; %bb.288:
	buffer_load_dword v96, v95, s[0:3], 0 offen
	ds_read_b32 v97, v94
	s_waitcnt vmcnt(0) lgkmcnt(0)
	v_mul_f32_e32 v96, v96, v97
	s_cbranch_execz .LBB109_290
	s_branch .LBB109_291
.LBB109_289:
                                        ; implicit-def: $vgpr96
.LBB109_290:
	ds_read_b32 v96, v94
.LBB109_291:
	s_and_saveexec_b64 s[12:13], s[4:5]
	s_cbranch_execz .LBB109_295
; %bb.292:
	v_add_u32_e32 v97, -16, v0
	s_movk_i32 s30, 0x100
	s_mov_b64 s[4:5], 0
.LBB109_293:                            ; =>This Inner Loop Header: Depth=1
	v_mov_b32_e32 v98, s29
	buffer_load_dword v98, v98, s[0:3], 0 offen
	v_mov_b32_e32 v99, s30
	ds_read_b32 v99, v99
	v_add_u32_e32 v97, -1, v97
	s_add_i32 s30, s30, 4
	s_add_i32 s29, s29, 4
	v_cmp_eq_u32_e32 vcc, 0, v97
	s_or_b64 s[4:5], vcc, s[4:5]
	s_waitcnt vmcnt(0) lgkmcnt(0)
	v_fmac_f32_e32 v96, v98, v99
	s_andn2_b64 exec, exec, s[4:5]
	s_cbranch_execnz .LBB109_293
; %bb.294:
	s_or_b64 exec, exec, s[4:5]
.LBB109_295:
	s_or_b64 exec, exec, s[12:13]
	v_mov_b32_e32 v97, 0
	ds_read_b32 v97, v97 offset:60
	s_waitcnt lgkmcnt(0)
	v_mul_f32_e32 v96, v96, v97
	buffer_store_dword v96, off, s[0:3], 0 offset:60
.LBB109_296:
	s_or_b64 exec, exec, s[8:9]
	buffer_load_dword v96, off, s[0:3], 0 offset:56
	v_cmp_lt_u32_e64 s[4:5], 14, v0
	s_waitcnt vmcnt(0)
	ds_write_b32 v94, v96
	s_waitcnt lgkmcnt(0)
	; wave barrier
	s_and_saveexec_b64 s[8:9], s[4:5]
	s_cbranch_execz .LBB109_306
; %bb.297:
	s_andn2_b64 vcc, exec, s[10:11]
	s_cbranch_vccnz .LBB109_299
; %bb.298:
	buffer_load_dword v96, v95, s[0:3], 0 offen
	ds_read_b32 v97, v94
	s_waitcnt vmcnt(0) lgkmcnt(0)
	v_mul_f32_e32 v96, v96, v97
	s_cbranch_execz .LBB109_300
	s_branch .LBB109_301
.LBB109_299:
                                        ; implicit-def: $vgpr96
.LBB109_300:
	ds_read_b32 v96, v94
.LBB109_301:
	s_and_saveexec_b64 s[12:13], s[6:7]
	s_cbranch_execz .LBB109_305
; %bb.302:
	v_add_u32_e32 v97, -15, v0
	s_movk_i32 s29, 0xfc
	s_mov_b64 s[6:7], 0
.LBB109_303:                            ; =>This Inner Loop Header: Depth=1
	v_mov_b32_e32 v98, s28
	buffer_load_dword v98, v98, s[0:3], 0 offen
	v_mov_b32_e32 v99, s29
	ds_read_b32 v99, v99
	v_add_u32_e32 v97, -1, v97
	s_add_i32 s29, s29, 4
	s_add_i32 s28, s28, 4
	v_cmp_eq_u32_e32 vcc, 0, v97
	s_or_b64 s[6:7], vcc, s[6:7]
	s_waitcnt vmcnt(0) lgkmcnt(0)
	v_fmac_f32_e32 v96, v98, v99
	s_andn2_b64 exec, exec, s[6:7]
	s_cbranch_execnz .LBB109_303
; %bb.304:
	s_or_b64 exec, exec, s[6:7]
.LBB109_305:
	s_or_b64 exec, exec, s[12:13]
	v_mov_b32_e32 v97, 0
	ds_read_b32 v97, v97 offset:56
	s_waitcnt lgkmcnt(0)
	v_mul_f32_e32 v96, v96, v97
	buffer_store_dword v96, off, s[0:3], 0 offset:56
.LBB109_306:
	;; [unrolled: 54-line block ×15, first 2 shown]
	s_or_b64 exec, exec, s[8:9]
	buffer_load_dword v96, off, s[0:3], 0
	v_cmp_ne_u32_e32 vcc, 0, v0
	s_waitcnt vmcnt(0)
	ds_write_b32 v94, v96
	s_waitcnt lgkmcnt(0)
	; wave barrier
	s_and_saveexec_b64 s[4:5], vcc
	s_cbranch_execz .LBB109_446
; %bb.437:
	s_andn2_b64 vcc, exec, s[10:11]
	s_cbranch_vccnz .LBB109_439
; %bb.438:
	buffer_load_dword v96, v95, s[0:3], 0 offen
	ds_read_b32 v97, v94
	s_waitcnt vmcnt(0) lgkmcnt(0)
	v_mul_f32_e32 v96, v96, v97
	s_cbranch_execz .LBB109_440
	s_branch .LBB109_441
.LBB109_439:
                                        ; implicit-def: $vgpr96
.LBB109_440:
	ds_read_b32 v96, v94
.LBB109_441:
	s_and_saveexec_b64 s[8:9], s[6:7]
	s_cbranch_execz .LBB109_445
; %bb.442:
	v_add_u32_e32 v97, -1, v0
	s_movk_i32 s12, 0xc4
	s_mov_b64 s[6:7], 0
.LBB109_443:                            ; =>This Inner Loop Header: Depth=1
	v_mov_b32_e32 v98, s14
	buffer_load_dword v98, v98, s[0:3], 0 offen
	v_mov_b32_e32 v99, s12
	ds_read_b32 v99, v99
	v_add_u32_e32 v97, -1, v97
	s_add_i32 s12, s12, 4
	s_add_i32 s14, s14, 4
	v_cmp_eq_u32_e32 vcc, 0, v97
	s_or_b64 s[6:7], vcc, s[6:7]
	s_waitcnt vmcnt(0) lgkmcnt(0)
	v_fmac_f32_e32 v96, v98, v99
	s_andn2_b64 exec, exec, s[6:7]
	s_cbranch_execnz .LBB109_443
; %bb.444:
	s_or_b64 exec, exec, s[6:7]
.LBB109_445:
	s_or_b64 exec, exec, s[8:9]
	v_mov_b32_e32 v97, 0
	ds_read_b32 v97, v97
	s_waitcnt lgkmcnt(0)
	v_mul_f32_e32 v96, v96, v97
	buffer_store_dword v96, off, s[0:3], 0
.LBB109_446:
	s_or_b64 exec, exec, s[4:5]
	s_mov_b64 s[4:5], 0
.LBB109_447:
	s_and_b64 vcc, exec, s[4:5]
	s_cbranch_vccz .LBB109_889
; %bb.448:
	buffer_load_dword v96, off, s[0:3], 0 offset:4
	v_cmp_eq_u32_e64 s[6:7], 0, v0
	s_waitcnt vmcnt(0)
	ds_write_b32 v94, v96
	s_waitcnt lgkmcnt(0)
	; wave barrier
	s_and_saveexec_b64 s[4:5], s[6:7]
	s_cbranch_execz .LBB109_454
; %bb.449:
	s_and_b64 vcc, exec, s[10:11]
	s_cbranch_vccz .LBB109_451
; %bb.450:
	buffer_load_dword v96, v95, s[0:3], 0 offen
	ds_read_b32 v97, v94
	s_waitcnt vmcnt(0) lgkmcnt(0)
	v_mul_f32_e32 v96, v96, v97
	s_cbranch_execz .LBB109_452
	s_branch .LBB109_453
.LBB109_451:
                                        ; implicit-def: $vgpr96
.LBB109_452:
	ds_read_b32 v96, v94
.LBB109_453:
	v_mov_b32_e32 v97, 0
	ds_read_b32 v97, v97 offset:4
	s_waitcnt lgkmcnt(0)
	v_mul_f32_e32 v96, v96, v97
	buffer_store_dword v96, off, s[0:3], 0 offset:4
.LBB109_454:
	s_or_b64 exec, exec, s[4:5]
	buffer_load_dword v96, off, s[0:3], 0 offset:8
	v_cndmask_b32_e64 v97, 0, 1, s[10:11]
	v_cmp_gt_u32_e32 vcc, 2, v0
	v_cmp_ne_u32_e64 s[4:5], 1, v97
	s_waitcnt vmcnt(0)
	ds_write_b32 v94, v96
	s_waitcnt lgkmcnt(0)
	; wave barrier
	s_and_saveexec_b64 s[8:9], vcc
	s_cbranch_execz .LBB109_460
; %bb.455:
	s_and_b64 vcc, exec, s[4:5]
	s_cbranch_vccnz .LBB109_457
; %bb.456:
	buffer_load_dword v96, v95, s[0:3], 0 offen
	ds_read_b32 v97, v94
	s_waitcnt vmcnt(0) lgkmcnt(0)
	v_mul_f32_e32 v96, v96, v97
	s_cbranch_execz .LBB109_458
	s_branch .LBB109_459
.LBB109_457:
                                        ; implicit-def: $vgpr96
.LBB109_458:
	ds_read_b32 v96, v94
.LBB109_459:
	buffer_load_dword v99, off, s[0:3], 0 offset:4
	v_mov_b32_e32 v97, 0
	ds_read2_b32 v[97:98], v97 offset0:2 offset1:49
	s_waitcnt vmcnt(0) lgkmcnt(0)
	v_fma_f32 v98, v99, v98, v96
	v_cndmask_b32_e64 v96, v96, v98, s[6:7]
	v_mul_f32_e32 v96, v96, v97
	buffer_store_dword v96, off, s[0:3], 0 offset:8
.LBB109_460:
	s_or_b64 exec, exec, s[8:9]
	buffer_load_dword v96, off, s[0:3], 0 offset:12
	v_cmp_gt_u32_e32 vcc, 3, v0
	s_waitcnt vmcnt(0)
	ds_write_b32 v94, v96
	s_waitcnt lgkmcnt(0)
	; wave barrier
	s_and_saveexec_b64 s[8:9], vcc
	s_cbranch_execz .LBB109_468
; %bb.461:
	s_and_b64 vcc, exec, s[4:5]
	s_cbranch_vccnz .LBB109_463
; %bb.462:
	buffer_load_dword v96, v95, s[0:3], 0 offen
	ds_read_b32 v97, v94
	s_waitcnt vmcnt(0) lgkmcnt(0)
	v_mul_f32_e32 v96, v96, v97
	s_cbranch_execz .LBB109_464
	s_branch .LBB109_465
.LBB109_463:
                                        ; implicit-def: $vgpr96
.LBB109_464:
	ds_read_b32 v96, v94
.LBB109_465:
	v_cmp_ne_u32_e32 vcc, 2, v0
	s_and_saveexec_b64 s[10:11], vcc
	s_cbranch_execz .LBB109_467
; %bb.466:
	buffer_load_dword v97, v95, s[0:3], 0 offen offset:4
	buffer_load_dword v98, off, s[0:3], 0 offset:8
	v_mov_b32_e32 v99, 0
	ds_read_b32 v100, v94 offset:4
	ds_read_b32 v99, v99 offset:200
	s_waitcnt vmcnt(1) lgkmcnt(1)
	v_fmac_f32_e32 v96, v97, v100
	s_waitcnt vmcnt(0) lgkmcnt(0)
	v_fma_f32 v97, v98, v99, v96
	v_cndmask_b32_e64 v96, v96, v97, s[6:7]
.LBB109_467:
	s_or_b64 exec, exec, s[10:11]
	v_mov_b32_e32 v97, 0
	ds_read_b32 v97, v97 offset:12
	s_waitcnt lgkmcnt(0)
	v_mul_f32_e32 v96, v96, v97
	buffer_store_dword v96, off, s[0:3], 0 offset:12
.LBB109_468:
	s_or_b64 exec, exec, s[8:9]
	buffer_load_dword v96, off, s[0:3], 0 offset:16
	v_cmp_gt_u32_e32 vcc, 4, v0
	s_waitcnt vmcnt(0)
	ds_write_b32 v94, v96
	s_waitcnt lgkmcnt(0)
	; wave barrier
	s_and_saveexec_b64 s[6:7], vcc
	s_cbranch_execz .LBB109_478
; %bb.469:
	s_and_b64 vcc, exec, s[4:5]
	s_cbranch_vccnz .LBB109_471
; %bb.470:
	buffer_load_dword v96, v95, s[0:3], 0 offen
	ds_read_b32 v97, v94
	s_waitcnt vmcnt(0) lgkmcnt(0)
	v_mul_f32_e32 v96, v96, v97
	s_cbranch_execz .LBB109_472
	s_branch .LBB109_473
.LBB109_471:
                                        ; implicit-def: $vgpr96
.LBB109_472:
	ds_read_b32 v96, v94
.LBB109_473:
	v_cmp_ne_u32_e32 vcc, 3, v0
	s_and_saveexec_b64 s[8:9], vcc
	s_cbranch_execz .LBB109_477
; %bb.474:
	s_mov_b32 s10, 0
	v_add_u32_e32 v97, 0xc4, v93
	v_add3_u32 v98, v93, s10, 4
	s_mov_b64 s[10:11], 0
	v_mov_b32_e32 v99, v0
.LBB109_475:                            ; =>This Inner Loop Header: Depth=1
	buffer_load_dword v100, v98, s[0:3], 0 offen
	ds_read_b32 v101, v97
	v_add_u32_e32 v99, 1, v99
	v_cmp_lt_u32_e32 vcc, 2, v99
	v_add_u32_e32 v97, 4, v97
	v_add_u32_e32 v98, 4, v98
	s_or_b64 s[10:11], vcc, s[10:11]
	s_waitcnt vmcnt(0) lgkmcnt(0)
	v_fmac_f32_e32 v96, v100, v101
	s_andn2_b64 exec, exec, s[10:11]
	s_cbranch_execnz .LBB109_475
; %bb.476:
	s_or_b64 exec, exec, s[10:11]
.LBB109_477:
	s_or_b64 exec, exec, s[8:9]
	v_mov_b32_e32 v97, 0
	ds_read_b32 v97, v97 offset:16
	s_waitcnt lgkmcnt(0)
	v_mul_f32_e32 v96, v96, v97
	buffer_store_dword v96, off, s[0:3], 0 offset:16
.LBB109_478:
	s_or_b64 exec, exec, s[6:7]
	buffer_load_dword v96, off, s[0:3], 0 offset:20
	v_cmp_gt_u32_e32 vcc, 5, v0
	s_waitcnt vmcnt(0)
	ds_write_b32 v94, v96
	s_waitcnt lgkmcnt(0)
	; wave barrier
	s_and_saveexec_b64 s[6:7], vcc
	s_cbranch_execz .LBB109_488
; %bb.479:
	s_and_b64 vcc, exec, s[4:5]
	s_cbranch_vccnz .LBB109_481
; %bb.480:
	buffer_load_dword v96, v95, s[0:3], 0 offen
	ds_read_b32 v97, v94
	s_waitcnt vmcnt(0) lgkmcnt(0)
	v_mul_f32_e32 v96, v96, v97
	s_cbranch_execz .LBB109_482
	s_branch .LBB109_483
.LBB109_481:
                                        ; implicit-def: $vgpr96
.LBB109_482:
	ds_read_b32 v96, v94
.LBB109_483:
	v_cmp_ne_u32_e32 vcc, 4, v0
	s_and_saveexec_b64 s[8:9], vcc
	s_cbranch_execz .LBB109_487
; %bb.484:
	s_mov_b32 s10, 0
	v_add_u32_e32 v97, 0xc4, v93
	v_add3_u32 v98, v93, s10, 4
	s_mov_b64 s[10:11], 0
	v_mov_b32_e32 v99, v0
.LBB109_485:                            ; =>This Inner Loop Header: Depth=1
	buffer_load_dword v100, v98, s[0:3], 0 offen
	ds_read_b32 v101, v97
	v_add_u32_e32 v99, 1, v99
	v_cmp_lt_u32_e32 vcc, 3, v99
	v_add_u32_e32 v97, 4, v97
	v_add_u32_e32 v98, 4, v98
	s_or_b64 s[10:11], vcc, s[10:11]
	s_waitcnt vmcnt(0) lgkmcnt(0)
	v_fmac_f32_e32 v96, v100, v101
	s_andn2_b64 exec, exec, s[10:11]
	s_cbranch_execnz .LBB109_485
; %bb.486:
	s_or_b64 exec, exec, s[10:11]
.LBB109_487:
	s_or_b64 exec, exec, s[8:9]
	v_mov_b32_e32 v97, 0
	ds_read_b32 v97, v97 offset:20
	s_waitcnt lgkmcnt(0)
	v_mul_f32_e32 v96, v96, v97
	buffer_store_dword v96, off, s[0:3], 0 offset:20
.LBB109_488:
	;; [unrolled: 55-line block ×40, first 2 shown]
	s_or_b64 exec, exec, s[6:7]
	buffer_load_dword v96, off, s[0:3], 0 offset:176
	v_cmp_gt_u32_e64 s[6:7], 44, v0
	s_waitcnt vmcnt(0)
	ds_write_b32 v94, v96
	s_waitcnt lgkmcnt(0)
	; wave barrier
	s_and_saveexec_b64 s[8:9], s[6:7]
	s_cbranch_execz .LBB109_878
; %bb.869:
	s_and_b64 vcc, exec, s[4:5]
	s_cbranch_vccnz .LBB109_871
; %bb.870:
	buffer_load_dword v96, v95, s[0:3], 0 offen
	ds_read_b32 v97, v94
	s_waitcnt vmcnt(0) lgkmcnt(0)
	v_mul_f32_e32 v96, v96, v97
	s_cbranch_execz .LBB109_872
	s_branch .LBB109_873
.LBB109_871:
                                        ; implicit-def: $vgpr96
.LBB109_872:
	ds_read_b32 v96, v94
.LBB109_873:
	v_cmp_ne_u32_e32 vcc, 43, v0
	s_and_saveexec_b64 s[10:11], vcc
	s_cbranch_execz .LBB109_877
; %bb.874:
	s_mov_b32 s12, 0
	v_add_u32_e32 v97, 0xc4, v93
	v_add3_u32 v98, v93, s12, 4
	s_mov_b64 s[12:13], 0
	v_mov_b32_e32 v99, v0
.LBB109_875:                            ; =>This Inner Loop Header: Depth=1
	buffer_load_dword v100, v98, s[0:3], 0 offen
	ds_read_b32 v101, v97
	v_add_u32_e32 v99, 1, v99
	v_cmp_lt_u32_e32 vcc, 42, v99
	v_add_u32_e32 v97, 4, v97
	v_add_u32_e32 v98, 4, v98
	s_or_b64 s[12:13], vcc, s[12:13]
	s_waitcnt vmcnt(0) lgkmcnt(0)
	v_fmac_f32_e32 v96, v100, v101
	s_andn2_b64 exec, exec, s[12:13]
	s_cbranch_execnz .LBB109_875
; %bb.876:
	s_or_b64 exec, exec, s[12:13]
.LBB109_877:
	s_or_b64 exec, exec, s[10:11]
	v_mov_b32_e32 v97, 0
	ds_read_b32 v97, v97 offset:176
	s_waitcnt lgkmcnt(0)
	v_mul_f32_e32 v96, v96, v97
	buffer_store_dword v96, off, s[0:3], 0 offset:176
.LBB109_878:
	s_or_b64 exec, exec, s[8:9]
	buffer_load_dword v96, off, s[0:3], 0 offset:180
	v_cmp_ne_u32_e32 vcc, 45, v0
	s_waitcnt vmcnt(0)
	ds_write_b32 v94, v96
	s_waitcnt lgkmcnt(0)
	; wave barrier
	s_and_saveexec_b64 s[8:9], vcc
	s_cbranch_execz .LBB109_888
; %bb.879:
	s_and_b64 vcc, exec, s[4:5]
	s_cbranch_vccnz .LBB109_881
; %bb.880:
	buffer_load_dword v95, v95, s[0:3], 0 offen
	ds_read_b32 v96, v94
	s_waitcnt vmcnt(0) lgkmcnt(0)
	v_mul_f32_e32 v95, v95, v96
	s_cbranch_execz .LBB109_882
	s_branch .LBB109_883
.LBB109_881:
                                        ; implicit-def: $vgpr95
.LBB109_882:
	ds_read_b32 v95, v94
.LBB109_883:
	s_and_saveexec_b64 s[4:5], s[6:7]
	s_cbranch_execz .LBB109_887
; %bb.884:
	s_mov_b32 s6, 0
	v_add_u32_e32 v94, 0xc4, v93
	v_add3_u32 v93, v93, s6, 4
	s_mov_b64 s[6:7], 0
.LBB109_885:                            ; =>This Inner Loop Header: Depth=1
	buffer_load_dword v96, v93, s[0:3], 0 offen
	ds_read_b32 v97, v94
	v_add_u32_e32 v0, 1, v0
	v_cmp_lt_u32_e32 vcc, 43, v0
	v_add_u32_e32 v94, 4, v94
	v_add_u32_e32 v93, 4, v93
	s_or_b64 s[6:7], vcc, s[6:7]
	s_waitcnt vmcnt(0) lgkmcnt(0)
	v_fmac_f32_e32 v95, v96, v97
	s_andn2_b64 exec, exec, s[6:7]
	s_cbranch_execnz .LBB109_885
; %bb.886:
	s_or_b64 exec, exec, s[6:7]
.LBB109_887:
	s_or_b64 exec, exec, s[4:5]
	v_mov_b32_e32 v0, 0
	ds_read_b32 v0, v0 offset:180
	s_waitcnt lgkmcnt(0)
	v_mul_f32_e32 v0, v95, v0
	buffer_store_dword v0, off, s[0:3], 0 offset:180
.LBB109_888:
	s_or_b64 exec, exec, s[8:9]
.LBB109_889:
	buffer_load_dword v0, off, s[0:3], 0
	s_waitcnt vmcnt(0)
	flat_store_dword v[1:2], v0
	buffer_load_dword v0, off, s[0:3], 0 offset:4
	s_waitcnt vmcnt(0)
	flat_store_dword v[3:4], v0
	buffer_load_dword v0, off, s[0:3], 0 offset:8
	;; [unrolled: 3-line block ×45, first 2 shown]
	s_waitcnt vmcnt(0)
	flat_store_dword v[91:92], v0
.LBB109_890:
	s_endpgm
	.section	.rodata,"a",@progbits
	.p2align	6, 0x0
	.amdhsa_kernel _ZN9rocsolver6v33100L18trti2_kernel_smallILi46EfPKPfEEv13rocblas_fill_17rocblas_diagonal_T1_iil
		.amdhsa_group_segment_fixed_size 376
		.amdhsa_private_segment_fixed_size 192
		.amdhsa_kernarg_size 32
		.amdhsa_user_sgpr_count 6
		.amdhsa_user_sgpr_private_segment_buffer 1
		.amdhsa_user_sgpr_dispatch_ptr 0
		.amdhsa_user_sgpr_queue_ptr 0
		.amdhsa_user_sgpr_kernarg_segment_ptr 1
		.amdhsa_user_sgpr_dispatch_id 0
		.amdhsa_user_sgpr_flat_scratch_init 0
		.amdhsa_user_sgpr_private_segment_size 0
		.amdhsa_uses_dynamic_stack 0
		.amdhsa_system_sgpr_private_segment_wavefront_offset 1
		.amdhsa_system_sgpr_workgroup_id_x 1
		.amdhsa_system_sgpr_workgroup_id_y 0
		.amdhsa_system_sgpr_workgroup_id_z 0
		.amdhsa_system_sgpr_workgroup_info 0
		.amdhsa_system_vgpr_workitem_id 0
		.amdhsa_next_free_vgpr 102
		.amdhsa_next_free_sgpr 59
		.amdhsa_reserve_vcc 1
		.amdhsa_reserve_flat_scratch 0
		.amdhsa_float_round_mode_32 0
		.amdhsa_float_round_mode_16_64 0
		.amdhsa_float_denorm_mode_32 3
		.amdhsa_float_denorm_mode_16_64 3
		.amdhsa_dx10_clamp 1
		.amdhsa_ieee_mode 1
		.amdhsa_fp16_overflow 0
		.amdhsa_exception_fp_ieee_invalid_op 0
		.amdhsa_exception_fp_denorm_src 0
		.amdhsa_exception_fp_ieee_div_zero 0
		.amdhsa_exception_fp_ieee_overflow 0
		.amdhsa_exception_fp_ieee_underflow 0
		.amdhsa_exception_fp_ieee_inexact 0
		.amdhsa_exception_int_div_zero 0
	.end_amdhsa_kernel
	.section	.text._ZN9rocsolver6v33100L18trti2_kernel_smallILi46EfPKPfEEv13rocblas_fill_17rocblas_diagonal_T1_iil,"axG",@progbits,_ZN9rocsolver6v33100L18trti2_kernel_smallILi46EfPKPfEEv13rocblas_fill_17rocblas_diagonal_T1_iil,comdat
.Lfunc_end109:
	.size	_ZN9rocsolver6v33100L18trti2_kernel_smallILi46EfPKPfEEv13rocblas_fill_17rocblas_diagonal_T1_iil, .Lfunc_end109-_ZN9rocsolver6v33100L18trti2_kernel_smallILi46EfPKPfEEv13rocblas_fill_17rocblas_diagonal_T1_iil
                                        ; -- End function
	.set _ZN9rocsolver6v33100L18trti2_kernel_smallILi46EfPKPfEEv13rocblas_fill_17rocblas_diagonal_T1_iil.num_vgpr, 102
	.set _ZN9rocsolver6v33100L18trti2_kernel_smallILi46EfPKPfEEv13rocblas_fill_17rocblas_diagonal_T1_iil.num_agpr, 0
	.set _ZN9rocsolver6v33100L18trti2_kernel_smallILi46EfPKPfEEv13rocblas_fill_17rocblas_diagonal_T1_iil.numbered_sgpr, 59
	.set _ZN9rocsolver6v33100L18trti2_kernel_smallILi46EfPKPfEEv13rocblas_fill_17rocblas_diagonal_T1_iil.num_named_barrier, 0
	.set _ZN9rocsolver6v33100L18trti2_kernel_smallILi46EfPKPfEEv13rocblas_fill_17rocblas_diagonal_T1_iil.private_seg_size, 192
	.set _ZN9rocsolver6v33100L18trti2_kernel_smallILi46EfPKPfEEv13rocblas_fill_17rocblas_diagonal_T1_iil.uses_vcc, 1
	.set _ZN9rocsolver6v33100L18trti2_kernel_smallILi46EfPKPfEEv13rocblas_fill_17rocblas_diagonal_T1_iil.uses_flat_scratch, 0
	.set _ZN9rocsolver6v33100L18trti2_kernel_smallILi46EfPKPfEEv13rocblas_fill_17rocblas_diagonal_T1_iil.has_dyn_sized_stack, 0
	.set _ZN9rocsolver6v33100L18trti2_kernel_smallILi46EfPKPfEEv13rocblas_fill_17rocblas_diagonal_T1_iil.has_recursion, 0
	.set _ZN9rocsolver6v33100L18trti2_kernel_smallILi46EfPKPfEEv13rocblas_fill_17rocblas_diagonal_T1_iil.has_indirect_call, 0
	.section	.AMDGPU.csdata,"",@progbits
; Kernel info:
; codeLenInByte = 22304
; TotalNumSgprs: 63
; NumVgprs: 102
; ScratchSize: 192
; MemoryBound: 0
; FloatMode: 240
; IeeeMode: 1
; LDSByteSize: 376 bytes/workgroup (compile time only)
; SGPRBlocks: 7
; VGPRBlocks: 25
; NumSGPRsForWavesPerEU: 63
; NumVGPRsForWavesPerEU: 102
; Occupancy: 2
; WaveLimiterHint : 1
; COMPUTE_PGM_RSRC2:SCRATCH_EN: 1
; COMPUTE_PGM_RSRC2:USER_SGPR: 6
; COMPUTE_PGM_RSRC2:TRAP_HANDLER: 0
; COMPUTE_PGM_RSRC2:TGID_X_EN: 1
; COMPUTE_PGM_RSRC2:TGID_Y_EN: 0
; COMPUTE_PGM_RSRC2:TGID_Z_EN: 0
; COMPUTE_PGM_RSRC2:TIDIG_COMP_CNT: 0
	.section	.text._ZN9rocsolver6v33100L18trti2_kernel_smallILi47EfPKPfEEv13rocblas_fill_17rocblas_diagonal_T1_iil,"axG",@progbits,_ZN9rocsolver6v33100L18trti2_kernel_smallILi47EfPKPfEEv13rocblas_fill_17rocblas_diagonal_T1_iil,comdat
	.globl	_ZN9rocsolver6v33100L18trti2_kernel_smallILi47EfPKPfEEv13rocblas_fill_17rocblas_diagonal_T1_iil ; -- Begin function _ZN9rocsolver6v33100L18trti2_kernel_smallILi47EfPKPfEEv13rocblas_fill_17rocblas_diagonal_T1_iil
	.p2align	8
	.type	_ZN9rocsolver6v33100L18trti2_kernel_smallILi47EfPKPfEEv13rocblas_fill_17rocblas_diagonal_T1_iil,@function
_ZN9rocsolver6v33100L18trti2_kernel_smallILi47EfPKPfEEv13rocblas_fill_17rocblas_diagonal_T1_iil: ; @_ZN9rocsolver6v33100L18trti2_kernel_smallILi47EfPKPfEEv13rocblas_fill_17rocblas_diagonal_T1_iil
; %bb.0:
	s_add_u32 s0, s0, s7
	s_addc_u32 s1, s1, 0
	v_cmp_gt_u32_e32 vcc, 47, v0
	s_and_saveexec_b64 s[8:9], vcc
	s_cbranch_execz .LBB110_910
; %bb.1:
	s_load_dwordx2 s[12:13], s[4:5], 0x10
	s_load_dwordx4 s[8:11], s[4:5], 0x0
	s_ashr_i32 s7, s6, 31
	s_lshl_b64 s[6:7], s[6:7], 3
	v_lshlrev_b32_e32 v95, 2, v0
	s_waitcnt lgkmcnt(0)
	s_ashr_i32 s5, s12, 31
	s_add_u32 s6, s10, s6
	s_addc_u32 s7, s11, s7
	s_load_dwordx2 s[6:7], s[6:7], 0x0
	s_mov_b32 s4, s12
	s_lshl_b64 s[4:5], s[4:5], 2
	s_movk_i32 s12, 0x84
	s_waitcnt lgkmcnt(0)
	s_add_u32 s4, s6, s4
	s_addc_u32 s5, s7, s5
	v_mov_b32_e32 v2, s5
	v_add_co_u32_e32 v1, vcc, s4, v95
	v_addc_co_u32_e32 v2, vcc, 0, v2, vcc
	flat_load_dword v5, v[1:2]
	s_mov_b32 s6, s13
	s_ashr_i32 s7, s13, 31
	s_lshl_b64 s[6:7], s[6:7], 2
	v_mov_b32_e32 v4, s7
	v_add_co_u32_e32 v3, vcc, s6, v1
	v_addc_co_u32_e32 v4, vcc, v2, v4, vcc
	s_add_i32 s6, s13, s13
	v_add_u32_e32 v7, s6, v0
	v_ashrrev_i32_e32 v8, 31, v7
	v_mov_b32_e32 v10, s5
	v_mov_b32_e32 v12, s5
	;; [unrolled: 1-line block ×44, first 2 shown]
	s_cmpk_lg_i32 s9, 0x84
	s_cselect_b64 s[10:11], -1, 0
	s_cmpk_eq_i32 s9, 0x84
	s_waitcnt vmcnt(0) lgkmcnt(0)
	buffer_store_dword v5, off, s[0:3], 0
	flat_load_dword v9, v[3:4]
	v_lshlrev_b64 v[5:6], 2, v[7:8]
	v_add_co_u32_e32 v5, vcc, s4, v5
	v_addc_co_u32_e32 v6, vcc, v10, v6, vcc
	s_waitcnt vmcnt(0) lgkmcnt(0)
	buffer_store_dword v9, off, s[0:3], 0 offset:4
	flat_load_dword v11, v[5:6]
	v_add_u32_e32 v9, s13, v7
	v_ashrrev_i32_e32 v10, 31, v9
	v_lshlrev_b64 v[7:8], 2, v[9:10]
	v_add_co_u32_e32 v7, vcc, s4, v7
	v_addc_co_u32_e32 v8, vcc, v12, v8, vcc
	s_waitcnt vmcnt(0) lgkmcnt(0)
	buffer_store_dword v11, off, s[0:3], 0 offset:8
	flat_load_dword v13, v[7:8]
	v_add_u32_e32 v11, s13, v9
	v_ashrrev_i32_e32 v12, 31, v11
	;; [unrolled: 8-line block ×43, first 2 shown]
	v_lshlrev_b64 v[91:92], 2, v[93:94]
	v_add_u32_e32 v93, s13, v93
	v_add_co_u32_e32 v91, vcc, s4, v91
	v_addc_co_u32_e32 v92, vcc, v97, v92, vcc
	v_ashrrev_i32_e32 v94, 31, v93
	v_lshlrev_b64 v[93:94], 2, v[93:94]
	v_add_co_u32_e32 v93, vcc, s4, v93
	v_addc_co_u32_e32 v94, vcc, v97, v94, vcc
	s_waitcnt vmcnt(0) lgkmcnt(0)
	buffer_store_dword v96, off, s[0:3], 0 offset:176
	flat_load_dword v96, v[91:92]
	s_waitcnt vmcnt(0) lgkmcnt(0)
	buffer_store_dword v96, off, s[0:3], 0 offset:180
	flat_load_dword v96, v[93:94]
	s_waitcnt vmcnt(0) lgkmcnt(0)
	buffer_store_dword v96, off, s[0:3], 0 offset:184
	v_mov_b32_e32 v96, -1.0
	s_cbranch_scc1 .LBB110_3
; %bb.2:
	v_mov_b32_e32 v96, 0
	v_lshl_add_u32 v96, v0, 2, v96
	buffer_load_dword v97, v96, s[0:3], 0 offen
	s_waitcnt vmcnt(0)
	v_div_scale_f32 v98, s[4:5], v97, v97, 1.0
	v_div_scale_f32 v99, vcc, 1.0, v97, 1.0
	v_rcp_f32_e32 v100, v98
	v_fma_f32 v101, -v98, v100, 1.0
	v_fmac_f32_e32 v100, v101, v100
	v_mul_f32_e32 v101, v99, v100
	v_fma_f32 v102, -v98, v101, v99
	v_fmac_f32_e32 v101, v102, v100
	v_fma_f32 v98, -v98, v101, v99
	v_div_fmas_f32 v98, v98, v100, v101
	v_div_fixup_f32 v97, v98, v97, 1.0
	buffer_store_dword v97, v96, s[0:3], 0 offen
	v_xor_b32_e32 v96, 0x80000000, v97
.LBB110_3:
	ds_write_b32 v95, v96
	s_cmpk_eq_i32 s8, 0x79
	v_add_u32_e32 v96, 0xc0, v95
	v_mov_b32_e32 v97, v95
	s_mov_b64 s[4:5], -1
	s_cbranch_scc1 .LBB110_457
; %bb.4:
	buffer_load_dword v98, off, s[0:3], 0 offset:180
	s_movk_i32 s30, 0x44
	s_movk_i32 s31, 0x48
	;; [unrolled: 1-line block ×27, first 2 shown]
	v_cmp_eq_u32_e64 s[4:5], 46, v0
	s_waitcnt vmcnt(0)
	ds_write_b32 v96, v98
	s_waitcnt lgkmcnt(0)
	; wave barrier
	s_and_saveexec_b64 s[6:7], s[4:5]
	s_cbranch_execz .LBB110_10
; %bb.5:
	s_and_b64 vcc, exec, s[10:11]
	s_cbranch_vccz .LBB110_7
; %bb.6:
	buffer_load_dword v98, v97, s[0:3], 0 offen
	ds_read_b32 v99, v96
	s_waitcnt vmcnt(0) lgkmcnt(0)
	v_mul_f32_e32 v98, v98, v99
	s_cbranch_execz .LBB110_8
	s_branch .LBB110_9
.LBB110_7:
                                        ; implicit-def: $vgpr98
.LBB110_8:
	ds_read_b32 v98, v96
.LBB110_9:
	v_mov_b32_e32 v99, 0
	ds_read_b32 v99, v99 offset:180
	s_waitcnt lgkmcnt(0)
	v_mul_f32_e32 v98, v98, v99
	buffer_store_dword v98, off, s[0:3], 0 offset:180
.LBB110_10:
	s_or_b64 exec, exec, s[6:7]
	buffer_load_dword v98, off, s[0:3], 0 offset:176
	s_or_b32 s14, 0, 4
	s_or_b32 s15, 0, 8
	;; [unrolled: 1-line block ×3, first 2 shown]
	s_mov_b32 s17, 16
	s_mov_b32 s18, 20
	;; [unrolled: 1-line block ×15, first 2 shown]
	v_cmp_lt_u32_e64 s[6:7], 44, v0
	s_waitcnt vmcnt(0)
	ds_write_b32 v96, v98
	s_waitcnt lgkmcnt(0)
	; wave barrier
	s_and_saveexec_b64 s[8:9], s[6:7]
	s_cbranch_execz .LBB110_16
; %bb.11:
	s_andn2_b64 vcc, exec, s[10:11]
	s_cbranch_vccnz .LBB110_13
; %bb.12:
	buffer_load_dword v98, v97, s[0:3], 0 offen
	ds_read_b32 v99, v96
	s_waitcnt vmcnt(0) lgkmcnt(0)
	v_mul_f32_e32 v98, v98, v99
	s_cbranch_execz .LBB110_14
	s_branch .LBB110_15
.LBB110_13:
                                        ; implicit-def: $vgpr98
.LBB110_14:
	ds_read_b32 v98, v96
.LBB110_15:
	buffer_load_dword v101, off, s[0:3], 0 offset:180
	v_mov_b32_e32 v99, 0
	ds_read2_b32 v[99:100], v99 offset0:44 offset1:93
	s_waitcnt vmcnt(0) lgkmcnt(0)
	v_fma_f32 v100, v101, v100, v98
	v_cndmask_b32_e64 v98, v98, v100, s[4:5]
	v_mul_f32_e32 v98, v98, v99
	buffer_store_dword v98, off, s[0:3], 0 offset:176
.LBB110_16:
	s_or_b64 exec, exec, s[8:9]
	buffer_load_dword v98, off, s[0:3], 0 offset:172
	v_cmp_lt_u32_e64 s[4:5], 43, v0
	s_waitcnt vmcnt(0)
	ds_write_b32 v96, v98
	s_waitcnt lgkmcnt(0)
	; wave barrier
	s_and_saveexec_b64 s[8:9], s[4:5]
	s_cbranch_execz .LBB110_26
; %bb.17:
	s_andn2_b64 vcc, exec, s[10:11]
	s_cbranch_vccnz .LBB110_19
; %bb.18:
	buffer_load_dword v98, v97, s[0:3], 0 offen
	ds_read_b32 v99, v96
	s_waitcnt vmcnt(0) lgkmcnt(0)
	v_mul_f32_e32 v98, v98, v99
	s_cbranch_execz .LBB110_20
	s_branch .LBB110_21
.LBB110_19:
                                        ; implicit-def: $vgpr98
.LBB110_20:
	ds_read_b32 v98, v96
.LBB110_21:
	s_and_saveexec_b64 s[12:13], s[6:7]
	s_cbranch_execz .LBB110_25
; %bb.22:
	v_subrev_u32_e32 v99, 44, v0
	s_movk_i32 s59, 0x170
	s_mov_b64 s[6:7], 0
.LBB110_23:                             ; =>This Inner Loop Header: Depth=1
	v_mov_b32_e32 v100, s58
	buffer_load_dword v100, v100, s[0:3], 0 offen
	v_mov_b32_e32 v101, s59
	ds_read_b32 v101, v101
	v_add_u32_e32 v99, -1, v99
	s_add_i32 s59, s59, 4
	s_add_i32 s58, s58, 4
	v_cmp_eq_u32_e32 vcc, 0, v99
	s_or_b64 s[6:7], vcc, s[6:7]
	s_waitcnt vmcnt(0) lgkmcnt(0)
	v_fmac_f32_e32 v98, v100, v101
	s_andn2_b64 exec, exec, s[6:7]
	s_cbranch_execnz .LBB110_23
; %bb.24:
	s_or_b64 exec, exec, s[6:7]
.LBB110_25:
	s_or_b64 exec, exec, s[12:13]
	v_mov_b32_e32 v99, 0
	ds_read_b32 v99, v99 offset:172
	s_waitcnt lgkmcnt(0)
	v_mul_f32_e32 v98, v98, v99
	buffer_store_dword v98, off, s[0:3], 0 offset:172
.LBB110_26:
	s_or_b64 exec, exec, s[8:9]
	buffer_load_dword v98, off, s[0:3], 0 offset:168
	v_cmp_lt_u32_e64 s[6:7], 42, v0
	s_waitcnt vmcnt(0)
	ds_write_b32 v96, v98
	s_waitcnt lgkmcnt(0)
	; wave barrier
	s_and_saveexec_b64 s[8:9], s[6:7]
	s_cbranch_execz .LBB110_36
; %bb.27:
	s_andn2_b64 vcc, exec, s[10:11]
	s_cbranch_vccnz .LBB110_29
; %bb.28:
	buffer_load_dword v98, v97, s[0:3], 0 offen
	ds_read_b32 v99, v96
	s_waitcnt vmcnt(0) lgkmcnt(0)
	v_mul_f32_e32 v98, v98, v99
	s_cbranch_execz .LBB110_30
	s_branch .LBB110_31
.LBB110_29:
                                        ; implicit-def: $vgpr98
.LBB110_30:
	ds_read_b32 v98, v96
.LBB110_31:
	s_and_saveexec_b64 s[12:13], s[4:5]
	s_cbranch_execz .LBB110_35
; %bb.32:
	v_subrev_u32_e32 v99, 43, v0
	s_movk_i32 s58, 0x16c
	s_mov_b64 s[4:5], 0
.LBB110_33:                             ; =>This Inner Loop Header: Depth=1
	v_mov_b32_e32 v100, s57
	buffer_load_dword v100, v100, s[0:3], 0 offen
	v_mov_b32_e32 v101, s58
	ds_read_b32 v101, v101
	v_add_u32_e32 v99, -1, v99
	s_add_i32 s58, s58, 4
	s_add_i32 s57, s57, 4
	v_cmp_eq_u32_e32 vcc, 0, v99
	s_or_b64 s[4:5], vcc, s[4:5]
	s_waitcnt vmcnt(0) lgkmcnt(0)
	v_fmac_f32_e32 v98, v100, v101
	s_andn2_b64 exec, exec, s[4:5]
	s_cbranch_execnz .LBB110_33
; %bb.34:
	s_or_b64 exec, exec, s[4:5]
.LBB110_35:
	s_or_b64 exec, exec, s[12:13]
	v_mov_b32_e32 v99, 0
	ds_read_b32 v99, v99 offset:168
	s_waitcnt lgkmcnt(0)
	v_mul_f32_e32 v98, v98, v99
	buffer_store_dword v98, off, s[0:3], 0 offset:168
.LBB110_36:
	s_or_b64 exec, exec, s[8:9]
	buffer_load_dword v98, off, s[0:3], 0 offset:164
	v_cmp_lt_u32_e64 s[4:5], 41, v0
	s_waitcnt vmcnt(0)
	ds_write_b32 v96, v98
	s_waitcnt lgkmcnt(0)
	; wave barrier
	s_and_saveexec_b64 s[8:9], s[4:5]
	s_cbranch_execz .LBB110_46
; %bb.37:
	s_andn2_b64 vcc, exec, s[10:11]
	s_cbranch_vccnz .LBB110_39
; %bb.38:
	buffer_load_dword v98, v97, s[0:3], 0 offen
	ds_read_b32 v99, v96
	s_waitcnt vmcnt(0) lgkmcnt(0)
	v_mul_f32_e32 v98, v98, v99
	s_cbranch_execz .LBB110_40
	s_branch .LBB110_41
.LBB110_39:
                                        ; implicit-def: $vgpr98
.LBB110_40:
	ds_read_b32 v98, v96
.LBB110_41:
	s_and_saveexec_b64 s[12:13], s[6:7]
	s_cbranch_execz .LBB110_45
; %bb.42:
	v_subrev_u32_e32 v99, 42, v0
	s_movk_i32 s57, 0x168
	s_mov_b64 s[6:7], 0
.LBB110_43:                             ; =>This Inner Loop Header: Depth=1
	v_mov_b32_e32 v100, s56
	buffer_load_dword v100, v100, s[0:3], 0 offen
	v_mov_b32_e32 v101, s57
	ds_read_b32 v101, v101
	v_add_u32_e32 v99, -1, v99
	s_add_i32 s57, s57, 4
	s_add_i32 s56, s56, 4
	v_cmp_eq_u32_e32 vcc, 0, v99
	s_or_b64 s[6:7], vcc, s[6:7]
	s_waitcnt vmcnt(0) lgkmcnt(0)
	v_fmac_f32_e32 v98, v100, v101
	s_andn2_b64 exec, exec, s[6:7]
	s_cbranch_execnz .LBB110_43
; %bb.44:
	s_or_b64 exec, exec, s[6:7]
.LBB110_45:
	s_or_b64 exec, exec, s[12:13]
	v_mov_b32_e32 v99, 0
	ds_read_b32 v99, v99 offset:164
	s_waitcnt lgkmcnt(0)
	v_mul_f32_e32 v98, v98, v99
	buffer_store_dword v98, off, s[0:3], 0 offset:164
.LBB110_46:
	s_or_b64 exec, exec, s[8:9]
	buffer_load_dword v98, off, s[0:3], 0 offset:160
	v_cmp_lt_u32_e64 s[6:7], 40, v0
	s_waitcnt vmcnt(0)
	ds_write_b32 v96, v98
	s_waitcnt lgkmcnt(0)
	; wave barrier
	s_and_saveexec_b64 s[8:9], s[6:7]
	s_cbranch_execz .LBB110_56
; %bb.47:
	s_andn2_b64 vcc, exec, s[10:11]
	s_cbranch_vccnz .LBB110_49
; %bb.48:
	buffer_load_dword v98, v97, s[0:3], 0 offen
	ds_read_b32 v99, v96
	s_waitcnt vmcnt(0) lgkmcnt(0)
	v_mul_f32_e32 v98, v98, v99
	s_cbranch_execz .LBB110_50
	s_branch .LBB110_51
.LBB110_49:
                                        ; implicit-def: $vgpr98
.LBB110_50:
	ds_read_b32 v98, v96
.LBB110_51:
	s_and_saveexec_b64 s[12:13], s[4:5]
	s_cbranch_execz .LBB110_55
; %bb.52:
	v_subrev_u32_e32 v99, 41, v0
	s_movk_i32 s56, 0x164
	s_mov_b64 s[4:5], 0
.LBB110_53:                             ; =>This Inner Loop Header: Depth=1
	v_mov_b32_e32 v100, s55
	buffer_load_dword v100, v100, s[0:3], 0 offen
	v_mov_b32_e32 v101, s56
	ds_read_b32 v101, v101
	v_add_u32_e32 v99, -1, v99
	s_add_i32 s56, s56, 4
	s_add_i32 s55, s55, 4
	v_cmp_eq_u32_e32 vcc, 0, v99
	s_or_b64 s[4:5], vcc, s[4:5]
	s_waitcnt vmcnt(0) lgkmcnt(0)
	v_fmac_f32_e32 v98, v100, v101
	s_andn2_b64 exec, exec, s[4:5]
	s_cbranch_execnz .LBB110_53
; %bb.54:
	s_or_b64 exec, exec, s[4:5]
.LBB110_55:
	s_or_b64 exec, exec, s[12:13]
	v_mov_b32_e32 v99, 0
	ds_read_b32 v99, v99 offset:160
	s_waitcnt lgkmcnt(0)
	v_mul_f32_e32 v98, v98, v99
	buffer_store_dword v98, off, s[0:3], 0 offset:160
.LBB110_56:
	s_or_b64 exec, exec, s[8:9]
	buffer_load_dword v98, off, s[0:3], 0 offset:156
	v_cmp_lt_u32_e64 s[4:5], 39, v0
	s_waitcnt vmcnt(0)
	ds_write_b32 v96, v98
	s_waitcnt lgkmcnt(0)
	; wave barrier
	s_and_saveexec_b64 s[8:9], s[4:5]
	s_cbranch_execz .LBB110_66
; %bb.57:
	s_andn2_b64 vcc, exec, s[10:11]
	s_cbranch_vccnz .LBB110_59
; %bb.58:
	buffer_load_dword v98, v97, s[0:3], 0 offen
	ds_read_b32 v99, v96
	s_waitcnt vmcnt(0) lgkmcnt(0)
	v_mul_f32_e32 v98, v98, v99
	s_cbranch_execz .LBB110_60
	s_branch .LBB110_61
.LBB110_59:
                                        ; implicit-def: $vgpr98
.LBB110_60:
	ds_read_b32 v98, v96
.LBB110_61:
	s_and_saveexec_b64 s[12:13], s[6:7]
	s_cbranch_execz .LBB110_65
; %bb.62:
	v_subrev_u32_e32 v99, 40, v0
	s_movk_i32 s55, 0x160
	s_mov_b64 s[6:7], 0
.LBB110_63:                             ; =>This Inner Loop Header: Depth=1
	v_mov_b32_e32 v100, s54
	buffer_load_dword v100, v100, s[0:3], 0 offen
	v_mov_b32_e32 v101, s55
	ds_read_b32 v101, v101
	v_add_u32_e32 v99, -1, v99
	s_add_i32 s55, s55, 4
	s_add_i32 s54, s54, 4
	v_cmp_eq_u32_e32 vcc, 0, v99
	s_or_b64 s[6:7], vcc, s[6:7]
	s_waitcnt vmcnt(0) lgkmcnt(0)
	v_fmac_f32_e32 v98, v100, v101
	s_andn2_b64 exec, exec, s[6:7]
	s_cbranch_execnz .LBB110_63
; %bb.64:
	s_or_b64 exec, exec, s[6:7]
.LBB110_65:
	s_or_b64 exec, exec, s[12:13]
	v_mov_b32_e32 v99, 0
	ds_read_b32 v99, v99 offset:156
	s_waitcnt lgkmcnt(0)
	v_mul_f32_e32 v98, v98, v99
	buffer_store_dword v98, off, s[0:3], 0 offset:156
.LBB110_66:
	s_or_b64 exec, exec, s[8:9]
	buffer_load_dword v98, off, s[0:3], 0 offset:152
	v_cmp_lt_u32_e64 s[6:7], 38, v0
	s_waitcnt vmcnt(0)
	ds_write_b32 v96, v98
	s_waitcnt lgkmcnt(0)
	; wave barrier
	s_and_saveexec_b64 s[8:9], s[6:7]
	s_cbranch_execz .LBB110_76
; %bb.67:
	s_andn2_b64 vcc, exec, s[10:11]
	s_cbranch_vccnz .LBB110_69
; %bb.68:
	buffer_load_dword v98, v97, s[0:3], 0 offen
	ds_read_b32 v99, v96
	s_waitcnt vmcnt(0) lgkmcnt(0)
	v_mul_f32_e32 v98, v98, v99
	s_cbranch_execz .LBB110_70
	s_branch .LBB110_71
.LBB110_69:
                                        ; implicit-def: $vgpr98
.LBB110_70:
	ds_read_b32 v98, v96
.LBB110_71:
	s_and_saveexec_b64 s[12:13], s[4:5]
	s_cbranch_execz .LBB110_75
; %bb.72:
	v_subrev_u32_e32 v99, 39, v0
	s_movk_i32 s54, 0x15c
	s_mov_b64 s[4:5], 0
.LBB110_73:                             ; =>This Inner Loop Header: Depth=1
	v_mov_b32_e32 v100, s53
	buffer_load_dword v100, v100, s[0:3], 0 offen
	v_mov_b32_e32 v101, s54
	ds_read_b32 v101, v101
	v_add_u32_e32 v99, -1, v99
	s_add_i32 s54, s54, 4
	s_add_i32 s53, s53, 4
	v_cmp_eq_u32_e32 vcc, 0, v99
	s_or_b64 s[4:5], vcc, s[4:5]
	s_waitcnt vmcnt(0) lgkmcnt(0)
	v_fmac_f32_e32 v98, v100, v101
	s_andn2_b64 exec, exec, s[4:5]
	s_cbranch_execnz .LBB110_73
; %bb.74:
	s_or_b64 exec, exec, s[4:5]
.LBB110_75:
	s_or_b64 exec, exec, s[12:13]
	v_mov_b32_e32 v99, 0
	ds_read_b32 v99, v99 offset:152
	s_waitcnt lgkmcnt(0)
	v_mul_f32_e32 v98, v98, v99
	buffer_store_dword v98, off, s[0:3], 0 offset:152
.LBB110_76:
	s_or_b64 exec, exec, s[8:9]
	buffer_load_dword v98, off, s[0:3], 0 offset:148
	v_cmp_lt_u32_e64 s[4:5], 37, v0
	s_waitcnt vmcnt(0)
	ds_write_b32 v96, v98
	s_waitcnt lgkmcnt(0)
	; wave barrier
	s_and_saveexec_b64 s[8:9], s[4:5]
	s_cbranch_execz .LBB110_86
; %bb.77:
	s_andn2_b64 vcc, exec, s[10:11]
	s_cbranch_vccnz .LBB110_79
; %bb.78:
	buffer_load_dword v98, v97, s[0:3], 0 offen
	ds_read_b32 v99, v96
	s_waitcnt vmcnt(0) lgkmcnt(0)
	v_mul_f32_e32 v98, v98, v99
	s_cbranch_execz .LBB110_80
	s_branch .LBB110_81
.LBB110_79:
                                        ; implicit-def: $vgpr98
.LBB110_80:
	ds_read_b32 v98, v96
.LBB110_81:
	s_and_saveexec_b64 s[12:13], s[6:7]
	s_cbranch_execz .LBB110_85
; %bb.82:
	v_subrev_u32_e32 v99, 38, v0
	s_movk_i32 s53, 0x158
	s_mov_b64 s[6:7], 0
.LBB110_83:                             ; =>This Inner Loop Header: Depth=1
	v_mov_b32_e32 v100, s52
	buffer_load_dword v100, v100, s[0:3], 0 offen
	v_mov_b32_e32 v101, s53
	ds_read_b32 v101, v101
	v_add_u32_e32 v99, -1, v99
	s_add_i32 s53, s53, 4
	s_add_i32 s52, s52, 4
	v_cmp_eq_u32_e32 vcc, 0, v99
	s_or_b64 s[6:7], vcc, s[6:7]
	s_waitcnt vmcnt(0) lgkmcnt(0)
	v_fmac_f32_e32 v98, v100, v101
	s_andn2_b64 exec, exec, s[6:7]
	s_cbranch_execnz .LBB110_83
; %bb.84:
	s_or_b64 exec, exec, s[6:7]
.LBB110_85:
	s_or_b64 exec, exec, s[12:13]
	v_mov_b32_e32 v99, 0
	ds_read_b32 v99, v99 offset:148
	s_waitcnt lgkmcnt(0)
	v_mul_f32_e32 v98, v98, v99
	buffer_store_dword v98, off, s[0:3], 0 offset:148
.LBB110_86:
	s_or_b64 exec, exec, s[8:9]
	buffer_load_dword v98, off, s[0:3], 0 offset:144
	v_cmp_lt_u32_e64 s[6:7], 36, v0
	s_waitcnt vmcnt(0)
	ds_write_b32 v96, v98
	s_waitcnt lgkmcnt(0)
	; wave barrier
	s_and_saveexec_b64 s[8:9], s[6:7]
	s_cbranch_execz .LBB110_96
; %bb.87:
	s_andn2_b64 vcc, exec, s[10:11]
	s_cbranch_vccnz .LBB110_89
; %bb.88:
	buffer_load_dword v98, v97, s[0:3], 0 offen
	ds_read_b32 v99, v96
	s_waitcnt vmcnt(0) lgkmcnt(0)
	v_mul_f32_e32 v98, v98, v99
	s_cbranch_execz .LBB110_90
	s_branch .LBB110_91
.LBB110_89:
                                        ; implicit-def: $vgpr98
.LBB110_90:
	ds_read_b32 v98, v96
.LBB110_91:
	s_and_saveexec_b64 s[12:13], s[4:5]
	s_cbranch_execz .LBB110_95
; %bb.92:
	v_subrev_u32_e32 v99, 37, v0
	s_movk_i32 s52, 0x154
	s_mov_b64 s[4:5], 0
.LBB110_93:                             ; =>This Inner Loop Header: Depth=1
	v_mov_b32_e32 v100, s51
	buffer_load_dword v100, v100, s[0:3], 0 offen
	v_mov_b32_e32 v101, s52
	ds_read_b32 v101, v101
	v_add_u32_e32 v99, -1, v99
	s_add_i32 s52, s52, 4
	s_add_i32 s51, s51, 4
	v_cmp_eq_u32_e32 vcc, 0, v99
	s_or_b64 s[4:5], vcc, s[4:5]
	s_waitcnt vmcnt(0) lgkmcnt(0)
	v_fmac_f32_e32 v98, v100, v101
	s_andn2_b64 exec, exec, s[4:5]
	s_cbranch_execnz .LBB110_93
; %bb.94:
	s_or_b64 exec, exec, s[4:5]
.LBB110_95:
	s_or_b64 exec, exec, s[12:13]
	v_mov_b32_e32 v99, 0
	ds_read_b32 v99, v99 offset:144
	s_waitcnt lgkmcnt(0)
	v_mul_f32_e32 v98, v98, v99
	buffer_store_dword v98, off, s[0:3], 0 offset:144
.LBB110_96:
	s_or_b64 exec, exec, s[8:9]
	buffer_load_dword v98, off, s[0:3], 0 offset:140
	v_cmp_lt_u32_e64 s[4:5], 35, v0
	s_waitcnt vmcnt(0)
	ds_write_b32 v96, v98
	s_waitcnt lgkmcnt(0)
	; wave barrier
	s_and_saveexec_b64 s[8:9], s[4:5]
	s_cbranch_execz .LBB110_106
; %bb.97:
	s_andn2_b64 vcc, exec, s[10:11]
	s_cbranch_vccnz .LBB110_99
; %bb.98:
	buffer_load_dword v98, v97, s[0:3], 0 offen
	ds_read_b32 v99, v96
	s_waitcnt vmcnt(0) lgkmcnt(0)
	v_mul_f32_e32 v98, v98, v99
	s_cbranch_execz .LBB110_100
	s_branch .LBB110_101
.LBB110_99:
                                        ; implicit-def: $vgpr98
.LBB110_100:
	ds_read_b32 v98, v96
.LBB110_101:
	s_and_saveexec_b64 s[12:13], s[6:7]
	s_cbranch_execz .LBB110_105
; %bb.102:
	v_subrev_u32_e32 v99, 36, v0
	s_movk_i32 s51, 0x150
	s_mov_b64 s[6:7], 0
.LBB110_103:                            ; =>This Inner Loop Header: Depth=1
	v_mov_b32_e32 v100, s50
	buffer_load_dword v100, v100, s[0:3], 0 offen
	v_mov_b32_e32 v101, s51
	ds_read_b32 v101, v101
	v_add_u32_e32 v99, -1, v99
	s_add_i32 s51, s51, 4
	s_add_i32 s50, s50, 4
	v_cmp_eq_u32_e32 vcc, 0, v99
	s_or_b64 s[6:7], vcc, s[6:7]
	s_waitcnt vmcnt(0) lgkmcnt(0)
	v_fmac_f32_e32 v98, v100, v101
	s_andn2_b64 exec, exec, s[6:7]
	s_cbranch_execnz .LBB110_103
; %bb.104:
	s_or_b64 exec, exec, s[6:7]
.LBB110_105:
	s_or_b64 exec, exec, s[12:13]
	v_mov_b32_e32 v99, 0
	ds_read_b32 v99, v99 offset:140
	s_waitcnt lgkmcnt(0)
	v_mul_f32_e32 v98, v98, v99
	buffer_store_dword v98, off, s[0:3], 0 offset:140
.LBB110_106:
	s_or_b64 exec, exec, s[8:9]
	buffer_load_dword v98, off, s[0:3], 0 offset:136
	v_cmp_lt_u32_e64 s[6:7], 34, v0
	s_waitcnt vmcnt(0)
	ds_write_b32 v96, v98
	s_waitcnt lgkmcnt(0)
	; wave barrier
	s_and_saveexec_b64 s[8:9], s[6:7]
	s_cbranch_execz .LBB110_116
; %bb.107:
	s_andn2_b64 vcc, exec, s[10:11]
	s_cbranch_vccnz .LBB110_109
; %bb.108:
	buffer_load_dword v98, v97, s[0:3], 0 offen
	ds_read_b32 v99, v96
	s_waitcnt vmcnt(0) lgkmcnt(0)
	v_mul_f32_e32 v98, v98, v99
	s_cbranch_execz .LBB110_110
	s_branch .LBB110_111
.LBB110_109:
                                        ; implicit-def: $vgpr98
.LBB110_110:
	ds_read_b32 v98, v96
.LBB110_111:
	s_and_saveexec_b64 s[12:13], s[4:5]
	s_cbranch_execz .LBB110_115
; %bb.112:
	v_subrev_u32_e32 v99, 35, v0
	s_movk_i32 s50, 0x14c
	s_mov_b64 s[4:5], 0
.LBB110_113:                            ; =>This Inner Loop Header: Depth=1
	v_mov_b32_e32 v100, s49
	buffer_load_dword v100, v100, s[0:3], 0 offen
	v_mov_b32_e32 v101, s50
	ds_read_b32 v101, v101
	v_add_u32_e32 v99, -1, v99
	s_add_i32 s50, s50, 4
	s_add_i32 s49, s49, 4
	v_cmp_eq_u32_e32 vcc, 0, v99
	s_or_b64 s[4:5], vcc, s[4:5]
	s_waitcnt vmcnt(0) lgkmcnt(0)
	v_fmac_f32_e32 v98, v100, v101
	s_andn2_b64 exec, exec, s[4:5]
	s_cbranch_execnz .LBB110_113
; %bb.114:
	s_or_b64 exec, exec, s[4:5]
.LBB110_115:
	s_or_b64 exec, exec, s[12:13]
	v_mov_b32_e32 v99, 0
	ds_read_b32 v99, v99 offset:136
	s_waitcnt lgkmcnt(0)
	v_mul_f32_e32 v98, v98, v99
	buffer_store_dword v98, off, s[0:3], 0 offset:136
.LBB110_116:
	;; [unrolled: 54-line block ×20, first 2 shown]
	s_or_b64 exec, exec, s[8:9]
	buffer_load_dword v98, off, s[0:3], 0 offset:60
	v_cmp_lt_u32_e64 s[4:5], 15, v0
	s_waitcnt vmcnt(0)
	ds_write_b32 v96, v98
	s_waitcnt lgkmcnt(0)
	; wave barrier
	s_and_saveexec_b64 s[8:9], s[4:5]
	s_cbranch_execz .LBB110_306
; %bb.297:
	s_andn2_b64 vcc, exec, s[10:11]
	s_cbranch_vccnz .LBB110_299
; %bb.298:
	buffer_load_dword v98, v97, s[0:3], 0 offen
	ds_read_b32 v99, v96
	s_waitcnt vmcnt(0) lgkmcnt(0)
	v_mul_f32_e32 v98, v98, v99
	s_cbranch_execz .LBB110_300
	s_branch .LBB110_301
.LBB110_299:
                                        ; implicit-def: $vgpr98
.LBB110_300:
	ds_read_b32 v98, v96
.LBB110_301:
	s_and_saveexec_b64 s[12:13], s[6:7]
	s_cbranch_execz .LBB110_305
; %bb.302:
	v_add_u32_e32 v99, -16, v0
	s_movk_i32 s30, 0x100
	s_mov_b64 s[6:7], 0
.LBB110_303:                            ; =>This Inner Loop Header: Depth=1
	v_mov_b32_e32 v100, s29
	buffer_load_dword v100, v100, s[0:3], 0 offen
	v_mov_b32_e32 v101, s30
	ds_read_b32 v101, v101
	v_add_u32_e32 v99, -1, v99
	s_add_i32 s30, s30, 4
	s_add_i32 s29, s29, 4
	v_cmp_eq_u32_e32 vcc, 0, v99
	s_or_b64 s[6:7], vcc, s[6:7]
	s_waitcnt vmcnt(0) lgkmcnt(0)
	v_fmac_f32_e32 v98, v100, v101
	s_andn2_b64 exec, exec, s[6:7]
	s_cbranch_execnz .LBB110_303
; %bb.304:
	s_or_b64 exec, exec, s[6:7]
.LBB110_305:
	s_or_b64 exec, exec, s[12:13]
	v_mov_b32_e32 v99, 0
	ds_read_b32 v99, v99 offset:60
	s_waitcnt lgkmcnt(0)
	v_mul_f32_e32 v98, v98, v99
	buffer_store_dword v98, off, s[0:3], 0 offset:60
.LBB110_306:
	s_or_b64 exec, exec, s[8:9]
	buffer_load_dword v98, off, s[0:3], 0 offset:56
	v_cmp_lt_u32_e64 s[6:7], 14, v0
	s_waitcnt vmcnt(0)
	ds_write_b32 v96, v98
	s_waitcnt lgkmcnt(0)
	; wave barrier
	s_and_saveexec_b64 s[8:9], s[6:7]
	s_cbranch_execz .LBB110_316
; %bb.307:
	s_andn2_b64 vcc, exec, s[10:11]
	s_cbranch_vccnz .LBB110_309
; %bb.308:
	buffer_load_dword v98, v97, s[0:3], 0 offen
	ds_read_b32 v99, v96
	s_waitcnt vmcnt(0) lgkmcnt(0)
	v_mul_f32_e32 v98, v98, v99
	s_cbranch_execz .LBB110_310
	s_branch .LBB110_311
.LBB110_309:
                                        ; implicit-def: $vgpr98
.LBB110_310:
	ds_read_b32 v98, v96
.LBB110_311:
	s_and_saveexec_b64 s[12:13], s[4:5]
	s_cbranch_execz .LBB110_315
; %bb.312:
	v_add_u32_e32 v99, -15, v0
	s_movk_i32 s29, 0xfc
	s_mov_b64 s[4:5], 0
.LBB110_313:                            ; =>This Inner Loop Header: Depth=1
	v_mov_b32_e32 v100, s28
	buffer_load_dword v100, v100, s[0:3], 0 offen
	v_mov_b32_e32 v101, s29
	ds_read_b32 v101, v101
	v_add_u32_e32 v99, -1, v99
	s_add_i32 s29, s29, 4
	s_add_i32 s28, s28, 4
	v_cmp_eq_u32_e32 vcc, 0, v99
	s_or_b64 s[4:5], vcc, s[4:5]
	s_waitcnt vmcnt(0) lgkmcnt(0)
	v_fmac_f32_e32 v98, v100, v101
	s_andn2_b64 exec, exec, s[4:5]
	s_cbranch_execnz .LBB110_313
; %bb.314:
	s_or_b64 exec, exec, s[4:5]
.LBB110_315:
	s_or_b64 exec, exec, s[12:13]
	v_mov_b32_e32 v99, 0
	ds_read_b32 v99, v99 offset:56
	s_waitcnt lgkmcnt(0)
	v_mul_f32_e32 v98, v98, v99
	buffer_store_dword v98, off, s[0:3], 0 offset:56
.LBB110_316:
	;; [unrolled: 54-line block ×15, first 2 shown]
	s_or_b64 exec, exec, s[8:9]
	buffer_load_dword v98, off, s[0:3], 0
	v_cmp_ne_u32_e32 vcc, 0, v0
	s_waitcnt vmcnt(0)
	ds_write_b32 v96, v98
	s_waitcnt lgkmcnt(0)
	; wave barrier
	s_and_saveexec_b64 s[6:7], vcc
	s_cbranch_execz .LBB110_456
; %bb.447:
	s_andn2_b64 vcc, exec, s[10:11]
	s_cbranch_vccnz .LBB110_449
; %bb.448:
	buffer_load_dword v98, v97, s[0:3], 0 offen
	ds_read_b32 v99, v96
	s_waitcnt vmcnt(0) lgkmcnt(0)
	v_mul_f32_e32 v98, v98, v99
	s_cbranch_execz .LBB110_450
	s_branch .LBB110_451
.LBB110_449:
                                        ; implicit-def: $vgpr98
.LBB110_450:
	ds_read_b32 v98, v96
.LBB110_451:
	s_and_saveexec_b64 s[8:9], s[4:5]
	s_cbranch_execz .LBB110_455
; %bb.452:
	v_add_u32_e32 v99, -1, v0
	s_movk_i32 s12, 0xc4
	s_mov_b64 s[4:5], 0
.LBB110_453:                            ; =>This Inner Loop Header: Depth=1
	v_mov_b32_e32 v100, s14
	buffer_load_dword v100, v100, s[0:3], 0 offen
	v_mov_b32_e32 v101, s12
	ds_read_b32 v101, v101
	v_add_u32_e32 v99, -1, v99
	s_add_i32 s12, s12, 4
	s_add_i32 s14, s14, 4
	v_cmp_eq_u32_e32 vcc, 0, v99
	s_or_b64 s[4:5], vcc, s[4:5]
	s_waitcnt vmcnt(0) lgkmcnt(0)
	v_fmac_f32_e32 v98, v100, v101
	s_andn2_b64 exec, exec, s[4:5]
	s_cbranch_execnz .LBB110_453
; %bb.454:
	s_or_b64 exec, exec, s[4:5]
.LBB110_455:
	s_or_b64 exec, exec, s[8:9]
	v_mov_b32_e32 v99, 0
	ds_read_b32 v99, v99
	s_waitcnt lgkmcnt(0)
	v_mul_f32_e32 v98, v98, v99
	buffer_store_dword v98, off, s[0:3], 0
.LBB110_456:
	s_or_b64 exec, exec, s[6:7]
	s_mov_b64 s[4:5], 0
.LBB110_457:
	s_and_b64 vcc, exec, s[4:5]
	s_cbranch_vccz .LBB110_909
; %bb.458:
	buffer_load_dword v98, off, s[0:3], 0 offset:4
	v_cmp_eq_u32_e64 s[6:7], 0, v0
	s_waitcnt vmcnt(0)
	ds_write_b32 v96, v98
	s_waitcnt lgkmcnt(0)
	; wave barrier
	s_and_saveexec_b64 s[4:5], s[6:7]
	s_cbranch_execz .LBB110_464
; %bb.459:
	s_and_b64 vcc, exec, s[10:11]
	s_cbranch_vccz .LBB110_461
; %bb.460:
	buffer_load_dword v98, v97, s[0:3], 0 offen
	ds_read_b32 v99, v96
	s_waitcnt vmcnt(0) lgkmcnt(0)
	v_mul_f32_e32 v98, v98, v99
	s_cbranch_execz .LBB110_462
	s_branch .LBB110_463
.LBB110_461:
                                        ; implicit-def: $vgpr98
.LBB110_462:
	ds_read_b32 v98, v96
.LBB110_463:
	v_mov_b32_e32 v99, 0
	ds_read_b32 v99, v99 offset:4
	s_waitcnt lgkmcnt(0)
	v_mul_f32_e32 v98, v98, v99
	buffer_store_dword v98, off, s[0:3], 0 offset:4
.LBB110_464:
	s_or_b64 exec, exec, s[4:5]
	buffer_load_dword v98, off, s[0:3], 0 offset:8
	v_cndmask_b32_e64 v99, 0, 1, s[10:11]
	v_cmp_gt_u32_e32 vcc, 2, v0
	v_cmp_ne_u32_e64 s[4:5], 1, v99
	s_waitcnt vmcnt(0)
	ds_write_b32 v96, v98
	s_waitcnt lgkmcnt(0)
	; wave barrier
	s_and_saveexec_b64 s[8:9], vcc
	s_cbranch_execz .LBB110_470
; %bb.465:
	s_and_b64 vcc, exec, s[4:5]
	s_cbranch_vccnz .LBB110_467
; %bb.466:
	buffer_load_dword v98, v97, s[0:3], 0 offen
	ds_read_b32 v99, v96
	s_waitcnt vmcnt(0) lgkmcnt(0)
	v_mul_f32_e32 v98, v98, v99
	s_cbranch_execz .LBB110_468
	s_branch .LBB110_469
.LBB110_467:
                                        ; implicit-def: $vgpr98
.LBB110_468:
	ds_read_b32 v98, v96
.LBB110_469:
	buffer_load_dword v101, off, s[0:3], 0 offset:4
	v_mov_b32_e32 v99, 0
	ds_read2_b32 v[99:100], v99 offset0:2 offset1:49
	s_waitcnt vmcnt(0) lgkmcnt(0)
	v_fma_f32 v100, v101, v100, v98
	v_cndmask_b32_e64 v98, v98, v100, s[6:7]
	v_mul_f32_e32 v98, v98, v99
	buffer_store_dword v98, off, s[0:3], 0 offset:8
.LBB110_470:
	s_or_b64 exec, exec, s[8:9]
	buffer_load_dword v98, off, s[0:3], 0 offset:12
	v_cmp_gt_u32_e32 vcc, 3, v0
	s_waitcnt vmcnt(0)
	ds_write_b32 v96, v98
	s_waitcnt lgkmcnt(0)
	; wave barrier
	s_and_saveexec_b64 s[8:9], vcc
	s_cbranch_execz .LBB110_478
; %bb.471:
	s_and_b64 vcc, exec, s[4:5]
	s_cbranch_vccnz .LBB110_473
; %bb.472:
	buffer_load_dword v98, v97, s[0:3], 0 offen
	ds_read_b32 v99, v96
	s_waitcnt vmcnt(0) lgkmcnt(0)
	v_mul_f32_e32 v98, v98, v99
	s_cbranch_execz .LBB110_474
	s_branch .LBB110_475
.LBB110_473:
                                        ; implicit-def: $vgpr98
.LBB110_474:
	ds_read_b32 v98, v96
.LBB110_475:
	v_cmp_ne_u32_e32 vcc, 2, v0
	s_and_saveexec_b64 s[10:11], vcc
	s_cbranch_execz .LBB110_477
; %bb.476:
	buffer_load_dword v99, v97, s[0:3], 0 offen offset:4
	buffer_load_dword v100, off, s[0:3], 0 offset:8
	v_mov_b32_e32 v101, 0
	ds_read_b32 v102, v96 offset:4
	ds_read_b32 v101, v101 offset:200
	s_waitcnt vmcnt(1) lgkmcnt(1)
	v_fmac_f32_e32 v98, v99, v102
	s_waitcnt vmcnt(0) lgkmcnt(0)
	v_fma_f32 v99, v100, v101, v98
	v_cndmask_b32_e64 v98, v98, v99, s[6:7]
.LBB110_477:
	s_or_b64 exec, exec, s[10:11]
	v_mov_b32_e32 v99, 0
	ds_read_b32 v99, v99 offset:12
	s_waitcnt lgkmcnt(0)
	v_mul_f32_e32 v98, v98, v99
	buffer_store_dword v98, off, s[0:3], 0 offset:12
.LBB110_478:
	s_or_b64 exec, exec, s[8:9]
	buffer_load_dword v98, off, s[0:3], 0 offset:16
	v_cmp_gt_u32_e32 vcc, 4, v0
	s_waitcnt vmcnt(0)
	ds_write_b32 v96, v98
	s_waitcnt lgkmcnt(0)
	; wave barrier
	s_and_saveexec_b64 s[6:7], vcc
	s_cbranch_execz .LBB110_488
; %bb.479:
	s_and_b64 vcc, exec, s[4:5]
	s_cbranch_vccnz .LBB110_481
; %bb.480:
	buffer_load_dword v98, v97, s[0:3], 0 offen
	ds_read_b32 v99, v96
	s_waitcnt vmcnt(0) lgkmcnt(0)
	v_mul_f32_e32 v98, v98, v99
	s_cbranch_execz .LBB110_482
	s_branch .LBB110_483
.LBB110_481:
                                        ; implicit-def: $vgpr98
.LBB110_482:
	ds_read_b32 v98, v96
.LBB110_483:
	v_cmp_ne_u32_e32 vcc, 3, v0
	s_and_saveexec_b64 s[8:9], vcc
	s_cbranch_execz .LBB110_487
; %bb.484:
	s_mov_b32 s10, 0
	v_add_u32_e32 v99, 0xc4, v95
	v_add3_u32 v100, v95, s10, 4
	s_mov_b64 s[10:11], 0
	v_mov_b32_e32 v101, v0
.LBB110_485:                            ; =>This Inner Loop Header: Depth=1
	buffer_load_dword v102, v100, s[0:3], 0 offen
	ds_read_b32 v103, v99
	v_add_u32_e32 v101, 1, v101
	v_cmp_lt_u32_e32 vcc, 2, v101
	v_add_u32_e32 v99, 4, v99
	v_add_u32_e32 v100, 4, v100
	s_or_b64 s[10:11], vcc, s[10:11]
	s_waitcnt vmcnt(0) lgkmcnt(0)
	v_fmac_f32_e32 v98, v102, v103
	s_andn2_b64 exec, exec, s[10:11]
	s_cbranch_execnz .LBB110_485
; %bb.486:
	s_or_b64 exec, exec, s[10:11]
.LBB110_487:
	s_or_b64 exec, exec, s[8:9]
	v_mov_b32_e32 v99, 0
	ds_read_b32 v99, v99 offset:16
	s_waitcnt lgkmcnt(0)
	v_mul_f32_e32 v98, v98, v99
	buffer_store_dword v98, off, s[0:3], 0 offset:16
.LBB110_488:
	s_or_b64 exec, exec, s[6:7]
	buffer_load_dword v98, off, s[0:3], 0 offset:20
	v_cmp_gt_u32_e32 vcc, 5, v0
	s_waitcnt vmcnt(0)
	ds_write_b32 v96, v98
	s_waitcnt lgkmcnt(0)
	; wave barrier
	s_and_saveexec_b64 s[6:7], vcc
	s_cbranch_execz .LBB110_498
; %bb.489:
	s_and_b64 vcc, exec, s[4:5]
	s_cbranch_vccnz .LBB110_491
; %bb.490:
	buffer_load_dword v98, v97, s[0:3], 0 offen
	ds_read_b32 v99, v96
	s_waitcnt vmcnt(0) lgkmcnt(0)
	v_mul_f32_e32 v98, v98, v99
	s_cbranch_execz .LBB110_492
	s_branch .LBB110_493
.LBB110_491:
                                        ; implicit-def: $vgpr98
.LBB110_492:
	ds_read_b32 v98, v96
.LBB110_493:
	v_cmp_ne_u32_e32 vcc, 4, v0
	s_and_saveexec_b64 s[8:9], vcc
	s_cbranch_execz .LBB110_497
; %bb.494:
	s_mov_b32 s10, 0
	v_add_u32_e32 v99, 0xc4, v95
	v_add3_u32 v100, v95, s10, 4
	s_mov_b64 s[10:11], 0
	v_mov_b32_e32 v101, v0
.LBB110_495:                            ; =>This Inner Loop Header: Depth=1
	buffer_load_dword v102, v100, s[0:3], 0 offen
	ds_read_b32 v103, v99
	v_add_u32_e32 v101, 1, v101
	v_cmp_lt_u32_e32 vcc, 3, v101
	v_add_u32_e32 v99, 4, v99
	v_add_u32_e32 v100, 4, v100
	s_or_b64 s[10:11], vcc, s[10:11]
	s_waitcnt vmcnt(0) lgkmcnt(0)
	v_fmac_f32_e32 v98, v102, v103
	s_andn2_b64 exec, exec, s[10:11]
	s_cbranch_execnz .LBB110_495
; %bb.496:
	s_or_b64 exec, exec, s[10:11]
.LBB110_497:
	s_or_b64 exec, exec, s[8:9]
	v_mov_b32_e32 v99, 0
	ds_read_b32 v99, v99 offset:20
	s_waitcnt lgkmcnt(0)
	v_mul_f32_e32 v98, v98, v99
	buffer_store_dword v98, off, s[0:3], 0 offset:20
.LBB110_498:
	;; [unrolled: 55-line block ×41, first 2 shown]
	s_or_b64 exec, exec, s[6:7]
	buffer_load_dword v98, off, s[0:3], 0 offset:180
	v_cmp_gt_u32_e64 s[6:7], 45, v0
	s_waitcnt vmcnt(0)
	ds_write_b32 v96, v98
	s_waitcnt lgkmcnt(0)
	; wave barrier
	s_and_saveexec_b64 s[8:9], s[6:7]
	s_cbranch_execz .LBB110_898
; %bb.889:
	s_and_b64 vcc, exec, s[4:5]
	s_cbranch_vccnz .LBB110_891
; %bb.890:
	buffer_load_dword v98, v97, s[0:3], 0 offen
	ds_read_b32 v99, v96
	s_waitcnt vmcnt(0) lgkmcnt(0)
	v_mul_f32_e32 v98, v98, v99
	s_cbranch_execz .LBB110_892
	s_branch .LBB110_893
.LBB110_891:
                                        ; implicit-def: $vgpr98
.LBB110_892:
	ds_read_b32 v98, v96
.LBB110_893:
	v_cmp_ne_u32_e32 vcc, 44, v0
	s_and_saveexec_b64 s[10:11], vcc
	s_cbranch_execz .LBB110_897
; %bb.894:
	s_mov_b32 s12, 0
	v_add_u32_e32 v99, 0xc4, v95
	v_add3_u32 v100, v95, s12, 4
	s_mov_b64 s[12:13], 0
	v_mov_b32_e32 v101, v0
.LBB110_895:                            ; =>This Inner Loop Header: Depth=1
	buffer_load_dword v102, v100, s[0:3], 0 offen
	ds_read_b32 v103, v99
	v_add_u32_e32 v101, 1, v101
	v_cmp_lt_u32_e32 vcc, 43, v101
	v_add_u32_e32 v99, 4, v99
	v_add_u32_e32 v100, 4, v100
	s_or_b64 s[12:13], vcc, s[12:13]
	s_waitcnt vmcnt(0) lgkmcnt(0)
	v_fmac_f32_e32 v98, v102, v103
	s_andn2_b64 exec, exec, s[12:13]
	s_cbranch_execnz .LBB110_895
; %bb.896:
	s_or_b64 exec, exec, s[12:13]
.LBB110_897:
	s_or_b64 exec, exec, s[10:11]
	v_mov_b32_e32 v99, 0
	ds_read_b32 v99, v99 offset:180
	s_waitcnt lgkmcnt(0)
	v_mul_f32_e32 v98, v98, v99
	buffer_store_dword v98, off, s[0:3], 0 offset:180
.LBB110_898:
	s_or_b64 exec, exec, s[8:9]
	buffer_load_dword v98, off, s[0:3], 0 offset:184
	v_cmp_ne_u32_e32 vcc, 46, v0
	s_waitcnt vmcnt(0)
	ds_write_b32 v96, v98
	s_waitcnt lgkmcnt(0)
	; wave barrier
	s_and_saveexec_b64 s[8:9], vcc
	s_cbranch_execz .LBB110_908
; %bb.899:
	s_and_b64 vcc, exec, s[4:5]
	s_cbranch_vccnz .LBB110_901
; %bb.900:
	buffer_load_dword v97, v97, s[0:3], 0 offen
	ds_read_b32 v98, v96
	s_waitcnt vmcnt(0) lgkmcnt(0)
	v_mul_f32_e32 v97, v97, v98
	s_cbranch_execz .LBB110_902
	s_branch .LBB110_903
.LBB110_901:
                                        ; implicit-def: $vgpr97
.LBB110_902:
	ds_read_b32 v97, v96
.LBB110_903:
	s_and_saveexec_b64 s[4:5], s[6:7]
	s_cbranch_execz .LBB110_907
; %bb.904:
	s_mov_b32 s6, 0
	v_add_u32_e32 v96, 0xc4, v95
	v_add3_u32 v95, v95, s6, 4
	s_mov_b64 s[6:7], 0
.LBB110_905:                            ; =>This Inner Loop Header: Depth=1
	buffer_load_dword v98, v95, s[0:3], 0 offen
	ds_read_b32 v99, v96
	v_add_u32_e32 v0, 1, v0
	v_cmp_lt_u32_e32 vcc, 44, v0
	v_add_u32_e32 v96, 4, v96
	v_add_u32_e32 v95, 4, v95
	s_or_b64 s[6:7], vcc, s[6:7]
	s_waitcnt vmcnt(0) lgkmcnt(0)
	v_fmac_f32_e32 v97, v98, v99
	s_andn2_b64 exec, exec, s[6:7]
	s_cbranch_execnz .LBB110_905
; %bb.906:
	s_or_b64 exec, exec, s[6:7]
.LBB110_907:
	s_or_b64 exec, exec, s[4:5]
	v_mov_b32_e32 v0, 0
	ds_read_b32 v0, v0 offset:184
	s_waitcnt lgkmcnt(0)
	v_mul_f32_e32 v0, v97, v0
	buffer_store_dword v0, off, s[0:3], 0 offset:184
.LBB110_908:
	s_or_b64 exec, exec, s[8:9]
.LBB110_909:
	buffer_load_dword v0, off, s[0:3], 0
	s_waitcnt vmcnt(0)
	flat_store_dword v[1:2], v0
	buffer_load_dword v0, off, s[0:3], 0 offset:4
	s_waitcnt vmcnt(0)
	flat_store_dword v[3:4], v0
	buffer_load_dword v0, off, s[0:3], 0 offset:8
	;; [unrolled: 3-line block ×46, first 2 shown]
	s_waitcnt vmcnt(0)
	flat_store_dword v[93:94], v0
.LBB110_910:
	s_endpgm
	.section	.rodata,"a",@progbits
	.p2align	6, 0x0
	.amdhsa_kernel _ZN9rocsolver6v33100L18trti2_kernel_smallILi47EfPKPfEEv13rocblas_fill_17rocblas_diagonal_T1_iil
		.amdhsa_group_segment_fixed_size 380
		.amdhsa_private_segment_fixed_size 192
		.amdhsa_kernarg_size 32
		.amdhsa_user_sgpr_count 6
		.amdhsa_user_sgpr_private_segment_buffer 1
		.amdhsa_user_sgpr_dispatch_ptr 0
		.amdhsa_user_sgpr_queue_ptr 0
		.amdhsa_user_sgpr_kernarg_segment_ptr 1
		.amdhsa_user_sgpr_dispatch_id 0
		.amdhsa_user_sgpr_flat_scratch_init 0
		.amdhsa_user_sgpr_private_segment_size 0
		.amdhsa_uses_dynamic_stack 0
		.amdhsa_system_sgpr_private_segment_wavefront_offset 1
		.amdhsa_system_sgpr_workgroup_id_x 1
		.amdhsa_system_sgpr_workgroup_id_y 0
		.amdhsa_system_sgpr_workgroup_id_z 0
		.amdhsa_system_sgpr_workgroup_info 0
		.amdhsa_system_vgpr_workitem_id 0
		.amdhsa_next_free_vgpr 104
		.amdhsa_next_free_sgpr 60
		.amdhsa_reserve_vcc 1
		.amdhsa_reserve_flat_scratch 0
		.amdhsa_float_round_mode_32 0
		.amdhsa_float_round_mode_16_64 0
		.amdhsa_float_denorm_mode_32 3
		.amdhsa_float_denorm_mode_16_64 3
		.amdhsa_dx10_clamp 1
		.amdhsa_ieee_mode 1
		.amdhsa_fp16_overflow 0
		.amdhsa_exception_fp_ieee_invalid_op 0
		.amdhsa_exception_fp_denorm_src 0
		.amdhsa_exception_fp_ieee_div_zero 0
		.amdhsa_exception_fp_ieee_overflow 0
		.amdhsa_exception_fp_ieee_underflow 0
		.amdhsa_exception_fp_ieee_inexact 0
		.amdhsa_exception_int_div_zero 0
	.end_amdhsa_kernel
	.section	.text._ZN9rocsolver6v33100L18trti2_kernel_smallILi47EfPKPfEEv13rocblas_fill_17rocblas_diagonal_T1_iil,"axG",@progbits,_ZN9rocsolver6v33100L18trti2_kernel_smallILi47EfPKPfEEv13rocblas_fill_17rocblas_diagonal_T1_iil,comdat
.Lfunc_end110:
	.size	_ZN9rocsolver6v33100L18trti2_kernel_smallILi47EfPKPfEEv13rocblas_fill_17rocblas_diagonal_T1_iil, .Lfunc_end110-_ZN9rocsolver6v33100L18trti2_kernel_smallILi47EfPKPfEEv13rocblas_fill_17rocblas_diagonal_T1_iil
                                        ; -- End function
	.set _ZN9rocsolver6v33100L18trti2_kernel_smallILi47EfPKPfEEv13rocblas_fill_17rocblas_diagonal_T1_iil.num_vgpr, 104
	.set _ZN9rocsolver6v33100L18trti2_kernel_smallILi47EfPKPfEEv13rocblas_fill_17rocblas_diagonal_T1_iil.num_agpr, 0
	.set _ZN9rocsolver6v33100L18trti2_kernel_smallILi47EfPKPfEEv13rocblas_fill_17rocblas_diagonal_T1_iil.numbered_sgpr, 60
	.set _ZN9rocsolver6v33100L18trti2_kernel_smallILi47EfPKPfEEv13rocblas_fill_17rocblas_diagonal_T1_iil.num_named_barrier, 0
	.set _ZN9rocsolver6v33100L18trti2_kernel_smallILi47EfPKPfEEv13rocblas_fill_17rocblas_diagonal_T1_iil.private_seg_size, 192
	.set _ZN9rocsolver6v33100L18trti2_kernel_smallILi47EfPKPfEEv13rocblas_fill_17rocblas_diagonal_T1_iil.uses_vcc, 1
	.set _ZN9rocsolver6v33100L18trti2_kernel_smallILi47EfPKPfEEv13rocblas_fill_17rocblas_diagonal_T1_iil.uses_flat_scratch, 0
	.set _ZN9rocsolver6v33100L18trti2_kernel_smallILi47EfPKPfEEv13rocblas_fill_17rocblas_diagonal_T1_iil.has_dyn_sized_stack, 0
	.set _ZN9rocsolver6v33100L18trti2_kernel_smallILi47EfPKPfEEv13rocblas_fill_17rocblas_diagonal_T1_iil.has_recursion, 0
	.set _ZN9rocsolver6v33100L18trti2_kernel_smallILi47EfPKPfEEv13rocblas_fill_17rocblas_diagonal_T1_iil.has_indirect_call, 0
	.section	.AMDGPU.csdata,"",@progbits
; Kernel info:
; codeLenInByte = 22800
; TotalNumSgprs: 64
; NumVgprs: 104
; ScratchSize: 192
; MemoryBound: 0
; FloatMode: 240
; IeeeMode: 1
; LDSByteSize: 380 bytes/workgroup (compile time only)
; SGPRBlocks: 7
; VGPRBlocks: 25
; NumSGPRsForWavesPerEU: 64
; NumVGPRsForWavesPerEU: 104
; Occupancy: 2
; WaveLimiterHint : 1
; COMPUTE_PGM_RSRC2:SCRATCH_EN: 1
; COMPUTE_PGM_RSRC2:USER_SGPR: 6
; COMPUTE_PGM_RSRC2:TRAP_HANDLER: 0
; COMPUTE_PGM_RSRC2:TGID_X_EN: 1
; COMPUTE_PGM_RSRC2:TGID_Y_EN: 0
; COMPUTE_PGM_RSRC2:TGID_Z_EN: 0
; COMPUTE_PGM_RSRC2:TIDIG_COMP_CNT: 0
	.section	.text._ZN9rocsolver6v33100L18trti2_kernel_smallILi48EfPKPfEEv13rocblas_fill_17rocblas_diagonal_T1_iil,"axG",@progbits,_ZN9rocsolver6v33100L18trti2_kernel_smallILi48EfPKPfEEv13rocblas_fill_17rocblas_diagonal_T1_iil,comdat
	.globl	_ZN9rocsolver6v33100L18trti2_kernel_smallILi48EfPKPfEEv13rocblas_fill_17rocblas_diagonal_T1_iil ; -- Begin function _ZN9rocsolver6v33100L18trti2_kernel_smallILi48EfPKPfEEv13rocblas_fill_17rocblas_diagonal_T1_iil
	.p2align	8
	.type	_ZN9rocsolver6v33100L18trti2_kernel_smallILi48EfPKPfEEv13rocblas_fill_17rocblas_diagonal_T1_iil,@function
_ZN9rocsolver6v33100L18trti2_kernel_smallILi48EfPKPfEEv13rocblas_fill_17rocblas_diagonal_T1_iil: ; @_ZN9rocsolver6v33100L18trti2_kernel_smallILi48EfPKPfEEv13rocblas_fill_17rocblas_diagonal_T1_iil
; %bb.0:
	s_add_u32 s0, s0, s7
	s_addc_u32 s1, s1, 0
	v_cmp_gt_u32_e32 vcc, 48, v0
	s_and_saveexec_b64 s[8:9], vcc
	s_cbranch_execz .LBB111_930
; %bb.1:
	s_load_dwordx2 s[12:13], s[4:5], 0x10
	s_load_dwordx4 s[8:11], s[4:5], 0x0
	s_ashr_i32 s7, s6, 31
	s_lshl_b64 s[6:7], s[6:7], 3
	v_lshlrev_b32_e32 v97, 2, v0
	s_waitcnt lgkmcnt(0)
	s_ashr_i32 s5, s12, 31
	s_add_u32 s6, s10, s6
	s_addc_u32 s7, s11, s7
	s_load_dwordx2 s[6:7], s[6:7], 0x0
	s_mov_b32 s4, s12
	s_lshl_b64 s[4:5], s[4:5], 2
	s_movk_i32 s12, 0x84
	s_waitcnt lgkmcnt(0)
	s_add_u32 s4, s6, s4
	s_addc_u32 s5, s7, s5
	v_mov_b32_e32 v2, s5
	v_add_co_u32_e32 v1, vcc, s4, v97
	v_addc_co_u32_e32 v2, vcc, 0, v2, vcc
	flat_load_dword v5, v[1:2]
	s_mov_b32 s6, s13
	s_ashr_i32 s7, s13, 31
	s_lshl_b64 s[6:7], s[6:7], 2
	v_mov_b32_e32 v4, s7
	v_add_co_u32_e32 v3, vcc, s6, v1
	v_addc_co_u32_e32 v4, vcc, v2, v4, vcc
	s_add_i32 s6, s13, s13
	v_add_u32_e32 v7, s6, v0
	v_ashrrev_i32_e32 v8, 31, v7
	v_mov_b32_e32 v10, s5
	v_mov_b32_e32 v12, s5
	;; [unrolled: 1-line block ×45, first 2 shown]
	s_cmpk_lg_i32 s9, 0x84
	s_cselect_b64 s[10:11], -1, 0
	s_cmpk_eq_i32 s9, 0x84
	s_waitcnt vmcnt(0) lgkmcnt(0)
	buffer_store_dword v5, off, s[0:3], 0
	flat_load_dword v9, v[3:4]
	v_lshlrev_b64 v[5:6], 2, v[7:8]
	v_add_co_u32_e32 v5, vcc, s4, v5
	v_addc_co_u32_e32 v6, vcc, v10, v6, vcc
	s_waitcnt vmcnt(0) lgkmcnt(0)
	buffer_store_dword v9, off, s[0:3], 0 offset:4
	flat_load_dword v11, v[5:6]
	v_add_u32_e32 v9, s13, v7
	v_ashrrev_i32_e32 v10, 31, v9
	v_lshlrev_b64 v[7:8], 2, v[9:10]
	v_add_co_u32_e32 v7, vcc, s4, v7
	v_addc_co_u32_e32 v8, vcc, v12, v8, vcc
	s_waitcnt vmcnt(0) lgkmcnt(0)
	buffer_store_dword v11, off, s[0:3], 0 offset:8
	flat_load_dword v13, v[7:8]
	v_add_u32_e32 v11, s13, v9
	v_ashrrev_i32_e32 v12, 31, v11
	;; [unrolled: 8-line block ×44, first 2 shown]
	v_lshlrev_b64 v[93:94], 2, v[95:96]
	v_add_u32_e32 v95, s13, v95
	v_add_co_u32_e32 v93, vcc, s4, v93
	v_addc_co_u32_e32 v94, vcc, v99, v94, vcc
	v_ashrrev_i32_e32 v96, 31, v95
	v_lshlrev_b64 v[95:96], 2, v[95:96]
	v_add_co_u32_e32 v95, vcc, s4, v95
	v_addc_co_u32_e32 v96, vcc, v99, v96, vcc
	s_waitcnt vmcnt(0) lgkmcnt(0)
	buffer_store_dword v98, off, s[0:3], 0 offset:180
	flat_load_dword v98, v[93:94]
	s_waitcnt vmcnt(0) lgkmcnt(0)
	buffer_store_dword v98, off, s[0:3], 0 offset:184
	flat_load_dword v98, v[95:96]
	s_waitcnt vmcnt(0) lgkmcnt(0)
	buffer_store_dword v98, off, s[0:3], 0 offset:188
	v_mov_b32_e32 v98, -1.0
	s_cbranch_scc1 .LBB111_3
; %bb.2:
	v_mov_b32_e32 v98, 0
	v_lshl_add_u32 v98, v0, 2, v98
	buffer_load_dword v99, v98, s[0:3], 0 offen
	s_waitcnt vmcnt(0)
	v_div_scale_f32 v100, s[4:5], v99, v99, 1.0
	v_div_scale_f32 v101, vcc, 1.0, v99, 1.0
	v_rcp_f32_e32 v102, v100
	v_fma_f32 v103, -v100, v102, 1.0
	v_fmac_f32_e32 v102, v103, v102
	v_mul_f32_e32 v103, v101, v102
	v_fma_f32 v104, -v100, v103, v101
	v_fmac_f32_e32 v103, v104, v102
	v_fma_f32 v100, -v100, v103, v101
	v_div_fmas_f32 v100, v100, v102, v103
	v_div_fixup_f32 v99, v100, v99, 1.0
	buffer_store_dword v99, v98, s[0:3], 0 offen
	v_xor_b32_e32 v98, 0x80000000, v99
.LBB111_3:
	ds_write_b32 v97, v98
	s_cmpk_eq_i32 s8, 0x79
	v_add_u32_e32 v98, 0xc0, v97
	v_mov_b32_e32 v99, v97
	s_mov_b64 s[4:5], -1
	s_cbranch_scc1 .LBB111_467
; %bb.4:
	buffer_load_dword v100, off, s[0:3], 0 offset:184
	s_movk_i32 s30, 0x44
	s_movk_i32 s31, 0x48
	;; [unrolled: 1-line block ×28, first 2 shown]
	v_cmp_eq_u32_e64 s[4:5], 47, v0
	s_waitcnt vmcnt(0)
	ds_write_b32 v98, v100
	s_waitcnt lgkmcnt(0)
	; wave barrier
	s_and_saveexec_b64 s[6:7], s[4:5]
	s_cbranch_execz .LBB111_10
; %bb.5:
	s_and_b64 vcc, exec, s[10:11]
	s_cbranch_vccz .LBB111_7
; %bb.6:
	buffer_load_dword v100, v99, s[0:3], 0 offen
	ds_read_b32 v101, v98
	s_waitcnt vmcnt(0) lgkmcnt(0)
	v_mul_f32_e32 v100, v100, v101
	s_cbranch_execz .LBB111_8
	s_branch .LBB111_9
.LBB111_7:
                                        ; implicit-def: $vgpr100
.LBB111_8:
	ds_read_b32 v100, v98
.LBB111_9:
	v_mov_b32_e32 v101, 0
	ds_read_b32 v101, v101 offset:184
	s_waitcnt lgkmcnt(0)
	v_mul_f32_e32 v100, v100, v101
	buffer_store_dword v100, off, s[0:3], 0 offset:184
.LBB111_10:
	s_or_b64 exec, exec, s[6:7]
	buffer_load_dword v100, off, s[0:3], 0 offset:180
	s_or_b32 s14, 0, 4
	s_or_b32 s15, 0, 8
	;; [unrolled: 1-line block ×3, first 2 shown]
	s_mov_b32 s17, 16
	s_mov_b32 s18, 20
	;; [unrolled: 1-line block ×15, first 2 shown]
	v_cmp_lt_u32_e64 s[6:7], 45, v0
	s_waitcnt vmcnt(0)
	ds_write_b32 v98, v100
	s_waitcnt lgkmcnt(0)
	; wave barrier
	s_and_saveexec_b64 s[8:9], s[6:7]
	s_cbranch_execz .LBB111_16
; %bb.11:
	s_andn2_b64 vcc, exec, s[10:11]
	s_cbranch_vccnz .LBB111_13
; %bb.12:
	buffer_load_dword v100, v99, s[0:3], 0 offen
	ds_read_b32 v101, v98
	s_waitcnt vmcnt(0) lgkmcnt(0)
	v_mul_f32_e32 v100, v100, v101
	s_cbranch_execz .LBB111_14
	s_branch .LBB111_15
.LBB111_13:
                                        ; implicit-def: $vgpr100
.LBB111_14:
	ds_read_b32 v100, v98
.LBB111_15:
	buffer_load_dword v103, off, s[0:3], 0 offset:184
	v_mov_b32_e32 v101, 0
	ds_read2_b32 v[101:102], v101 offset0:45 offset1:94
	s_waitcnt vmcnt(0) lgkmcnt(0)
	v_fma_f32 v102, v103, v102, v100
	v_cndmask_b32_e64 v100, v100, v102, s[4:5]
	v_mul_f32_e32 v100, v100, v101
	buffer_store_dword v100, off, s[0:3], 0 offset:180
.LBB111_16:
	s_or_b64 exec, exec, s[8:9]
	buffer_load_dword v100, off, s[0:3], 0 offset:176
	v_cmp_lt_u32_e64 s[4:5], 44, v0
	s_waitcnt vmcnt(0)
	ds_write_b32 v98, v100
	s_waitcnt lgkmcnt(0)
	; wave barrier
	s_and_saveexec_b64 s[8:9], s[4:5]
	s_cbranch_execz .LBB111_26
; %bb.17:
	s_andn2_b64 vcc, exec, s[10:11]
	s_cbranch_vccnz .LBB111_19
; %bb.18:
	buffer_load_dword v100, v99, s[0:3], 0 offen
	ds_read_b32 v101, v98
	s_waitcnt vmcnt(0) lgkmcnt(0)
	v_mul_f32_e32 v100, v100, v101
	s_cbranch_execz .LBB111_20
	s_branch .LBB111_21
.LBB111_19:
                                        ; implicit-def: $vgpr100
.LBB111_20:
	ds_read_b32 v100, v98
.LBB111_21:
	s_and_saveexec_b64 s[12:13], s[6:7]
	s_cbranch_execz .LBB111_25
; %bb.22:
	v_subrev_u32_e32 v101, 45, v0
	s_movk_i32 s60, 0x174
	s_mov_b64 s[6:7], 0
.LBB111_23:                             ; =>This Inner Loop Header: Depth=1
	v_mov_b32_e32 v102, s59
	buffer_load_dword v102, v102, s[0:3], 0 offen
	v_mov_b32_e32 v103, s60
	ds_read_b32 v103, v103
	v_add_u32_e32 v101, -1, v101
	s_add_i32 s60, s60, 4
	s_add_i32 s59, s59, 4
	v_cmp_eq_u32_e32 vcc, 0, v101
	s_or_b64 s[6:7], vcc, s[6:7]
	s_waitcnt vmcnt(0) lgkmcnt(0)
	v_fmac_f32_e32 v100, v102, v103
	s_andn2_b64 exec, exec, s[6:7]
	s_cbranch_execnz .LBB111_23
; %bb.24:
	s_or_b64 exec, exec, s[6:7]
.LBB111_25:
	s_or_b64 exec, exec, s[12:13]
	v_mov_b32_e32 v101, 0
	ds_read_b32 v101, v101 offset:176
	s_waitcnt lgkmcnt(0)
	v_mul_f32_e32 v100, v100, v101
	buffer_store_dword v100, off, s[0:3], 0 offset:176
.LBB111_26:
	s_or_b64 exec, exec, s[8:9]
	buffer_load_dword v100, off, s[0:3], 0 offset:172
	v_cmp_lt_u32_e64 s[6:7], 43, v0
	s_waitcnt vmcnt(0)
	ds_write_b32 v98, v100
	s_waitcnt lgkmcnt(0)
	; wave barrier
	s_and_saveexec_b64 s[8:9], s[6:7]
	s_cbranch_execz .LBB111_36
; %bb.27:
	s_andn2_b64 vcc, exec, s[10:11]
	s_cbranch_vccnz .LBB111_29
; %bb.28:
	buffer_load_dword v100, v99, s[0:3], 0 offen
	ds_read_b32 v101, v98
	s_waitcnt vmcnt(0) lgkmcnt(0)
	v_mul_f32_e32 v100, v100, v101
	s_cbranch_execz .LBB111_30
	s_branch .LBB111_31
.LBB111_29:
                                        ; implicit-def: $vgpr100
.LBB111_30:
	ds_read_b32 v100, v98
.LBB111_31:
	s_and_saveexec_b64 s[12:13], s[4:5]
	s_cbranch_execz .LBB111_35
; %bb.32:
	v_subrev_u32_e32 v101, 44, v0
	s_movk_i32 s59, 0x170
	s_mov_b64 s[4:5], 0
.LBB111_33:                             ; =>This Inner Loop Header: Depth=1
	v_mov_b32_e32 v102, s58
	buffer_load_dword v102, v102, s[0:3], 0 offen
	v_mov_b32_e32 v103, s59
	ds_read_b32 v103, v103
	v_add_u32_e32 v101, -1, v101
	s_add_i32 s59, s59, 4
	s_add_i32 s58, s58, 4
	v_cmp_eq_u32_e32 vcc, 0, v101
	s_or_b64 s[4:5], vcc, s[4:5]
	s_waitcnt vmcnt(0) lgkmcnt(0)
	v_fmac_f32_e32 v100, v102, v103
	s_andn2_b64 exec, exec, s[4:5]
	s_cbranch_execnz .LBB111_33
; %bb.34:
	s_or_b64 exec, exec, s[4:5]
.LBB111_35:
	s_or_b64 exec, exec, s[12:13]
	v_mov_b32_e32 v101, 0
	ds_read_b32 v101, v101 offset:172
	s_waitcnt lgkmcnt(0)
	v_mul_f32_e32 v100, v100, v101
	buffer_store_dword v100, off, s[0:3], 0 offset:172
.LBB111_36:
	;; [unrolled: 54-line block ×8, first 2 shown]
	s_or_b64 exec, exec, s[8:9]
	buffer_load_dword v100, off, s[0:3], 0 offset:144
	v_cmp_lt_u32_e64 s[4:5], 36, v0
	s_waitcnt vmcnt(0)
	ds_write_b32 v98, v100
	s_waitcnt lgkmcnt(0)
	; wave barrier
	s_and_saveexec_b64 s[8:9], s[4:5]
	s_cbranch_execz .LBB111_106
; %bb.97:
	s_andn2_b64 vcc, exec, s[10:11]
	s_cbranch_vccnz .LBB111_99
; %bb.98:
	buffer_load_dword v100, v99, s[0:3], 0 offen
	ds_read_b32 v101, v98
	s_waitcnt vmcnt(0) lgkmcnt(0)
	v_mul_f32_e32 v100, v100, v101
	s_cbranch_execz .LBB111_100
	s_branch .LBB111_101
.LBB111_99:
                                        ; implicit-def: $vgpr100
.LBB111_100:
	ds_read_b32 v100, v98
.LBB111_101:
	s_and_saveexec_b64 s[12:13], s[6:7]
	s_cbranch_execz .LBB111_105
; %bb.102:
	v_subrev_u32_e32 v101, 37, v0
	s_movk_i32 s52, 0x154
	s_mov_b64 s[6:7], 0
.LBB111_103:                            ; =>This Inner Loop Header: Depth=1
	v_mov_b32_e32 v102, s51
	buffer_load_dword v102, v102, s[0:3], 0 offen
	v_mov_b32_e32 v103, s52
	ds_read_b32 v103, v103
	v_add_u32_e32 v101, -1, v101
	s_add_i32 s52, s52, 4
	s_add_i32 s51, s51, 4
	v_cmp_eq_u32_e32 vcc, 0, v101
	s_or_b64 s[6:7], vcc, s[6:7]
	s_waitcnt vmcnt(0) lgkmcnt(0)
	v_fmac_f32_e32 v100, v102, v103
	s_andn2_b64 exec, exec, s[6:7]
	s_cbranch_execnz .LBB111_103
; %bb.104:
	s_or_b64 exec, exec, s[6:7]
.LBB111_105:
	s_or_b64 exec, exec, s[12:13]
	v_mov_b32_e32 v101, 0
	ds_read_b32 v101, v101 offset:144
	s_waitcnt lgkmcnt(0)
	v_mul_f32_e32 v100, v100, v101
	buffer_store_dword v100, off, s[0:3], 0 offset:144
.LBB111_106:
	s_or_b64 exec, exec, s[8:9]
	buffer_load_dword v100, off, s[0:3], 0 offset:140
	v_cmp_lt_u32_e64 s[6:7], 35, v0
	s_waitcnt vmcnt(0)
	ds_write_b32 v98, v100
	s_waitcnt lgkmcnt(0)
	; wave barrier
	s_and_saveexec_b64 s[8:9], s[6:7]
	s_cbranch_execz .LBB111_116
; %bb.107:
	s_andn2_b64 vcc, exec, s[10:11]
	s_cbranch_vccnz .LBB111_109
; %bb.108:
	buffer_load_dword v100, v99, s[0:3], 0 offen
	ds_read_b32 v101, v98
	s_waitcnt vmcnt(0) lgkmcnt(0)
	v_mul_f32_e32 v100, v100, v101
	s_cbranch_execz .LBB111_110
	s_branch .LBB111_111
.LBB111_109:
                                        ; implicit-def: $vgpr100
.LBB111_110:
	ds_read_b32 v100, v98
.LBB111_111:
	s_and_saveexec_b64 s[12:13], s[4:5]
	s_cbranch_execz .LBB111_115
; %bb.112:
	v_subrev_u32_e32 v101, 36, v0
	s_movk_i32 s51, 0x150
	s_mov_b64 s[4:5], 0
.LBB111_113:                            ; =>This Inner Loop Header: Depth=1
	v_mov_b32_e32 v102, s50
	buffer_load_dword v102, v102, s[0:3], 0 offen
	v_mov_b32_e32 v103, s51
	ds_read_b32 v103, v103
	v_add_u32_e32 v101, -1, v101
	s_add_i32 s51, s51, 4
	s_add_i32 s50, s50, 4
	v_cmp_eq_u32_e32 vcc, 0, v101
	s_or_b64 s[4:5], vcc, s[4:5]
	s_waitcnt vmcnt(0) lgkmcnt(0)
	v_fmac_f32_e32 v100, v102, v103
	s_andn2_b64 exec, exec, s[4:5]
	s_cbranch_execnz .LBB111_113
; %bb.114:
	s_or_b64 exec, exec, s[4:5]
.LBB111_115:
	s_or_b64 exec, exec, s[12:13]
	v_mov_b32_e32 v101, 0
	ds_read_b32 v101, v101 offset:140
	s_waitcnt lgkmcnt(0)
	v_mul_f32_e32 v100, v100, v101
	buffer_store_dword v100, off, s[0:3], 0 offset:140
.LBB111_116:
	;; [unrolled: 54-line block ×21, first 2 shown]
	s_or_b64 exec, exec, s[8:9]
	buffer_load_dword v100, off, s[0:3], 0 offset:60
	v_cmp_lt_u32_e64 s[6:7], 15, v0
	s_waitcnt vmcnt(0)
	ds_write_b32 v98, v100
	s_waitcnt lgkmcnt(0)
	; wave barrier
	s_and_saveexec_b64 s[8:9], s[6:7]
	s_cbranch_execz .LBB111_316
; %bb.307:
	s_andn2_b64 vcc, exec, s[10:11]
	s_cbranch_vccnz .LBB111_309
; %bb.308:
	buffer_load_dword v100, v99, s[0:3], 0 offen
	ds_read_b32 v101, v98
	s_waitcnt vmcnt(0) lgkmcnt(0)
	v_mul_f32_e32 v100, v100, v101
	s_cbranch_execz .LBB111_310
	s_branch .LBB111_311
.LBB111_309:
                                        ; implicit-def: $vgpr100
.LBB111_310:
	ds_read_b32 v100, v98
.LBB111_311:
	s_and_saveexec_b64 s[12:13], s[4:5]
	s_cbranch_execz .LBB111_315
; %bb.312:
	v_add_u32_e32 v101, -16, v0
	s_movk_i32 s30, 0x100
	s_mov_b64 s[4:5], 0
.LBB111_313:                            ; =>This Inner Loop Header: Depth=1
	v_mov_b32_e32 v102, s29
	buffer_load_dword v102, v102, s[0:3], 0 offen
	v_mov_b32_e32 v103, s30
	ds_read_b32 v103, v103
	v_add_u32_e32 v101, -1, v101
	s_add_i32 s30, s30, 4
	s_add_i32 s29, s29, 4
	v_cmp_eq_u32_e32 vcc, 0, v101
	s_or_b64 s[4:5], vcc, s[4:5]
	s_waitcnt vmcnt(0) lgkmcnt(0)
	v_fmac_f32_e32 v100, v102, v103
	s_andn2_b64 exec, exec, s[4:5]
	s_cbranch_execnz .LBB111_313
; %bb.314:
	s_or_b64 exec, exec, s[4:5]
.LBB111_315:
	s_or_b64 exec, exec, s[12:13]
	v_mov_b32_e32 v101, 0
	ds_read_b32 v101, v101 offset:60
	s_waitcnt lgkmcnt(0)
	v_mul_f32_e32 v100, v100, v101
	buffer_store_dword v100, off, s[0:3], 0 offset:60
.LBB111_316:
	s_or_b64 exec, exec, s[8:9]
	buffer_load_dword v100, off, s[0:3], 0 offset:56
	v_cmp_lt_u32_e64 s[4:5], 14, v0
	s_waitcnt vmcnt(0)
	ds_write_b32 v98, v100
	s_waitcnt lgkmcnt(0)
	; wave barrier
	s_and_saveexec_b64 s[8:9], s[4:5]
	s_cbranch_execz .LBB111_326
; %bb.317:
	s_andn2_b64 vcc, exec, s[10:11]
	s_cbranch_vccnz .LBB111_319
; %bb.318:
	buffer_load_dword v100, v99, s[0:3], 0 offen
	ds_read_b32 v101, v98
	s_waitcnt vmcnt(0) lgkmcnt(0)
	v_mul_f32_e32 v100, v100, v101
	s_cbranch_execz .LBB111_320
	s_branch .LBB111_321
.LBB111_319:
                                        ; implicit-def: $vgpr100
.LBB111_320:
	ds_read_b32 v100, v98
.LBB111_321:
	s_and_saveexec_b64 s[12:13], s[6:7]
	s_cbranch_execz .LBB111_325
; %bb.322:
	v_add_u32_e32 v101, -15, v0
	s_movk_i32 s29, 0xfc
	s_mov_b64 s[6:7], 0
.LBB111_323:                            ; =>This Inner Loop Header: Depth=1
	v_mov_b32_e32 v102, s28
	buffer_load_dword v102, v102, s[0:3], 0 offen
	v_mov_b32_e32 v103, s29
	ds_read_b32 v103, v103
	v_add_u32_e32 v101, -1, v101
	s_add_i32 s29, s29, 4
	s_add_i32 s28, s28, 4
	v_cmp_eq_u32_e32 vcc, 0, v101
	s_or_b64 s[6:7], vcc, s[6:7]
	s_waitcnt vmcnt(0) lgkmcnt(0)
	v_fmac_f32_e32 v100, v102, v103
	s_andn2_b64 exec, exec, s[6:7]
	s_cbranch_execnz .LBB111_323
; %bb.324:
	s_or_b64 exec, exec, s[6:7]
.LBB111_325:
	s_or_b64 exec, exec, s[12:13]
	v_mov_b32_e32 v101, 0
	ds_read_b32 v101, v101 offset:56
	s_waitcnt lgkmcnt(0)
	v_mul_f32_e32 v100, v100, v101
	buffer_store_dword v100, off, s[0:3], 0 offset:56
.LBB111_326:
	;; [unrolled: 54-line block ×15, first 2 shown]
	s_or_b64 exec, exec, s[8:9]
	buffer_load_dword v100, off, s[0:3], 0
	v_cmp_ne_u32_e32 vcc, 0, v0
	s_waitcnt vmcnt(0)
	ds_write_b32 v98, v100
	s_waitcnt lgkmcnt(0)
	; wave barrier
	s_and_saveexec_b64 s[4:5], vcc
	s_cbranch_execz .LBB111_466
; %bb.457:
	s_andn2_b64 vcc, exec, s[10:11]
	s_cbranch_vccnz .LBB111_459
; %bb.458:
	buffer_load_dword v100, v99, s[0:3], 0 offen
	ds_read_b32 v101, v98
	s_waitcnt vmcnt(0) lgkmcnt(0)
	v_mul_f32_e32 v100, v100, v101
	s_cbranch_execz .LBB111_460
	s_branch .LBB111_461
.LBB111_459:
                                        ; implicit-def: $vgpr100
.LBB111_460:
	ds_read_b32 v100, v98
.LBB111_461:
	s_and_saveexec_b64 s[8:9], s[6:7]
	s_cbranch_execz .LBB111_465
; %bb.462:
	v_add_u32_e32 v101, -1, v0
	s_movk_i32 s12, 0xc4
	s_mov_b64 s[6:7], 0
.LBB111_463:                            ; =>This Inner Loop Header: Depth=1
	v_mov_b32_e32 v102, s14
	buffer_load_dword v102, v102, s[0:3], 0 offen
	v_mov_b32_e32 v103, s12
	ds_read_b32 v103, v103
	v_add_u32_e32 v101, -1, v101
	s_add_i32 s12, s12, 4
	s_add_i32 s14, s14, 4
	v_cmp_eq_u32_e32 vcc, 0, v101
	s_or_b64 s[6:7], vcc, s[6:7]
	s_waitcnt vmcnt(0) lgkmcnt(0)
	v_fmac_f32_e32 v100, v102, v103
	s_andn2_b64 exec, exec, s[6:7]
	s_cbranch_execnz .LBB111_463
; %bb.464:
	s_or_b64 exec, exec, s[6:7]
.LBB111_465:
	s_or_b64 exec, exec, s[8:9]
	v_mov_b32_e32 v101, 0
	ds_read_b32 v101, v101
	s_waitcnt lgkmcnt(0)
	v_mul_f32_e32 v100, v100, v101
	buffer_store_dword v100, off, s[0:3], 0
.LBB111_466:
	s_or_b64 exec, exec, s[4:5]
	s_mov_b64 s[4:5], 0
.LBB111_467:
	s_and_b64 vcc, exec, s[4:5]
	s_cbranch_vccz .LBB111_929
; %bb.468:
	buffer_load_dword v100, off, s[0:3], 0 offset:4
	v_cmp_eq_u32_e64 s[6:7], 0, v0
	s_waitcnt vmcnt(0)
	ds_write_b32 v98, v100
	s_waitcnt lgkmcnt(0)
	; wave barrier
	s_and_saveexec_b64 s[4:5], s[6:7]
	s_cbranch_execz .LBB111_474
; %bb.469:
	s_and_b64 vcc, exec, s[10:11]
	s_cbranch_vccz .LBB111_471
; %bb.470:
	buffer_load_dword v100, v99, s[0:3], 0 offen
	ds_read_b32 v101, v98
	s_waitcnt vmcnt(0) lgkmcnt(0)
	v_mul_f32_e32 v100, v100, v101
	s_cbranch_execz .LBB111_472
	s_branch .LBB111_473
.LBB111_471:
                                        ; implicit-def: $vgpr100
.LBB111_472:
	ds_read_b32 v100, v98
.LBB111_473:
	v_mov_b32_e32 v101, 0
	ds_read_b32 v101, v101 offset:4
	s_waitcnt lgkmcnt(0)
	v_mul_f32_e32 v100, v100, v101
	buffer_store_dword v100, off, s[0:3], 0 offset:4
.LBB111_474:
	s_or_b64 exec, exec, s[4:5]
	buffer_load_dword v100, off, s[0:3], 0 offset:8
	v_cndmask_b32_e64 v101, 0, 1, s[10:11]
	v_cmp_gt_u32_e32 vcc, 2, v0
	v_cmp_ne_u32_e64 s[4:5], 1, v101
	s_waitcnt vmcnt(0)
	ds_write_b32 v98, v100
	s_waitcnt lgkmcnt(0)
	; wave barrier
	s_and_saveexec_b64 s[8:9], vcc
	s_cbranch_execz .LBB111_480
; %bb.475:
	s_and_b64 vcc, exec, s[4:5]
	s_cbranch_vccnz .LBB111_477
; %bb.476:
	buffer_load_dword v100, v99, s[0:3], 0 offen
	ds_read_b32 v101, v98
	s_waitcnt vmcnt(0) lgkmcnt(0)
	v_mul_f32_e32 v100, v100, v101
	s_cbranch_execz .LBB111_478
	s_branch .LBB111_479
.LBB111_477:
                                        ; implicit-def: $vgpr100
.LBB111_478:
	ds_read_b32 v100, v98
.LBB111_479:
	buffer_load_dword v103, off, s[0:3], 0 offset:4
	v_mov_b32_e32 v101, 0
	ds_read2_b32 v[101:102], v101 offset0:2 offset1:49
	s_waitcnt vmcnt(0) lgkmcnt(0)
	v_fma_f32 v102, v103, v102, v100
	v_cndmask_b32_e64 v100, v100, v102, s[6:7]
	v_mul_f32_e32 v100, v100, v101
	buffer_store_dword v100, off, s[0:3], 0 offset:8
.LBB111_480:
	s_or_b64 exec, exec, s[8:9]
	buffer_load_dword v100, off, s[0:3], 0 offset:12
	v_cmp_gt_u32_e32 vcc, 3, v0
	s_waitcnt vmcnt(0)
	ds_write_b32 v98, v100
	s_waitcnt lgkmcnt(0)
	; wave barrier
	s_and_saveexec_b64 s[8:9], vcc
	s_cbranch_execz .LBB111_488
; %bb.481:
	s_and_b64 vcc, exec, s[4:5]
	s_cbranch_vccnz .LBB111_483
; %bb.482:
	buffer_load_dword v100, v99, s[0:3], 0 offen
	ds_read_b32 v101, v98
	s_waitcnt vmcnt(0) lgkmcnt(0)
	v_mul_f32_e32 v100, v100, v101
	s_cbranch_execz .LBB111_484
	s_branch .LBB111_485
.LBB111_483:
                                        ; implicit-def: $vgpr100
.LBB111_484:
	ds_read_b32 v100, v98
.LBB111_485:
	v_cmp_ne_u32_e32 vcc, 2, v0
	s_and_saveexec_b64 s[10:11], vcc
	s_cbranch_execz .LBB111_487
; %bb.486:
	buffer_load_dword v101, v99, s[0:3], 0 offen offset:4
	buffer_load_dword v102, off, s[0:3], 0 offset:8
	v_mov_b32_e32 v103, 0
	ds_read_b32 v104, v98 offset:4
	ds_read_b32 v103, v103 offset:200
	s_waitcnt vmcnt(1) lgkmcnt(1)
	v_fmac_f32_e32 v100, v101, v104
	s_waitcnt vmcnt(0) lgkmcnt(0)
	v_fma_f32 v101, v102, v103, v100
	v_cndmask_b32_e64 v100, v100, v101, s[6:7]
.LBB111_487:
	s_or_b64 exec, exec, s[10:11]
	v_mov_b32_e32 v101, 0
	ds_read_b32 v101, v101 offset:12
	s_waitcnt lgkmcnt(0)
	v_mul_f32_e32 v100, v100, v101
	buffer_store_dword v100, off, s[0:3], 0 offset:12
.LBB111_488:
	s_or_b64 exec, exec, s[8:9]
	buffer_load_dword v100, off, s[0:3], 0 offset:16
	v_cmp_gt_u32_e32 vcc, 4, v0
	s_waitcnt vmcnt(0)
	ds_write_b32 v98, v100
	s_waitcnt lgkmcnt(0)
	; wave barrier
	s_and_saveexec_b64 s[6:7], vcc
	s_cbranch_execz .LBB111_498
; %bb.489:
	s_and_b64 vcc, exec, s[4:5]
	s_cbranch_vccnz .LBB111_491
; %bb.490:
	buffer_load_dword v100, v99, s[0:3], 0 offen
	ds_read_b32 v101, v98
	s_waitcnt vmcnt(0) lgkmcnt(0)
	v_mul_f32_e32 v100, v100, v101
	s_cbranch_execz .LBB111_492
	s_branch .LBB111_493
.LBB111_491:
                                        ; implicit-def: $vgpr100
.LBB111_492:
	ds_read_b32 v100, v98
.LBB111_493:
	v_cmp_ne_u32_e32 vcc, 3, v0
	s_and_saveexec_b64 s[8:9], vcc
	s_cbranch_execz .LBB111_497
; %bb.494:
	s_mov_b32 s10, 0
	v_add_u32_e32 v101, 0xc4, v97
	v_add3_u32 v102, v97, s10, 4
	s_mov_b64 s[10:11], 0
	v_mov_b32_e32 v103, v0
.LBB111_495:                            ; =>This Inner Loop Header: Depth=1
	buffer_load_dword v104, v102, s[0:3], 0 offen
	ds_read_b32 v105, v101
	v_add_u32_e32 v103, 1, v103
	v_cmp_lt_u32_e32 vcc, 2, v103
	v_add_u32_e32 v101, 4, v101
	v_add_u32_e32 v102, 4, v102
	s_or_b64 s[10:11], vcc, s[10:11]
	s_waitcnt vmcnt(0) lgkmcnt(0)
	v_fmac_f32_e32 v100, v104, v105
	s_andn2_b64 exec, exec, s[10:11]
	s_cbranch_execnz .LBB111_495
; %bb.496:
	s_or_b64 exec, exec, s[10:11]
.LBB111_497:
	s_or_b64 exec, exec, s[8:9]
	v_mov_b32_e32 v101, 0
	ds_read_b32 v101, v101 offset:16
	s_waitcnt lgkmcnt(0)
	v_mul_f32_e32 v100, v100, v101
	buffer_store_dword v100, off, s[0:3], 0 offset:16
.LBB111_498:
	s_or_b64 exec, exec, s[6:7]
	buffer_load_dword v100, off, s[0:3], 0 offset:20
	v_cmp_gt_u32_e32 vcc, 5, v0
	s_waitcnt vmcnt(0)
	ds_write_b32 v98, v100
	s_waitcnt lgkmcnt(0)
	; wave barrier
	s_and_saveexec_b64 s[6:7], vcc
	s_cbranch_execz .LBB111_508
; %bb.499:
	s_and_b64 vcc, exec, s[4:5]
	s_cbranch_vccnz .LBB111_501
; %bb.500:
	buffer_load_dword v100, v99, s[0:3], 0 offen
	ds_read_b32 v101, v98
	s_waitcnt vmcnt(0) lgkmcnt(0)
	v_mul_f32_e32 v100, v100, v101
	s_cbranch_execz .LBB111_502
	s_branch .LBB111_503
.LBB111_501:
                                        ; implicit-def: $vgpr100
.LBB111_502:
	ds_read_b32 v100, v98
.LBB111_503:
	v_cmp_ne_u32_e32 vcc, 4, v0
	s_and_saveexec_b64 s[8:9], vcc
	s_cbranch_execz .LBB111_507
; %bb.504:
	s_mov_b32 s10, 0
	v_add_u32_e32 v101, 0xc4, v97
	v_add3_u32 v102, v97, s10, 4
	s_mov_b64 s[10:11], 0
	v_mov_b32_e32 v103, v0
.LBB111_505:                            ; =>This Inner Loop Header: Depth=1
	buffer_load_dword v104, v102, s[0:3], 0 offen
	ds_read_b32 v105, v101
	v_add_u32_e32 v103, 1, v103
	v_cmp_lt_u32_e32 vcc, 3, v103
	v_add_u32_e32 v101, 4, v101
	v_add_u32_e32 v102, 4, v102
	s_or_b64 s[10:11], vcc, s[10:11]
	s_waitcnt vmcnt(0) lgkmcnt(0)
	v_fmac_f32_e32 v100, v104, v105
	s_andn2_b64 exec, exec, s[10:11]
	s_cbranch_execnz .LBB111_505
; %bb.506:
	s_or_b64 exec, exec, s[10:11]
.LBB111_507:
	s_or_b64 exec, exec, s[8:9]
	v_mov_b32_e32 v101, 0
	ds_read_b32 v101, v101 offset:20
	s_waitcnt lgkmcnt(0)
	v_mul_f32_e32 v100, v100, v101
	buffer_store_dword v100, off, s[0:3], 0 offset:20
.LBB111_508:
	;; [unrolled: 55-line block ×42, first 2 shown]
	s_or_b64 exec, exec, s[6:7]
	buffer_load_dword v100, off, s[0:3], 0 offset:184
	v_cmp_gt_u32_e64 s[6:7], 46, v0
	s_waitcnt vmcnt(0)
	ds_write_b32 v98, v100
	s_waitcnt lgkmcnt(0)
	; wave barrier
	s_and_saveexec_b64 s[8:9], s[6:7]
	s_cbranch_execz .LBB111_918
; %bb.909:
	s_and_b64 vcc, exec, s[4:5]
	s_cbranch_vccnz .LBB111_911
; %bb.910:
	buffer_load_dword v100, v99, s[0:3], 0 offen
	ds_read_b32 v101, v98
	s_waitcnt vmcnt(0) lgkmcnt(0)
	v_mul_f32_e32 v100, v100, v101
	s_cbranch_execz .LBB111_912
	s_branch .LBB111_913
.LBB111_911:
                                        ; implicit-def: $vgpr100
.LBB111_912:
	ds_read_b32 v100, v98
.LBB111_913:
	v_cmp_ne_u32_e32 vcc, 45, v0
	s_and_saveexec_b64 s[10:11], vcc
	s_cbranch_execz .LBB111_917
; %bb.914:
	s_mov_b32 s12, 0
	v_add_u32_e32 v101, 0xc4, v97
	v_add3_u32 v102, v97, s12, 4
	s_mov_b64 s[12:13], 0
	v_mov_b32_e32 v103, v0
.LBB111_915:                            ; =>This Inner Loop Header: Depth=1
	buffer_load_dword v104, v102, s[0:3], 0 offen
	ds_read_b32 v105, v101
	v_add_u32_e32 v103, 1, v103
	v_cmp_lt_u32_e32 vcc, 44, v103
	v_add_u32_e32 v101, 4, v101
	v_add_u32_e32 v102, 4, v102
	s_or_b64 s[12:13], vcc, s[12:13]
	s_waitcnt vmcnt(0) lgkmcnt(0)
	v_fmac_f32_e32 v100, v104, v105
	s_andn2_b64 exec, exec, s[12:13]
	s_cbranch_execnz .LBB111_915
; %bb.916:
	s_or_b64 exec, exec, s[12:13]
.LBB111_917:
	s_or_b64 exec, exec, s[10:11]
	v_mov_b32_e32 v101, 0
	ds_read_b32 v101, v101 offset:184
	s_waitcnt lgkmcnt(0)
	v_mul_f32_e32 v100, v100, v101
	buffer_store_dword v100, off, s[0:3], 0 offset:184
.LBB111_918:
	s_or_b64 exec, exec, s[8:9]
	buffer_load_dword v100, off, s[0:3], 0 offset:188
	v_cmp_ne_u32_e32 vcc, 47, v0
	s_waitcnt vmcnt(0)
	ds_write_b32 v98, v100
	s_waitcnt lgkmcnt(0)
	; wave barrier
	s_and_saveexec_b64 s[8:9], vcc
	s_cbranch_execz .LBB111_928
; %bb.919:
	s_and_b64 vcc, exec, s[4:5]
	s_cbranch_vccnz .LBB111_921
; %bb.920:
	buffer_load_dword v99, v99, s[0:3], 0 offen
	ds_read_b32 v100, v98
	s_waitcnt vmcnt(0) lgkmcnt(0)
	v_mul_f32_e32 v99, v99, v100
	s_cbranch_execz .LBB111_922
	s_branch .LBB111_923
.LBB111_921:
                                        ; implicit-def: $vgpr99
.LBB111_922:
	ds_read_b32 v99, v98
.LBB111_923:
	s_and_saveexec_b64 s[4:5], s[6:7]
	s_cbranch_execz .LBB111_927
; %bb.924:
	s_mov_b32 s6, 0
	v_add_u32_e32 v98, 0xc4, v97
	v_add3_u32 v97, v97, s6, 4
	s_mov_b64 s[6:7], 0
.LBB111_925:                            ; =>This Inner Loop Header: Depth=1
	buffer_load_dword v100, v97, s[0:3], 0 offen
	ds_read_b32 v101, v98
	v_add_u32_e32 v0, 1, v0
	v_cmp_lt_u32_e32 vcc, 45, v0
	v_add_u32_e32 v98, 4, v98
	v_add_u32_e32 v97, 4, v97
	s_or_b64 s[6:7], vcc, s[6:7]
	s_waitcnt vmcnt(0) lgkmcnt(0)
	v_fmac_f32_e32 v99, v100, v101
	s_andn2_b64 exec, exec, s[6:7]
	s_cbranch_execnz .LBB111_925
; %bb.926:
	s_or_b64 exec, exec, s[6:7]
.LBB111_927:
	s_or_b64 exec, exec, s[4:5]
	v_mov_b32_e32 v0, 0
	ds_read_b32 v0, v0 offset:188
	s_waitcnt lgkmcnt(0)
	v_mul_f32_e32 v0, v99, v0
	buffer_store_dword v0, off, s[0:3], 0 offset:188
.LBB111_928:
	s_or_b64 exec, exec, s[8:9]
.LBB111_929:
	buffer_load_dword v0, off, s[0:3], 0
	s_waitcnt vmcnt(0)
	flat_store_dword v[1:2], v0
	buffer_load_dword v0, off, s[0:3], 0 offset:4
	s_waitcnt vmcnt(0)
	flat_store_dword v[3:4], v0
	buffer_load_dword v0, off, s[0:3], 0 offset:8
	;; [unrolled: 3-line block ×47, first 2 shown]
	s_waitcnt vmcnt(0)
	flat_store_dword v[95:96], v0
.LBB111_930:
	s_endpgm
	.section	.rodata,"a",@progbits
	.p2align	6, 0x0
	.amdhsa_kernel _ZN9rocsolver6v33100L18trti2_kernel_smallILi48EfPKPfEEv13rocblas_fill_17rocblas_diagonal_T1_iil
		.amdhsa_group_segment_fixed_size 384
		.amdhsa_private_segment_fixed_size 208
		.amdhsa_kernarg_size 32
		.amdhsa_user_sgpr_count 6
		.amdhsa_user_sgpr_private_segment_buffer 1
		.amdhsa_user_sgpr_dispatch_ptr 0
		.amdhsa_user_sgpr_queue_ptr 0
		.amdhsa_user_sgpr_kernarg_segment_ptr 1
		.amdhsa_user_sgpr_dispatch_id 0
		.amdhsa_user_sgpr_flat_scratch_init 0
		.amdhsa_user_sgpr_private_segment_size 0
		.amdhsa_uses_dynamic_stack 0
		.amdhsa_system_sgpr_private_segment_wavefront_offset 1
		.amdhsa_system_sgpr_workgroup_id_x 1
		.amdhsa_system_sgpr_workgroup_id_y 0
		.amdhsa_system_sgpr_workgroup_id_z 0
		.amdhsa_system_sgpr_workgroup_info 0
		.amdhsa_system_vgpr_workitem_id 0
		.amdhsa_next_free_vgpr 106
		.amdhsa_next_free_sgpr 61
		.amdhsa_reserve_vcc 1
		.amdhsa_reserve_flat_scratch 0
		.amdhsa_float_round_mode_32 0
		.amdhsa_float_round_mode_16_64 0
		.amdhsa_float_denorm_mode_32 3
		.amdhsa_float_denorm_mode_16_64 3
		.amdhsa_dx10_clamp 1
		.amdhsa_ieee_mode 1
		.amdhsa_fp16_overflow 0
		.amdhsa_exception_fp_ieee_invalid_op 0
		.amdhsa_exception_fp_denorm_src 0
		.amdhsa_exception_fp_ieee_div_zero 0
		.amdhsa_exception_fp_ieee_overflow 0
		.amdhsa_exception_fp_ieee_underflow 0
		.amdhsa_exception_fp_ieee_inexact 0
		.amdhsa_exception_int_div_zero 0
	.end_amdhsa_kernel
	.section	.text._ZN9rocsolver6v33100L18trti2_kernel_smallILi48EfPKPfEEv13rocblas_fill_17rocblas_diagonal_T1_iil,"axG",@progbits,_ZN9rocsolver6v33100L18trti2_kernel_smallILi48EfPKPfEEv13rocblas_fill_17rocblas_diagonal_T1_iil,comdat
.Lfunc_end111:
	.size	_ZN9rocsolver6v33100L18trti2_kernel_smallILi48EfPKPfEEv13rocblas_fill_17rocblas_diagonal_T1_iil, .Lfunc_end111-_ZN9rocsolver6v33100L18trti2_kernel_smallILi48EfPKPfEEv13rocblas_fill_17rocblas_diagonal_T1_iil
                                        ; -- End function
	.set _ZN9rocsolver6v33100L18trti2_kernel_smallILi48EfPKPfEEv13rocblas_fill_17rocblas_diagonal_T1_iil.num_vgpr, 106
	.set _ZN9rocsolver6v33100L18trti2_kernel_smallILi48EfPKPfEEv13rocblas_fill_17rocblas_diagonal_T1_iil.num_agpr, 0
	.set _ZN9rocsolver6v33100L18trti2_kernel_smallILi48EfPKPfEEv13rocblas_fill_17rocblas_diagonal_T1_iil.numbered_sgpr, 61
	.set _ZN9rocsolver6v33100L18trti2_kernel_smallILi48EfPKPfEEv13rocblas_fill_17rocblas_diagonal_T1_iil.num_named_barrier, 0
	.set _ZN9rocsolver6v33100L18trti2_kernel_smallILi48EfPKPfEEv13rocblas_fill_17rocblas_diagonal_T1_iil.private_seg_size, 208
	.set _ZN9rocsolver6v33100L18trti2_kernel_smallILi48EfPKPfEEv13rocblas_fill_17rocblas_diagonal_T1_iil.uses_vcc, 1
	.set _ZN9rocsolver6v33100L18trti2_kernel_smallILi48EfPKPfEEv13rocblas_fill_17rocblas_diagonal_T1_iil.uses_flat_scratch, 0
	.set _ZN9rocsolver6v33100L18trti2_kernel_smallILi48EfPKPfEEv13rocblas_fill_17rocblas_diagonal_T1_iil.has_dyn_sized_stack, 0
	.set _ZN9rocsolver6v33100L18trti2_kernel_smallILi48EfPKPfEEv13rocblas_fill_17rocblas_diagonal_T1_iil.has_recursion, 0
	.set _ZN9rocsolver6v33100L18trti2_kernel_smallILi48EfPKPfEEv13rocblas_fill_17rocblas_diagonal_T1_iil.has_indirect_call, 0
	.section	.AMDGPU.csdata,"",@progbits
; Kernel info:
; codeLenInByte = 23296
; TotalNumSgprs: 65
; NumVgprs: 106
; ScratchSize: 208
; MemoryBound: 0
; FloatMode: 240
; IeeeMode: 1
; LDSByteSize: 384 bytes/workgroup (compile time only)
; SGPRBlocks: 8
; VGPRBlocks: 26
; NumSGPRsForWavesPerEU: 65
; NumVGPRsForWavesPerEU: 106
; Occupancy: 2
; WaveLimiterHint : 1
; COMPUTE_PGM_RSRC2:SCRATCH_EN: 1
; COMPUTE_PGM_RSRC2:USER_SGPR: 6
; COMPUTE_PGM_RSRC2:TRAP_HANDLER: 0
; COMPUTE_PGM_RSRC2:TGID_X_EN: 1
; COMPUTE_PGM_RSRC2:TGID_Y_EN: 0
; COMPUTE_PGM_RSRC2:TGID_Z_EN: 0
; COMPUTE_PGM_RSRC2:TIDIG_COMP_CNT: 0
	.section	.text._ZN9rocsolver6v33100L18trti2_kernel_smallILi49EfPKPfEEv13rocblas_fill_17rocblas_diagonal_T1_iil,"axG",@progbits,_ZN9rocsolver6v33100L18trti2_kernel_smallILi49EfPKPfEEv13rocblas_fill_17rocblas_diagonal_T1_iil,comdat
	.globl	_ZN9rocsolver6v33100L18trti2_kernel_smallILi49EfPKPfEEv13rocblas_fill_17rocblas_diagonal_T1_iil ; -- Begin function _ZN9rocsolver6v33100L18trti2_kernel_smallILi49EfPKPfEEv13rocblas_fill_17rocblas_diagonal_T1_iil
	.p2align	8
	.type	_ZN9rocsolver6v33100L18trti2_kernel_smallILi49EfPKPfEEv13rocblas_fill_17rocblas_diagonal_T1_iil,@function
_ZN9rocsolver6v33100L18trti2_kernel_smallILi49EfPKPfEEv13rocblas_fill_17rocblas_diagonal_T1_iil: ; @_ZN9rocsolver6v33100L18trti2_kernel_smallILi49EfPKPfEEv13rocblas_fill_17rocblas_diagonal_T1_iil
; %bb.0:
	s_add_u32 s0, s0, s7
	s_addc_u32 s1, s1, 0
	v_cmp_gt_u32_e32 vcc, 49, v0
	s_and_saveexec_b64 s[8:9], vcc
	s_cbranch_execz .LBB112_950
; %bb.1:
	s_load_dwordx2 s[12:13], s[4:5], 0x10
	s_load_dwordx4 s[8:11], s[4:5], 0x0
	s_ashr_i32 s7, s6, 31
	s_lshl_b64 s[6:7], s[6:7], 3
	v_lshlrev_b32_e32 v99, 2, v0
	s_waitcnt lgkmcnt(0)
	s_ashr_i32 s5, s12, 31
	s_add_u32 s6, s10, s6
	s_addc_u32 s7, s11, s7
	s_load_dwordx2 s[6:7], s[6:7], 0x0
	s_mov_b32 s4, s12
	s_lshl_b64 s[4:5], s[4:5], 2
	s_movk_i32 s12, 0x84
	s_waitcnt lgkmcnt(0)
	s_add_u32 s4, s6, s4
	s_addc_u32 s5, s7, s5
	v_mov_b32_e32 v2, s5
	v_add_co_u32_e32 v1, vcc, s4, v99
	v_addc_co_u32_e32 v2, vcc, 0, v2, vcc
	flat_load_dword v5, v[1:2]
	s_mov_b32 s6, s13
	s_ashr_i32 s7, s13, 31
	s_lshl_b64 s[6:7], s[6:7], 2
	v_mov_b32_e32 v4, s7
	v_add_co_u32_e32 v3, vcc, s6, v1
	v_addc_co_u32_e32 v4, vcc, v2, v4, vcc
	s_add_i32 s6, s13, s13
	v_add_u32_e32 v7, s6, v0
	v_ashrrev_i32_e32 v8, 31, v7
	v_mov_b32_e32 v10, s5
	v_mov_b32_e32 v12, s5
	;; [unrolled: 1-line block ×46, first 2 shown]
	s_cmpk_lg_i32 s9, 0x84
	s_cselect_b64 s[10:11], -1, 0
	s_cmpk_eq_i32 s9, 0x84
	s_waitcnt vmcnt(0) lgkmcnt(0)
	buffer_store_dword v5, off, s[0:3], 0
	flat_load_dword v9, v[3:4]
	v_lshlrev_b64 v[5:6], 2, v[7:8]
	v_add_co_u32_e32 v5, vcc, s4, v5
	v_addc_co_u32_e32 v6, vcc, v10, v6, vcc
	s_waitcnt vmcnt(0) lgkmcnt(0)
	buffer_store_dword v9, off, s[0:3], 0 offset:4
	flat_load_dword v11, v[5:6]
	v_add_u32_e32 v9, s13, v7
	v_ashrrev_i32_e32 v10, 31, v9
	v_lshlrev_b64 v[7:8], 2, v[9:10]
	v_add_co_u32_e32 v7, vcc, s4, v7
	v_addc_co_u32_e32 v8, vcc, v12, v8, vcc
	s_waitcnt vmcnt(0) lgkmcnt(0)
	buffer_store_dword v11, off, s[0:3], 0 offset:8
	flat_load_dword v13, v[7:8]
	v_add_u32_e32 v11, s13, v9
	v_ashrrev_i32_e32 v12, 31, v11
	;; [unrolled: 8-line block ×45, first 2 shown]
	v_lshlrev_b64 v[95:96], 2, v[97:98]
	v_add_u32_e32 v97, s13, v97
	v_add_co_u32_e32 v95, vcc, s4, v95
	v_addc_co_u32_e32 v96, vcc, v101, v96, vcc
	v_ashrrev_i32_e32 v98, 31, v97
	v_lshlrev_b64 v[97:98], 2, v[97:98]
	v_add_co_u32_e32 v97, vcc, s4, v97
	v_addc_co_u32_e32 v98, vcc, v101, v98, vcc
	s_waitcnt vmcnt(0) lgkmcnt(0)
	buffer_store_dword v100, off, s[0:3], 0 offset:184
	flat_load_dword v100, v[95:96]
	s_waitcnt vmcnt(0) lgkmcnt(0)
	buffer_store_dword v100, off, s[0:3], 0 offset:188
	flat_load_dword v100, v[97:98]
	s_waitcnt vmcnt(0) lgkmcnt(0)
	buffer_store_dword v100, off, s[0:3], 0 offset:192
	v_mov_b32_e32 v100, -1.0
	s_cbranch_scc1 .LBB112_3
; %bb.2:
	v_mov_b32_e32 v100, 0
	v_lshl_add_u32 v100, v0, 2, v100
	buffer_load_dword v101, v100, s[0:3], 0 offen
	s_waitcnt vmcnt(0)
	v_div_scale_f32 v102, s[4:5], v101, v101, 1.0
	v_div_scale_f32 v103, vcc, 1.0, v101, 1.0
	v_rcp_f32_e32 v104, v102
	v_fma_f32 v105, -v102, v104, 1.0
	v_fmac_f32_e32 v104, v105, v104
	v_mul_f32_e32 v105, v103, v104
	v_fma_f32 v106, -v102, v105, v103
	v_fmac_f32_e32 v105, v106, v104
	v_fma_f32 v102, -v102, v105, v103
	v_div_fmas_f32 v102, v102, v104, v105
	v_div_fixup_f32 v101, v102, v101, 1.0
	buffer_store_dword v101, v100, s[0:3], 0 offen
	v_xor_b32_e32 v100, 0x80000000, v101
.LBB112_3:
	ds_write_b32 v99, v100
	s_cmpk_eq_i32 s8, 0x79
	v_add_u32_e32 v100, 0xd0, v99
	v_mov_b32_e32 v101, v99
	s_mov_b64 s[4:5], -1
	s_cbranch_scc1 .LBB112_477
; %bb.4:
	buffer_load_dword v102, off, s[0:3], 0 offset:188
	s_movk_i32 s30, 0x44
	s_movk_i32 s31, 0x48
	;; [unrolled: 1-line block ×29, first 2 shown]
	v_cmp_eq_u32_e64 s[4:5], 48, v0
	s_waitcnt vmcnt(0)
	ds_write_b32 v100, v102
	s_waitcnt lgkmcnt(0)
	; wave barrier
	s_and_saveexec_b64 s[6:7], s[4:5]
	s_cbranch_execz .LBB112_10
; %bb.5:
	s_and_b64 vcc, exec, s[10:11]
	s_cbranch_vccz .LBB112_7
; %bb.6:
	buffer_load_dword v102, v101, s[0:3], 0 offen
	ds_read_b32 v103, v100
	s_waitcnt vmcnt(0) lgkmcnt(0)
	v_mul_f32_e32 v102, v102, v103
	s_cbranch_execz .LBB112_8
	s_branch .LBB112_9
.LBB112_7:
                                        ; implicit-def: $vgpr102
.LBB112_8:
	ds_read_b32 v102, v100
.LBB112_9:
	v_mov_b32_e32 v103, 0
	ds_read_b32 v103, v103 offset:188
	s_waitcnt lgkmcnt(0)
	v_mul_f32_e32 v102, v102, v103
	buffer_store_dword v102, off, s[0:3], 0 offset:188
.LBB112_10:
	s_or_b64 exec, exec, s[6:7]
	buffer_load_dword v102, off, s[0:3], 0 offset:184
	s_or_b32 s14, 0, 4
	s_or_b32 s15, 0, 8
	;; [unrolled: 1-line block ×3, first 2 shown]
	s_mov_b32 s17, 16
	s_mov_b32 s18, 20
	;; [unrolled: 1-line block ×15, first 2 shown]
	v_cmp_lt_u32_e64 s[6:7], 46, v0
	s_waitcnt vmcnt(0)
	ds_write_b32 v100, v102
	s_waitcnt lgkmcnt(0)
	; wave barrier
	s_and_saveexec_b64 s[8:9], s[6:7]
	s_cbranch_execz .LBB112_16
; %bb.11:
	s_andn2_b64 vcc, exec, s[10:11]
	s_cbranch_vccnz .LBB112_13
; %bb.12:
	buffer_load_dword v102, v101, s[0:3], 0 offen
	ds_read_b32 v103, v100
	s_waitcnt vmcnt(0) lgkmcnt(0)
	v_mul_f32_e32 v102, v102, v103
	s_cbranch_execz .LBB112_14
	s_branch .LBB112_15
.LBB112_13:
                                        ; implicit-def: $vgpr102
.LBB112_14:
	ds_read_b32 v102, v100
.LBB112_15:
	buffer_load_dword v105, off, s[0:3], 0 offset:188
	v_mov_b32_e32 v103, 0
	ds_read2_b32 v[103:104], v103 offset0:46 offset1:99
	s_waitcnt vmcnt(0) lgkmcnt(0)
	v_fma_f32 v104, v105, v104, v102
	v_cndmask_b32_e64 v102, v102, v104, s[4:5]
	v_mul_f32_e32 v102, v102, v103
	buffer_store_dword v102, off, s[0:3], 0 offset:184
.LBB112_16:
	s_or_b64 exec, exec, s[8:9]
	buffer_load_dword v102, off, s[0:3], 0 offset:180
	v_cmp_lt_u32_e64 s[4:5], 45, v0
	s_waitcnt vmcnt(0)
	ds_write_b32 v100, v102
	s_waitcnt lgkmcnt(0)
	; wave barrier
	s_and_saveexec_b64 s[8:9], s[4:5]
	s_cbranch_execz .LBB112_26
; %bb.17:
	s_andn2_b64 vcc, exec, s[10:11]
	s_cbranch_vccnz .LBB112_19
; %bb.18:
	buffer_load_dword v102, v101, s[0:3], 0 offen
	ds_read_b32 v103, v100
	s_waitcnt vmcnt(0) lgkmcnt(0)
	v_mul_f32_e32 v102, v102, v103
	s_cbranch_execz .LBB112_20
	s_branch .LBB112_21
.LBB112_19:
                                        ; implicit-def: $vgpr102
.LBB112_20:
	ds_read_b32 v102, v100
.LBB112_21:
	s_and_saveexec_b64 s[12:13], s[6:7]
	s_cbranch_execz .LBB112_25
; %bb.22:
	v_subrev_u32_e32 v103, 46, v0
	s_movk_i32 s61, 0x188
	s_mov_b64 s[6:7], 0
.LBB112_23:                             ; =>This Inner Loop Header: Depth=1
	v_mov_b32_e32 v104, s60
	buffer_load_dword v104, v104, s[0:3], 0 offen
	v_mov_b32_e32 v105, s61
	ds_read_b32 v105, v105
	v_add_u32_e32 v103, -1, v103
	s_add_i32 s61, s61, 4
	s_add_i32 s60, s60, 4
	v_cmp_eq_u32_e32 vcc, 0, v103
	s_or_b64 s[6:7], vcc, s[6:7]
	s_waitcnt vmcnt(0) lgkmcnt(0)
	v_fmac_f32_e32 v102, v104, v105
	s_andn2_b64 exec, exec, s[6:7]
	s_cbranch_execnz .LBB112_23
; %bb.24:
	s_or_b64 exec, exec, s[6:7]
.LBB112_25:
	s_or_b64 exec, exec, s[12:13]
	v_mov_b32_e32 v103, 0
	ds_read_b32 v103, v103 offset:180
	s_waitcnt lgkmcnt(0)
	v_mul_f32_e32 v102, v102, v103
	buffer_store_dword v102, off, s[0:3], 0 offset:180
.LBB112_26:
	s_or_b64 exec, exec, s[8:9]
	buffer_load_dword v102, off, s[0:3], 0 offset:176
	v_cmp_lt_u32_e64 s[6:7], 44, v0
	s_waitcnt vmcnt(0)
	ds_write_b32 v100, v102
	s_waitcnt lgkmcnt(0)
	; wave barrier
	s_and_saveexec_b64 s[8:9], s[6:7]
	s_cbranch_execz .LBB112_36
; %bb.27:
	s_andn2_b64 vcc, exec, s[10:11]
	s_cbranch_vccnz .LBB112_29
; %bb.28:
	buffer_load_dword v102, v101, s[0:3], 0 offen
	ds_read_b32 v103, v100
	s_waitcnt vmcnt(0) lgkmcnt(0)
	v_mul_f32_e32 v102, v102, v103
	s_cbranch_execz .LBB112_30
	s_branch .LBB112_31
.LBB112_29:
                                        ; implicit-def: $vgpr102
.LBB112_30:
	ds_read_b32 v102, v100
.LBB112_31:
	s_and_saveexec_b64 s[12:13], s[4:5]
	s_cbranch_execz .LBB112_35
; %bb.32:
	v_subrev_u32_e32 v103, 45, v0
	s_movk_i32 s60, 0x184
	s_mov_b64 s[4:5], 0
.LBB112_33:                             ; =>This Inner Loop Header: Depth=1
	v_mov_b32_e32 v104, s59
	buffer_load_dword v104, v104, s[0:3], 0 offen
	v_mov_b32_e32 v105, s60
	ds_read_b32 v105, v105
	v_add_u32_e32 v103, -1, v103
	s_add_i32 s60, s60, 4
	s_add_i32 s59, s59, 4
	v_cmp_eq_u32_e32 vcc, 0, v103
	s_or_b64 s[4:5], vcc, s[4:5]
	s_waitcnt vmcnt(0) lgkmcnt(0)
	v_fmac_f32_e32 v102, v104, v105
	s_andn2_b64 exec, exec, s[4:5]
	s_cbranch_execnz .LBB112_33
; %bb.34:
	s_or_b64 exec, exec, s[4:5]
.LBB112_35:
	s_or_b64 exec, exec, s[12:13]
	v_mov_b32_e32 v103, 0
	ds_read_b32 v103, v103 offset:176
	s_waitcnt lgkmcnt(0)
	v_mul_f32_e32 v102, v102, v103
	buffer_store_dword v102, off, s[0:3], 0 offset:176
.LBB112_36:
	;; [unrolled: 54-line block ×8, first 2 shown]
	s_or_b64 exec, exec, s[8:9]
	buffer_load_dword v102, off, s[0:3], 0 offset:148
	v_cmp_lt_u32_e64 s[4:5], 37, v0
	s_waitcnt vmcnt(0)
	ds_write_b32 v100, v102
	s_waitcnt lgkmcnt(0)
	; wave barrier
	s_and_saveexec_b64 s[8:9], s[4:5]
	s_cbranch_execz .LBB112_106
; %bb.97:
	s_andn2_b64 vcc, exec, s[10:11]
	s_cbranch_vccnz .LBB112_99
; %bb.98:
	buffer_load_dword v102, v101, s[0:3], 0 offen
	ds_read_b32 v103, v100
	s_waitcnt vmcnt(0) lgkmcnt(0)
	v_mul_f32_e32 v102, v102, v103
	s_cbranch_execz .LBB112_100
	s_branch .LBB112_101
.LBB112_99:
                                        ; implicit-def: $vgpr102
.LBB112_100:
	ds_read_b32 v102, v100
.LBB112_101:
	s_and_saveexec_b64 s[12:13], s[6:7]
	s_cbranch_execz .LBB112_105
; %bb.102:
	v_subrev_u32_e32 v103, 38, v0
	s_movk_i32 s53, 0x168
	s_mov_b64 s[6:7], 0
.LBB112_103:                            ; =>This Inner Loop Header: Depth=1
	v_mov_b32_e32 v104, s52
	buffer_load_dword v104, v104, s[0:3], 0 offen
	v_mov_b32_e32 v105, s53
	ds_read_b32 v105, v105
	v_add_u32_e32 v103, -1, v103
	s_add_i32 s53, s53, 4
	s_add_i32 s52, s52, 4
	v_cmp_eq_u32_e32 vcc, 0, v103
	s_or_b64 s[6:7], vcc, s[6:7]
	s_waitcnt vmcnt(0) lgkmcnt(0)
	v_fmac_f32_e32 v102, v104, v105
	s_andn2_b64 exec, exec, s[6:7]
	s_cbranch_execnz .LBB112_103
; %bb.104:
	s_or_b64 exec, exec, s[6:7]
.LBB112_105:
	s_or_b64 exec, exec, s[12:13]
	v_mov_b32_e32 v103, 0
	ds_read_b32 v103, v103 offset:148
	s_waitcnt lgkmcnt(0)
	v_mul_f32_e32 v102, v102, v103
	buffer_store_dword v102, off, s[0:3], 0 offset:148
.LBB112_106:
	s_or_b64 exec, exec, s[8:9]
	buffer_load_dword v102, off, s[0:3], 0 offset:144
	v_cmp_lt_u32_e64 s[6:7], 36, v0
	s_waitcnt vmcnt(0)
	ds_write_b32 v100, v102
	s_waitcnt lgkmcnt(0)
	; wave barrier
	s_and_saveexec_b64 s[8:9], s[6:7]
	s_cbranch_execz .LBB112_116
; %bb.107:
	s_andn2_b64 vcc, exec, s[10:11]
	s_cbranch_vccnz .LBB112_109
; %bb.108:
	buffer_load_dword v102, v101, s[0:3], 0 offen
	ds_read_b32 v103, v100
	s_waitcnt vmcnt(0) lgkmcnt(0)
	v_mul_f32_e32 v102, v102, v103
	s_cbranch_execz .LBB112_110
	s_branch .LBB112_111
.LBB112_109:
                                        ; implicit-def: $vgpr102
.LBB112_110:
	ds_read_b32 v102, v100
.LBB112_111:
	s_and_saveexec_b64 s[12:13], s[4:5]
	s_cbranch_execz .LBB112_115
; %bb.112:
	v_subrev_u32_e32 v103, 37, v0
	s_movk_i32 s52, 0x164
	s_mov_b64 s[4:5], 0
.LBB112_113:                            ; =>This Inner Loop Header: Depth=1
	v_mov_b32_e32 v104, s51
	buffer_load_dword v104, v104, s[0:3], 0 offen
	v_mov_b32_e32 v105, s52
	ds_read_b32 v105, v105
	v_add_u32_e32 v103, -1, v103
	s_add_i32 s52, s52, 4
	s_add_i32 s51, s51, 4
	v_cmp_eq_u32_e32 vcc, 0, v103
	s_or_b64 s[4:5], vcc, s[4:5]
	s_waitcnt vmcnt(0) lgkmcnt(0)
	v_fmac_f32_e32 v102, v104, v105
	s_andn2_b64 exec, exec, s[4:5]
	s_cbranch_execnz .LBB112_113
; %bb.114:
	s_or_b64 exec, exec, s[4:5]
.LBB112_115:
	s_or_b64 exec, exec, s[12:13]
	v_mov_b32_e32 v103, 0
	ds_read_b32 v103, v103 offset:144
	s_waitcnt lgkmcnt(0)
	v_mul_f32_e32 v102, v102, v103
	buffer_store_dword v102, off, s[0:3], 0 offset:144
.LBB112_116:
	;; [unrolled: 54-line block ×22, first 2 shown]
	s_or_b64 exec, exec, s[8:9]
	buffer_load_dword v102, off, s[0:3], 0 offset:60
	v_cmp_lt_u32_e64 s[4:5], 15, v0
	s_waitcnt vmcnt(0)
	ds_write_b32 v100, v102
	s_waitcnt lgkmcnt(0)
	; wave barrier
	s_and_saveexec_b64 s[8:9], s[4:5]
	s_cbranch_execz .LBB112_326
; %bb.317:
	s_andn2_b64 vcc, exec, s[10:11]
	s_cbranch_vccnz .LBB112_319
; %bb.318:
	buffer_load_dword v102, v101, s[0:3], 0 offen
	ds_read_b32 v103, v100
	s_waitcnt vmcnt(0) lgkmcnt(0)
	v_mul_f32_e32 v102, v102, v103
	s_cbranch_execz .LBB112_320
	s_branch .LBB112_321
.LBB112_319:
                                        ; implicit-def: $vgpr102
.LBB112_320:
	ds_read_b32 v102, v100
.LBB112_321:
	s_and_saveexec_b64 s[12:13], s[6:7]
	s_cbranch_execz .LBB112_325
; %bb.322:
	v_add_u32_e32 v103, -16, v0
	s_movk_i32 s30, 0x110
	s_mov_b64 s[6:7], 0
.LBB112_323:                            ; =>This Inner Loop Header: Depth=1
	v_mov_b32_e32 v104, s29
	buffer_load_dword v104, v104, s[0:3], 0 offen
	v_mov_b32_e32 v105, s30
	ds_read_b32 v105, v105
	v_add_u32_e32 v103, -1, v103
	s_add_i32 s30, s30, 4
	s_add_i32 s29, s29, 4
	v_cmp_eq_u32_e32 vcc, 0, v103
	s_or_b64 s[6:7], vcc, s[6:7]
	s_waitcnt vmcnt(0) lgkmcnt(0)
	v_fmac_f32_e32 v102, v104, v105
	s_andn2_b64 exec, exec, s[6:7]
	s_cbranch_execnz .LBB112_323
; %bb.324:
	s_or_b64 exec, exec, s[6:7]
.LBB112_325:
	s_or_b64 exec, exec, s[12:13]
	v_mov_b32_e32 v103, 0
	ds_read_b32 v103, v103 offset:60
	s_waitcnt lgkmcnt(0)
	v_mul_f32_e32 v102, v102, v103
	buffer_store_dword v102, off, s[0:3], 0 offset:60
.LBB112_326:
	s_or_b64 exec, exec, s[8:9]
	buffer_load_dword v102, off, s[0:3], 0 offset:56
	v_cmp_lt_u32_e64 s[6:7], 14, v0
	s_waitcnt vmcnt(0)
	ds_write_b32 v100, v102
	s_waitcnt lgkmcnt(0)
	; wave barrier
	s_and_saveexec_b64 s[8:9], s[6:7]
	s_cbranch_execz .LBB112_336
; %bb.327:
	s_andn2_b64 vcc, exec, s[10:11]
	s_cbranch_vccnz .LBB112_329
; %bb.328:
	buffer_load_dword v102, v101, s[0:3], 0 offen
	ds_read_b32 v103, v100
	s_waitcnt vmcnt(0) lgkmcnt(0)
	v_mul_f32_e32 v102, v102, v103
	s_cbranch_execz .LBB112_330
	s_branch .LBB112_331
.LBB112_329:
                                        ; implicit-def: $vgpr102
.LBB112_330:
	ds_read_b32 v102, v100
.LBB112_331:
	s_and_saveexec_b64 s[12:13], s[4:5]
	s_cbranch_execz .LBB112_335
; %bb.332:
	v_add_u32_e32 v103, -15, v0
	s_movk_i32 s29, 0x10c
	s_mov_b64 s[4:5], 0
.LBB112_333:                            ; =>This Inner Loop Header: Depth=1
	v_mov_b32_e32 v104, s28
	buffer_load_dword v104, v104, s[0:3], 0 offen
	v_mov_b32_e32 v105, s29
	ds_read_b32 v105, v105
	v_add_u32_e32 v103, -1, v103
	s_add_i32 s29, s29, 4
	s_add_i32 s28, s28, 4
	v_cmp_eq_u32_e32 vcc, 0, v103
	s_or_b64 s[4:5], vcc, s[4:5]
	s_waitcnt vmcnt(0) lgkmcnt(0)
	v_fmac_f32_e32 v102, v104, v105
	s_andn2_b64 exec, exec, s[4:5]
	s_cbranch_execnz .LBB112_333
; %bb.334:
	s_or_b64 exec, exec, s[4:5]
.LBB112_335:
	s_or_b64 exec, exec, s[12:13]
	v_mov_b32_e32 v103, 0
	ds_read_b32 v103, v103 offset:56
	s_waitcnt lgkmcnt(0)
	v_mul_f32_e32 v102, v102, v103
	buffer_store_dword v102, off, s[0:3], 0 offset:56
.LBB112_336:
	;; [unrolled: 54-line block ×15, first 2 shown]
	s_or_b64 exec, exec, s[8:9]
	buffer_load_dword v102, off, s[0:3], 0
	v_cmp_ne_u32_e32 vcc, 0, v0
	s_waitcnt vmcnt(0)
	ds_write_b32 v100, v102
	s_waitcnt lgkmcnt(0)
	; wave barrier
	s_and_saveexec_b64 s[6:7], vcc
	s_cbranch_execz .LBB112_476
; %bb.467:
	s_andn2_b64 vcc, exec, s[10:11]
	s_cbranch_vccnz .LBB112_469
; %bb.468:
	buffer_load_dword v102, v101, s[0:3], 0 offen
	ds_read_b32 v103, v100
	s_waitcnt vmcnt(0) lgkmcnt(0)
	v_mul_f32_e32 v102, v102, v103
	s_cbranch_execz .LBB112_470
	s_branch .LBB112_471
.LBB112_469:
                                        ; implicit-def: $vgpr102
.LBB112_470:
	ds_read_b32 v102, v100
.LBB112_471:
	s_and_saveexec_b64 s[8:9], s[4:5]
	s_cbranch_execz .LBB112_475
; %bb.472:
	v_add_u32_e32 v103, -1, v0
	s_movk_i32 s12, 0xd4
	s_mov_b64 s[4:5], 0
.LBB112_473:                            ; =>This Inner Loop Header: Depth=1
	v_mov_b32_e32 v104, s14
	buffer_load_dword v104, v104, s[0:3], 0 offen
	v_mov_b32_e32 v105, s12
	ds_read_b32 v105, v105
	v_add_u32_e32 v103, -1, v103
	s_add_i32 s12, s12, 4
	s_add_i32 s14, s14, 4
	v_cmp_eq_u32_e32 vcc, 0, v103
	s_or_b64 s[4:5], vcc, s[4:5]
	s_waitcnt vmcnt(0) lgkmcnt(0)
	v_fmac_f32_e32 v102, v104, v105
	s_andn2_b64 exec, exec, s[4:5]
	s_cbranch_execnz .LBB112_473
; %bb.474:
	s_or_b64 exec, exec, s[4:5]
.LBB112_475:
	s_or_b64 exec, exec, s[8:9]
	v_mov_b32_e32 v103, 0
	ds_read_b32 v103, v103
	s_waitcnt lgkmcnt(0)
	v_mul_f32_e32 v102, v102, v103
	buffer_store_dword v102, off, s[0:3], 0
.LBB112_476:
	s_or_b64 exec, exec, s[6:7]
	s_mov_b64 s[4:5], 0
.LBB112_477:
	s_and_b64 vcc, exec, s[4:5]
	s_cbranch_vccz .LBB112_949
; %bb.478:
	buffer_load_dword v102, off, s[0:3], 0 offset:4
	v_cmp_eq_u32_e64 s[6:7], 0, v0
	s_waitcnt vmcnt(0)
	ds_write_b32 v100, v102
	s_waitcnt lgkmcnt(0)
	; wave barrier
	s_and_saveexec_b64 s[4:5], s[6:7]
	s_cbranch_execz .LBB112_484
; %bb.479:
	s_and_b64 vcc, exec, s[10:11]
	s_cbranch_vccz .LBB112_481
; %bb.480:
	buffer_load_dword v102, v101, s[0:3], 0 offen
	ds_read_b32 v103, v100
	s_waitcnt vmcnt(0) lgkmcnt(0)
	v_mul_f32_e32 v102, v102, v103
	s_cbranch_execz .LBB112_482
	s_branch .LBB112_483
.LBB112_481:
                                        ; implicit-def: $vgpr102
.LBB112_482:
	ds_read_b32 v102, v100
.LBB112_483:
	v_mov_b32_e32 v103, 0
	ds_read_b32 v103, v103 offset:4
	s_waitcnt lgkmcnt(0)
	v_mul_f32_e32 v102, v102, v103
	buffer_store_dword v102, off, s[0:3], 0 offset:4
.LBB112_484:
	s_or_b64 exec, exec, s[4:5]
	buffer_load_dword v102, off, s[0:3], 0 offset:8
	v_cndmask_b32_e64 v103, 0, 1, s[10:11]
	v_cmp_gt_u32_e32 vcc, 2, v0
	v_cmp_ne_u32_e64 s[4:5], 1, v103
	s_waitcnt vmcnt(0)
	ds_write_b32 v100, v102
	s_waitcnt lgkmcnt(0)
	; wave barrier
	s_and_saveexec_b64 s[8:9], vcc
	s_cbranch_execz .LBB112_490
; %bb.485:
	s_and_b64 vcc, exec, s[4:5]
	s_cbranch_vccnz .LBB112_487
; %bb.486:
	buffer_load_dword v102, v101, s[0:3], 0 offen
	ds_read_b32 v103, v100
	s_waitcnt vmcnt(0) lgkmcnt(0)
	v_mul_f32_e32 v102, v102, v103
	s_cbranch_execz .LBB112_488
	s_branch .LBB112_489
.LBB112_487:
                                        ; implicit-def: $vgpr102
.LBB112_488:
	ds_read_b32 v102, v100
.LBB112_489:
	buffer_load_dword v105, off, s[0:3], 0 offset:4
	v_mov_b32_e32 v103, 0
	ds_read2_b32 v[103:104], v103 offset0:2 offset1:53
	s_waitcnt vmcnt(0) lgkmcnt(0)
	v_fma_f32 v104, v105, v104, v102
	v_cndmask_b32_e64 v102, v102, v104, s[6:7]
	v_mul_f32_e32 v102, v102, v103
	buffer_store_dword v102, off, s[0:3], 0 offset:8
.LBB112_490:
	s_or_b64 exec, exec, s[8:9]
	buffer_load_dword v102, off, s[0:3], 0 offset:12
	v_cmp_gt_u32_e32 vcc, 3, v0
	s_waitcnt vmcnt(0)
	ds_write_b32 v100, v102
	s_waitcnt lgkmcnt(0)
	; wave barrier
	s_and_saveexec_b64 s[8:9], vcc
	s_cbranch_execz .LBB112_498
; %bb.491:
	s_and_b64 vcc, exec, s[4:5]
	s_cbranch_vccnz .LBB112_493
; %bb.492:
	buffer_load_dword v102, v101, s[0:3], 0 offen
	ds_read_b32 v103, v100
	s_waitcnt vmcnt(0) lgkmcnt(0)
	v_mul_f32_e32 v102, v102, v103
	s_cbranch_execz .LBB112_494
	s_branch .LBB112_495
.LBB112_493:
                                        ; implicit-def: $vgpr102
.LBB112_494:
	ds_read_b32 v102, v100
.LBB112_495:
	v_cmp_ne_u32_e32 vcc, 2, v0
	s_and_saveexec_b64 s[10:11], vcc
	s_cbranch_execz .LBB112_497
; %bb.496:
	buffer_load_dword v103, v101, s[0:3], 0 offen offset:4
	buffer_load_dword v104, off, s[0:3], 0 offset:8
	v_mov_b32_e32 v105, 0
	ds_read_b32 v106, v100 offset:4
	ds_read_b32 v105, v105 offset:216
	s_waitcnt vmcnt(1) lgkmcnt(1)
	v_fmac_f32_e32 v102, v103, v106
	s_waitcnt vmcnt(0) lgkmcnt(0)
	v_fma_f32 v103, v104, v105, v102
	v_cndmask_b32_e64 v102, v102, v103, s[6:7]
.LBB112_497:
	s_or_b64 exec, exec, s[10:11]
	v_mov_b32_e32 v103, 0
	ds_read_b32 v103, v103 offset:12
	s_waitcnt lgkmcnt(0)
	v_mul_f32_e32 v102, v102, v103
	buffer_store_dword v102, off, s[0:3], 0 offset:12
.LBB112_498:
	s_or_b64 exec, exec, s[8:9]
	buffer_load_dword v102, off, s[0:3], 0 offset:16
	v_cmp_gt_u32_e32 vcc, 4, v0
	s_waitcnt vmcnt(0)
	ds_write_b32 v100, v102
	s_waitcnt lgkmcnt(0)
	; wave barrier
	s_and_saveexec_b64 s[6:7], vcc
	s_cbranch_execz .LBB112_508
; %bb.499:
	s_and_b64 vcc, exec, s[4:5]
	s_cbranch_vccnz .LBB112_501
; %bb.500:
	buffer_load_dword v102, v101, s[0:3], 0 offen
	ds_read_b32 v103, v100
	s_waitcnt vmcnt(0) lgkmcnt(0)
	v_mul_f32_e32 v102, v102, v103
	s_cbranch_execz .LBB112_502
	s_branch .LBB112_503
.LBB112_501:
                                        ; implicit-def: $vgpr102
.LBB112_502:
	ds_read_b32 v102, v100
.LBB112_503:
	v_cmp_ne_u32_e32 vcc, 3, v0
	s_and_saveexec_b64 s[8:9], vcc
	s_cbranch_execz .LBB112_507
; %bb.504:
	s_mov_b32 s10, 0
	v_add_u32_e32 v103, 0xd4, v99
	v_add3_u32 v104, v99, s10, 4
	s_mov_b64 s[10:11], 0
	v_mov_b32_e32 v105, v0
.LBB112_505:                            ; =>This Inner Loop Header: Depth=1
	buffer_load_dword v106, v104, s[0:3], 0 offen
	ds_read_b32 v107, v103
	v_add_u32_e32 v105, 1, v105
	v_cmp_lt_u32_e32 vcc, 2, v105
	v_add_u32_e32 v103, 4, v103
	v_add_u32_e32 v104, 4, v104
	s_or_b64 s[10:11], vcc, s[10:11]
	s_waitcnt vmcnt(0) lgkmcnt(0)
	v_fmac_f32_e32 v102, v106, v107
	s_andn2_b64 exec, exec, s[10:11]
	s_cbranch_execnz .LBB112_505
; %bb.506:
	s_or_b64 exec, exec, s[10:11]
.LBB112_507:
	s_or_b64 exec, exec, s[8:9]
	v_mov_b32_e32 v103, 0
	ds_read_b32 v103, v103 offset:16
	s_waitcnt lgkmcnt(0)
	v_mul_f32_e32 v102, v102, v103
	buffer_store_dword v102, off, s[0:3], 0 offset:16
.LBB112_508:
	s_or_b64 exec, exec, s[6:7]
	buffer_load_dword v102, off, s[0:3], 0 offset:20
	v_cmp_gt_u32_e32 vcc, 5, v0
	s_waitcnt vmcnt(0)
	ds_write_b32 v100, v102
	s_waitcnt lgkmcnt(0)
	; wave barrier
	s_and_saveexec_b64 s[6:7], vcc
	s_cbranch_execz .LBB112_518
; %bb.509:
	s_and_b64 vcc, exec, s[4:5]
	s_cbranch_vccnz .LBB112_511
; %bb.510:
	buffer_load_dword v102, v101, s[0:3], 0 offen
	ds_read_b32 v103, v100
	s_waitcnt vmcnt(0) lgkmcnt(0)
	v_mul_f32_e32 v102, v102, v103
	s_cbranch_execz .LBB112_512
	s_branch .LBB112_513
.LBB112_511:
                                        ; implicit-def: $vgpr102
.LBB112_512:
	ds_read_b32 v102, v100
.LBB112_513:
	v_cmp_ne_u32_e32 vcc, 4, v0
	s_and_saveexec_b64 s[8:9], vcc
	s_cbranch_execz .LBB112_517
; %bb.514:
	s_mov_b32 s10, 0
	v_add_u32_e32 v103, 0xd4, v99
	v_add3_u32 v104, v99, s10, 4
	s_mov_b64 s[10:11], 0
	v_mov_b32_e32 v105, v0
.LBB112_515:                            ; =>This Inner Loop Header: Depth=1
	buffer_load_dword v106, v104, s[0:3], 0 offen
	ds_read_b32 v107, v103
	v_add_u32_e32 v105, 1, v105
	v_cmp_lt_u32_e32 vcc, 3, v105
	v_add_u32_e32 v103, 4, v103
	v_add_u32_e32 v104, 4, v104
	s_or_b64 s[10:11], vcc, s[10:11]
	s_waitcnt vmcnt(0) lgkmcnt(0)
	v_fmac_f32_e32 v102, v106, v107
	s_andn2_b64 exec, exec, s[10:11]
	s_cbranch_execnz .LBB112_515
; %bb.516:
	s_or_b64 exec, exec, s[10:11]
.LBB112_517:
	s_or_b64 exec, exec, s[8:9]
	v_mov_b32_e32 v103, 0
	ds_read_b32 v103, v103 offset:20
	s_waitcnt lgkmcnt(0)
	v_mul_f32_e32 v102, v102, v103
	buffer_store_dword v102, off, s[0:3], 0 offset:20
.LBB112_518:
	;; [unrolled: 55-line block ×43, first 2 shown]
	s_or_b64 exec, exec, s[6:7]
	buffer_load_dword v102, off, s[0:3], 0 offset:188
	v_cmp_gt_u32_e64 s[6:7], 47, v0
	s_waitcnt vmcnt(0)
	ds_write_b32 v100, v102
	s_waitcnt lgkmcnt(0)
	; wave barrier
	s_and_saveexec_b64 s[8:9], s[6:7]
	s_cbranch_execz .LBB112_938
; %bb.929:
	s_and_b64 vcc, exec, s[4:5]
	s_cbranch_vccnz .LBB112_931
; %bb.930:
	buffer_load_dword v102, v101, s[0:3], 0 offen
	ds_read_b32 v103, v100
	s_waitcnt vmcnt(0) lgkmcnt(0)
	v_mul_f32_e32 v102, v102, v103
	s_cbranch_execz .LBB112_932
	s_branch .LBB112_933
.LBB112_931:
                                        ; implicit-def: $vgpr102
.LBB112_932:
	ds_read_b32 v102, v100
.LBB112_933:
	v_cmp_ne_u32_e32 vcc, 46, v0
	s_and_saveexec_b64 s[10:11], vcc
	s_cbranch_execz .LBB112_937
; %bb.934:
	s_mov_b32 s12, 0
	v_add_u32_e32 v103, 0xd4, v99
	v_add3_u32 v104, v99, s12, 4
	s_mov_b64 s[12:13], 0
	v_mov_b32_e32 v105, v0
.LBB112_935:                            ; =>This Inner Loop Header: Depth=1
	buffer_load_dword v106, v104, s[0:3], 0 offen
	ds_read_b32 v107, v103
	v_add_u32_e32 v105, 1, v105
	v_cmp_lt_u32_e32 vcc, 45, v105
	v_add_u32_e32 v103, 4, v103
	v_add_u32_e32 v104, 4, v104
	s_or_b64 s[12:13], vcc, s[12:13]
	s_waitcnt vmcnt(0) lgkmcnt(0)
	v_fmac_f32_e32 v102, v106, v107
	s_andn2_b64 exec, exec, s[12:13]
	s_cbranch_execnz .LBB112_935
; %bb.936:
	s_or_b64 exec, exec, s[12:13]
.LBB112_937:
	s_or_b64 exec, exec, s[10:11]
	v_mov_b32_e32 v103, 0
	ds_read_b32 v103, v103 offset:188
	s_waitcnt lgkmcnt(0)
	v_mul_f32_e32 v102, v102, v103
	buffer_store_dword v102, off, s[0:3], 0 offset:188
.LBB112_938:
	s_or_b64 exec, exec, s[8:9]
	buffer_load_dword v102, off, s[0:3], 0 offset:192
	v_cmp_ne_u32_e32 vcc, 48, v0
	s_waitcnt vmcnt(0)
	ds_write_b32 v100, v102
	s_waitcnt lgkmcnt(0)
	; wave barrier
	s_and_saveexec_b64 s[8:9], vcc
	s_cbranch_execz .LBB112_948
; %bb.939:
	s_and_b64 vcc, exec, s[4:5]
	s_cbranch_vccnz .LBB112_941
; %bb.940:
	buffer_load_dword v101, v101, s[0:3], 0 offen
	ds_read_b32 v102, v100
	s_waitcnt vmcnt(0) lgkmcnt(0)
	v_mul_f32_e32 v101, v101, v102
	s_cbranch_execz .LBB112_942
	s_branch .LBB112_943
.LBB112_941:
                                        ; implicit-def: $vgpr101
.LBB112_942:
	ds_read_b32 v101, v100
.LBB112_943:
	s_and_saveexec_b64 s[4:5], s[6:7]
	s_cbranch_execz .LBB112_947
; %bb.944:
	s_mov_b32 s6, 0
	v_add_u32_e32 v100, 0xd4, v99
	v_add3_u32 v99, v99, s6, 4
	s_mov_b64 s[6:7], 0
.LBB112_945:                            ; =>This Inner Loop Header: Depth=1
	buffer_load_dword v102, v99, s[0:3], 0 offen
	ds_read_b32 v103, v100
	v_add_u32_e32 v0, 1, v0
	v_cmp_lt_u32_e32 vcc, 46, v0
	v_add_u32_e32 v100, 4, v100
	v_add_u32_e32 v99, 4, v99
	s_or_b64 s[6:7], vcc, s[6:7]
	s_waitcnt vmcnt(0) lgkmcnt(0)
	v_fmac_f32_e32 v101, v102, v103
	s_andn2_b64 exec, exec, s[6:7]
	s_cbranch_execnz .LBB112_945
; %bb.946:
	s_or_b64 exec, exec, s[6:7]
.LBB112_947:
	s_or_b64 exec, exec, s[4:5]
	v_mov_b32_e32 v0, 0
	ds_read_b32 v0, v0 offset:192
	s_waitcnt lgkmcnt(0)
	v_mul_f32_e32 v0, v101, v0
	buffer_store_dword v0, off, s[0:3], 0 offset:192
.LBB112_948:
	s_or_b64 exec, exec, s[8:9]
.LBB112_949:
	buffer_load_dword v0, off, s[0:3], 0
	s_waitcnt vmcnt(0)
	flat_store_dword v[1:2], v0
	buffer_load_dword v0, off, s[0:3], 0 offset:4
	s_waitcnt vmcnt(0)
	flat_store_dword v[3:4], v0
	buffer_load_dword v0, off, s[0:3], 0 offset:8
	s_waitcnt vmcnt(0)
	flat_store_dword v[5:6], v0
	buffer_load_dword v0, off, s[0:3], 0 offset:12
	s_waitcnt vmcnt(0)
	flat_store_dword v[7:8], v0
	buffer_load_dword v0, off, s[0:3], 0 offset:16
	s_waitcnt vmcnt(0)
	flat_store_dword v[9:10], v0
	buffer_load_dword v0, off, s[0:3], 0 offset:20
	s_waitcnt vmcnt(0)
	flat_store_dword v[11:12], v0
	buffer_load_dword v0, off, s[0:3], 0 offset:24
	s_waitcnt vmcnt(0)
	flat_store_dword v[13:14], v0
	buffer_load_dword v0, off, s[0:3], 0 offset:28
	s_waitcnt vmcnt(0)
	flat_store_dword v[15:16], v0
	buffer_load_dword v0, off, s[0:3], 0 offset:32
	s_waitcnt vmcnt(0)
	flat_store_dword v[17:18], v0
	buffer_load_dword v0, off, s[0:3], 0 offset:36
	s_waitcnt vmcnt(0)
	flat_store_dword v[19:20], v0
	buffer_load_dword v0, off, s[0:3], 0 offset:40
	s_waitcnt vmcnt(0)
	flat_store_dword v[21:22], v0
	buffer_load_dword v0, off, s[0:3], 0 offset:44
	s_waitcnt vmcnt(0)
	flat_store_dword v[23:24], v0
	buffer_load_dword v0, off, s[0:3], 0 offset:48
	s_waitcnt vmcnt(0)
	flat_store_dword v[25:26], v0
	buffer_load_dword v0, off, s[0:3], 0 offset:52
	s_waitcnt vmcnt(0)
	flat_store_dword v[27:28], v0
	buffer_load_dword v0, off, s[0:3], 0 offset:56
	s_waitcnt vmcnt(0)
	flat_store_dword v[29:30], v0
	buffer_load_dword v0, off, s[0:3], 0 offset:60
	s_waitcnt vmcnt(0)
	flat_store_dword v[31:32], v0
	buffer_load_dword v0, off, s[0:3], 0 offset:64
	s_waitcnt vmcnt(0)
	flat_store_dword v[33:34], v0
	buffer_load_dword v0, off, s[0:3], 0 offset:68
	s_waitcnt vmcnt(0)
	flat_store_dword v[35:36], v0
	buffer_load_dword v0, off, s[0:3], 0 offset:72
	s_waitcnt vmcnt(0)
	flat_store_dword v[37:38], v0
	buffer_load_dword v0, off, s[0:3], 0 offset:76
	s_waitcnt vmcnt(0)
	flat_store_dword v[39:40], v0
	buffer_load_dword v0, off, s[0:3], 0 offset:80
	s_waitcnt vmcnt(0)
	flat_store_dword v[41:42], v0
	buffer_load_dword v0, off, s[0:3], 0 offset:84
	s_waitcnt vmcnt(0)
	flat_store_dword v[43:44], v0
	buffer_load_dword v0, off, s[0:3], 0 offset:88
	s_waitcnt vmcnt(0)
	flat_store_dword v[45:46], v0
	buffer_load_dword v0, off, s[0:3], 0 offset:92
	s_waitcnt vmcnt(0)
	flat_store_dword v[47:48], v0
	buffer_load_dword v0, off, s[0:3], 0 offset:96
	s_waitcnt vmcnt(0)
	flat_store_dword v[49:50], v0
	buffer_load_dword v0, off, s[0:3], 0 offset:100
	s_waitcnt vmcnt(0)
	flat_store_dword v[51:52], v0
	buffer_load_dword v0, off, s[0:3], 0 offset:104
	s_waitcnt vmcnt(0)
	flat_store_dword v[53:54], v0
	buffer_load_dword v0, off, s[0:3], 0 offset:108
	s_waitcnt vmcnt(0)
	flat_store_dword v[55:56], v0
	buffer_load_dword v0, off, s[0:3], 0 offset:112
	s_waitcnt vmcnt(0)
	flat_store_dword v[57:58], v0
	buffer_load_dword v0, off, s[0:3], 0 offset:116
	s_waitcnt vmcnt(0)
	flat_store_dword v[59:60], v0
	buffer_load_dword v0, off, s[0:3], 0 offset:120
	s_waitcnt vmcnt(0)
	flat_store_dword v[61:62], v0
	buffer_load_dword v0, off, s[0:3], 0 offset:124
	s_waitcnt vmcnt(0)
	flat_store_dword v[63:64], v0
	buffer_load_dword v0, off, s[0:3], 0 offset:128
	s_waitcnt vmcnt(0)
	flat_store_dword v[65:66], v0
	buffer_load_dword v0, off, s[0:3], 0 offset:132
	s_waitcnt vmcnt(0)
	flat_store_dword v[67:68], v0
	buffer_load_dword v0, off, s[0:3], 0 offset:136
	s_waitcnt vmcnt(0)
	flat_store_dword v[69:70], v0
	buffer_load_dword v0, off, s[0:3], 0 offset:140
	s_waitcnt vmcnt(0)
	flat_store_dword v[71:72], v0
	buffer_load_dword v0, off, s[0:3], 0 offset:144
	s_waitcnt vmcnt(0)
	flat_store_dword v[73:74], v0
	buffer_load_dword v0, off, s[0:3], 0 offset:148
	s_waitcnt vmcnt(0)
	flat_store_dword v[75:76], v0
	buffer_load_dword v0, off, s[0:3], 0 offset:152
	s_waitcnt vmcnt(0)
	flat_store_dword v[77:78], v0
	buffer_load_dword v0, off, s[0:3], 0 offset:156
	s_waitcnt vmcnt(0)
	flat_store_dword v[79:80], v0
	buffer_load_dword v0, off, s[0:3], 0 offset:160
	s_waitcnt vmcnt(0)
	flat_store_dword v[81:82], v0
	buffer_load_dword v0, off, s[0:3], 0 offset:164
	s_waitcnt vmcnt(0)
	flat_store_dword v[83:84], v0
	buffer_load_dword v0, off, s[0:3], 0 offset:168
	s_waitcnt vmcnt(0)
	flat_store_dword v[85:86], v0
	buffer_load_dword v0, off, s[0:3], 0 offset:172
	s_waitcnt vmcnt(0)
	flat_store_dword v[87:88], v0
	buffer_load_dword v0, off, s[0:3], 0 offset:176
	s_waitcnt vmcnt(0)
	flat_store_dword v[89:90], v0
	buffer_load_dword v0, off, s[0:3], 0 offset:180
	s_waitcnt vmcnt(0)
	flat_store_dword v[91:92], v0
	buffer_load_dword v0, off, s[0:3], 0 offset:184
	s_waitcnt vmcnt(0)
	flat_store_dword v[93:94], v0
	buffer_load_dword v0, off, s[0:3], 0 offset:188
	s_waitcnt vmcnt(0)
	flat_store_dword v[95:96], v0
	buffer_load_dword v0, off, s[0:3], 0 offset:192
	s_waitcnt vmcnt(0)
	flat_store_dword v[97:98], v0
.LBB112_950:
	s_endpgm
	.section	.rodata,"a",@progbits
	.p2align	6, 0x0
	.amdhsa_kernel _ZN9rocsolver6v33100L18trti2_kernel_smallILi49EfPKPfEEv13rocblas_fill_17rocblas_diagonal_T1_iil
		.amdhsa_group_segment_fixed_size 404
		.amdhsa_private_segment_fixed_size 208
		.amdhsa_kernarg_size 32
		.amdhsa_user_sgpr_count 6
		.amdhsa_user_sgpr_private_segment_buffer 1
		.amdhsa_user_sgpr_dispatch_ptr 0
		.amdhsa_user_sgpr_queue_ptr 0
		.amdhsa_user_sgpr_kernarg_segment_ptr 1
		.amdhsa_user_sgpr_dispatch_id 0
		.amdhsa_user_sgpr_flat_scratch_init 0
		.amdhsa_user_sgpr_private_segment_size 0
		.amdhsa_uses_dynamic_stack 0
		.amdhsa_system_sgpr_private_segment_wavefront_offset 1
		.amdhsa_system_sgpr_workgroup_id_x 1
		.amdhsa_system_sgpr_workgroup_id_y 0
		.amdhsa_system_sgpr_workgroup_id_z 0
		.amdhsa_system_sgpr_workgroup_info 0
		.amdhsa_system_vgpr_workitem_id 0
		.amdhsa_next_free_vgpr 108
		.amdhsa_next_free_sgpr 62
		.amdhsa_reserve_vcc 1
		.amdhsa_reserve_flat_scratch 0
		.amdhsa_float_round_mode_32 0
		.amdhsa_float_round_mode_16_64 0
		.amdhsa_float_denorm_mode_32 3
		.amdhsa_float_denorm_mode_16_64 3
		.amdhsa_dx10_clamp 1
		.amdhsa_ieee_mode 1
		.amdhsa_fp16_overflow 0
		.amdhsa_exception_fp_ieee_invalid_op 0
		.amdhsa_exception_fp_denorm_src 0
		.amdhsa_exception_fp_ieee_div_zero 0
		.amdhsa_exception_fp_ieee_overflow 0
		.amdhsa_exception_fp_ieee_underflow 0
		.amdhsa_exception_fp_ieee_inexact 0
		.amdhsa_exception_int_div_zero 0
	.end_amdhsa_kernel
	.section	.text._ZN9rocsolver6v33100L18trti2_kernel_smallILi49EfPKPfEEv13rocblas_fill_17rocblas_diagonal_T1_iil,"axG",@progbits,_ZN9rocsolver6v33100L18trti2_kernel_smallILi49EfPKPfEEv13rocblas_fill_17rocblas_diagonal_T1_iil,comdat
.Lfunc_end112:
	.size	_ZN9rocsolver6v33100L18trti2_kernel_smallILi49EfPKPfEEv13rocblas_fill_17rocblas_diagonal_T1_iil, .Lfunc_end112-_ZN9rocsolver6v33100L18trti2_kernel_smallILi49EfPKPfEEv13rocblas_fill_17rocblas_diagonal_T1_iil
                                        ; -- End function
	.set _ZN9rocsolver6v33100L18trti2_kernel_smallILi49EfPKPfEEv13rocblas_fill_17rocblas_diagonal_T1_iil.num_vgpr, 108
	.set _ZN9rocsolver6v33100L18trti2_kernel_smallILi49EfPKPfEEv13rocblas_fill_17rocblas_diagonal_T1_iil.num_agpr, 0
	.set _ZN9rocsolver6v33100L18trti2_kernel_smallILi49EfPKPfEEv13rocblas_fill_17rocblas_diagonal_T1_iil.numbered_sgpr, 62
	.set _ZN9rocsolver6v33100L18trti2_kernel_smallILi49EfPKPfEEv13rocblas_fill_17rocblas_diagonal_T1_iil.num_named_barrier, 0
	.set _ZN9rocsolver6v33100L18trti2_kernel_smallILi49EfPKPfEEv13rocblas_fill_17rocblas_diagonal_T1_iil.private_seg_size, 208
	.set _ZN9rocsolver6v33100L18trti2_kernel_smallILi49EfPKPfEEv13rocblas_fill_17rocblas_diagonal_T1_iil.uses_vcc, 1
	.set _ZN9rocsolver6v33100L18trti2_kernel_smallILi49EfPKPfEEv13rocblas_fill_17rocblas_diagonal_T1_iil.uses_flat_scratch, 0
	.set _ZN9rocsolver6v33100L18trti2_kernel_smallILi49EfPKPfEEv13rocblas_fill_17rocblas_diagonal_T1_iil.has_dyn_sized_stack, 0
	.set _ZN9rocsolver6v33100L18trti2_kernel_smallILi49EfPKPfEEv13rocblas_fill_17rocblas_diagonal_T1_iil.has_recursion, 0
	.set _ZN9rocsolver6v33100L18trti2_kernel_smallILi49EfPKPfEEv13rocblas_fill_17rocblas_diagonal_T1_iil.has_indirect_call, 0
	.section	.AMDGPU.csdata,"",@progbits
; Kernel info:
; codeLenInByte = 23792
; TotalNumSgprs: 66
; NumVgprs: 108
; ScratchSize: 208
; MemoryBound: 0
; FloatMode: 240
; IeeeMode: 1
; LDSByteSize: 404 bytes/workgroup (compile time only)
; SGPRBlocks: 8
; VGPRBlocks: 26
; NumSGPRsForWavesPerEU: 66
; NumVGPRsForWavesPerEU: 108
; Occupancy: 2
; WaveLimiterHint : 1
; COMPUTE_PGM_RSRC2:SCRATCH_EN: 1
; COMPUTE_PGM_RSRC2:USER_SGPR: 6
; COMPUTE_PGM_RSRC2:TRAP_HANDLER: 0
; COMPUTE_PGM_RSRC2:TGID_X_EN: 1
; COMPUTE_PGM_RSRC2:TGID_Y_EN: 0
; COMPUTE_PGM_RSRC2:TGID_Z_EN: 0
; COMPUTE_PGM_RSRC2:TIDIG_COMP_CNT: 0
	.section	.text._ZN9rocsolver6v33100L18trti2_kernel_smallILi50EfPKPfEEv13rocblas_fill_17rocblas_diagonal_T1_iil,"axG",@progbits,_ZN9rocsolver6v33100L18trti2_kernel_smallILi50EfPKPfEEv13rocblas_fill_17rocblas_diagonal_T1_iil,comdat
	.globl	_ZN9rocsolver6v33100L18trti2_kernel_smallILi50EfPKPfEEv13rocblas_fill_17rocblas_diagonal_T1_iil ; -- Begin function _ZN9rocsolver6v33100L18trti2_kernel_smallILi50EfPKPfEEv13rocblas_fill_17rocblas_diagonal_T1_iil
	.p2align	8
	.type	_ZN9rocsolver6v33100L18trti2_kernel_smallILi50EfPKPfEEv13rocblas_fill_17rocblas_diagonal_T1_iil,@function
_ZN9rocsolver6v33100L18trti2_kernel_smallILi50EfPKPfEEv13rocblas_fill_17rocblas_diagonal_T1_iil: ; @_ZN9rocsolver6v33100L18trti2_kernel_smallILi50EfPKPfEEv13rocblas_fill_17rocblas_diagonal_T1_iil
; %bb.0:
	s_add_u32 s0, s0, s7
	s_addc_u32 s1, s1, 0
	v_cmp_gt_u32_e32 vcc, 50, v0
	s_and_saveexec_b64 s[8:9], vcc
	s_cbranch_execz .LBB113_970
; %bb.1:
	s_load_dwordx2 s[12:13], s[4:5], 0x10
	s_load_dwordx4 s[8:11], s[4:5], 0x0
	s_ashr_i32 s7, s6, 31
	s_lshl_b64 s[6:7], s[6:7], 3
	v_lshlrev_b32_e32 v101, 2, v0
	s_waitcnt lgkmcnt(0)
	s_ashr_i32 s5, s12, 31
	s_add_u32 s6, s10, s6
	s_addc_u32 s7, s11, s7
	s_load_dwordx2 s[6:7], s[6:7], 0x0
	s_mov_b32 s4, s12
	s_lshl_b64 s[4:5], s[4:5], 2
	s_movk_i32 s12, 0x84
	s_waitcnt lgkmcnt(0)
	s_add_u32 s4, s6, s4
	s_addc_u32 s5, s7, s5
	v_mov_b32_e32 v2, s5
	v_add_co_u32_e32 v1, vcc, s4, v101
	v_addc_co_u32_e32 v2, vcc, 0, v2, vcc
	flat_load_dword v5, v[1:2]
	s_mov_b32 s6, s13
	s_ashr_i32 s7, s13, 31
	s_lshl_b64 s[6:7], s[6:7], 2
	v_mov_b32_e32 v4, s7
	v_add_co_u32_e32 v3, vcc, s6, v1
	v_addc_co_u32_e32 v4, vcc, v2, v4, vcc
	s_add_i32 s6, s13, s13
	v_add_u32_e32 v7, s6, v0
	v_ashrrev_i32_e32 v8, 31, v7
	v_mov_b32_e32 v10, s5
	v_mov_b32_e32 v12, s5
	;; [unrolled: 1-line block ×47, first 2 shown]
	s_cmpk_lg_i32 s9, 0x84
	s_cselect_b64 s[10:11], -1, 0
	s_cmpk_eq_i32 s9, 0x84
	s_waitcnt vmcnt(0) lgkmcnt(0)
	buffer_store_dword v5, off, s[0:3], 0
	flat_load_dword v9, v[3:4]
	v_lshlrev_b64 v[5:6], 2, v[7:8]
	v_add_co_u32_e32 v5, vcc, s4, v5
	v_addc_co_u32_e32 v6, vcc, v10, v6, vcc
	s_waitcnt vmcnt(0) lgkmcnt(0)
	buffer_store_dword v9, off, s[0:3], 0 offset:4
	flat_load_dword v11, v[5:6]
	v_add_u32_e32 v9, s13, v7
	v_ashrrev_i32_e32 v10, 31, v9
	v_lshlrev_b64 v[7:8], 2, v[9:10]
	v_add_co_u32_e32 v7, vcc, s4, v7
	v_addc_co_u32_e32 v8, vcc, v12, v8, vcc
	s_waitcnt vmcnt(0) lgkmcnt(0)
	buffer_store_dword v11, off, s[0:3], 0 offset:8
	flat_load_dword v13, v[7:8]
	v_add_u32_e32 v11, s13, v9
	v_ashrrev_i32_e32 v12, 31, v11
	;; [unrolled: 8-line block ×46, first 2 shown]
	v_lshlrev_b64 v[97:98], 2, v[99:100]
	v_add_u32_e32 v99, s13, v99
	v_add_co_u32_e32 v97, vcc, s4, v97
	v_addc_co_u32_e32 v98, vcc, v103, v98, vcc
	v_ashrrev_i32_e32 v100, 31, v99
	v_lshlrev_b64 v[99:100], 2, v[99:100]
	v_add_co_u32_e32 v99, vcc, s4, v99
	v_addc_co_u32_e32 v100, vcc, v103, v100, vcc
	s_waitcnt vmcnt(0) lgkmcnt(0)
	buffer_store_dword v102, off, s[0:3], 0 offset:188
	flat_load_dword v102, v[97:98]
	s_waitcnt vmcnt(0) lgkmcnt(0)
	buffer_store_dword v102, off, s[0:3], 0 offset:192
	flat_load_dword v102, v[99:100]
	s_waitcnt vmcnt(0) lgkmcnt(0)
	buffer_store_dword v102, off, s[0:3], 0 offset:196
	v_mov_b32_e32 v102, -1.0
	s_cbranch_scc1 .LBB113_3
; %bb.2:
	v_mov_b32_e32 v102, 0
	v_lshl_add_u32 v102, v0, 2, v102
	buffer_load_dword v103, v102, s[0:3], 0 offen
	s_waitcnt vmcnt(0)
	v_div_scale_f32 v104, s[4:5], v103, v103, 1.0
	v_div_scale_f32 v105, vcc, 1.0, v103, 1.0
	v_rcp_f32_e32 v106, v104
	v_fma_f32 v107, -v104, v106, 1.0
	v_fmac_f32_e32 v106, v107, v106
	v_mul_f32_e32 v107, v105, v106
	v_fma_f32 v108, -v104, v107, v105
	v_fmac_f32_e32 v107, v108, v106
	v_fma_f32 v104, -v104, v107, v105
	v_div_fmas_f32 v104, v104, v106, v107
	v_div_fixup_f32 v103, v104, v103, 1.0
	buffer_store_dword v103, v102, s[0:3], 0 offen
	v_xor_b32_e32 v102, 0x80000000, v103
.LBB113_3:
	ds_write_b32 v101, v102
	s_cmpk_eq_i32 s8, 0x79
	v_add_u32_e32 v102, 0xd0, v101
	v_mov_b32_e32 v103, v101
	s_mov_b64 s[4:5], -1
	s_cbranch_scc1 .LBB113_487
; %bb.4:
	buffer_load_dword v104, off, s[0:3], 0 offset:192
	s_movk_i32 s30, 0x44
	s_movk_i32 s31, 0x48
	;; [unrolled: 1-line block ×30, first 2 shown]
	v_cmp_eq_u32_e64 s[4:5], 49, v0
	s_waitcnt vmcnt(0)
	ds_write_b32 v102, v104
	s_waitcnt lgkmcnt(0)
	; wave barrier
	s_and_saveexec_b64 s[6:7], s[4:5]
	s_cbranch_execz .LBB113_10
; %bb.5:
	s_and_b64 vcc, exec, s[10:11]
	s_cbranch_vccz .LBB113_7
; %bb.6:
	buffer_load_dword v104, v103, s[0:3], 0 offen
	ds_read_b32 v105, v102
	s_waitcnt vmcnt(0) lgkmcnt(0)
	v_mul_f32_e32 v104, v104, v105
	s_cbranch_execz .LBB113_8
	s_branch .LBB113_9
.LBB113_7:
                                        ; implicit-def: $vgpr104
.LBB113_8:
	ds_read_b32 v104, v102
.LBB113_9:
	v_mov_b32_e32 v105, 0
	ds_read_b32 v105, v105 offset:192
	s_waitcnt lgkmcnt(0)
	v_mul_f32_e32 v104, v104, v105
	buffer_store_dword v104, off, s[0:3], 0 offset:192
.LBB113_10:
	s_or_b64 exec, exec, s[6:7]
	buffer_load_dword v104, off, s[0:3], 0 offset:188
	s_or_b32 s14, 0, 4
	s_or_b32 s15, 0, 8
	s_or_b32 s16, 0, 12
	s_mov_b32 s17, 16
	s_mov_b32 s18, 20
	;; [unrolled: 1-line block ×15, first 2 shown]
	v_cmp_lt_u32_e64 s[6:7], 47, v0
	s_waitcnt vmcnt(0)
	ds_write_b32 v102, v104
	s_waitcnt lgkmcnt(0)
	; wave barrier
	s_and_saveexec_b64 s[8:9], s[6:7]
	s_cbranch_execz .LBB113_16
; %bb.11:
	s_andn2_b64 vcc, exec, s[10:11]
	s_cbranch_vccnz .LBB113_13
; %bb.12:
	buffer_load_dword v104, v103, s[0:3], 0 offen
	ds_read_b32 v105, v102
	s_waitcnt vmcnt(0) lgkmcnt(0)
	v_mul_f32_e32 v104, v104, v105
	s_cbranch_execz .LBB113_14
	s_branch .LBB113_15
.LBB113_13:
                                        ; implicit-def: $vgpr104
.LBB113_14:
	ds_read_b32 v104, v102
.LBB113_15:
	buffer_load_dword v107, off, s[0:3], 0 offset:192
	v_mov_b32_e32 v105, 0
	ds_read2_b32 v[105:106], v105 offset0:47 offset1:100
	s_waitcnt vmcnt(0) lgkmcnt(0)
	v_fma_f32 v106, v107, v106, v104
	v_cndmask_b32_e64 v104, v104, v106, s[4:5]
	v_mul_f32_e32 v104, v104, v105
	buffer_store_dword v104, off, s[0:3], 0 offset:188
.LBB113_16:
	s_or_b64 exec, exec, s[8:9]
	buffer_load_dword v104, off, s[0:3], 0 offset:184
	v_cmp_lt_u32_e64 s[4:5], 46, v0
	s_waitcnt vmcnt(0)
	ds_write_b32 v102, v104
	s_waitcnt lgkmcnt(0)
	; wave barrier
	s_and_saveexec_b64 s[8:9], s[4:5]
	s_cbranch_execz .LBB113_26
; %bb.17:
	s_andn2_b64 vcc, exec, s[10:11]
	s_cbranch_vccnz .LBB113_19
; %bb.18:
	buffer_load_dword v104, v103, s[0:3], 0 offen
	ds_read_b32 v105, v102
	s_waitcnt vmcnt(0) lgkmcnt(0)
	v_mul_f32_e32 v104, v104, v105
	s_cbranch_execz .LBB113_20
	s_branch .LBB113_21
.LBB113_19:
                                        ; implicit-def: $vgpr104
.LBB113_20:
	ds_read_b32 v104, v102
.LBB113_21:
	s_and_saveexec_b64 s[12:13], s[6:7]
	s_cbranch_execz .LBB113_25
; %bb.22:
	v_subrev_u32_e32 v105, 47, v0
	s_movk_i32 s62, 0x18c
	s_mov_b64 s[6:7], 0
.LBB113_23:                             ; =>This Inner Loop Header: Depth=1
	v_mov_b32_e32 v106, s61
	buffer_load_dword v106, v106, s[0:3], 0 offen
	v_mov_b32_e32 v107, s62
	ds_read_b32 v107, v107
	v_add_u32_e32 v105, -1, v105
	s_add_i32 s62, s62, 4
	s_add_i32 s61, s61, 4
	v_cmp_eq_u32_e32 vcc, 0, v105
	s_or_b64 s[6:7], vcc, s[6:7]
	s_waitcnt vmcnt(0) lgkmcnt(0)
	v_fmac_f32_e32 v104, v106, v107
	s_andn2_b64 exec, exec, s[6:7]
	s_cbranch_execnz .LBB113_23
; %bb.24:
	s_or_b64 exec, exec, s[6:7]
.LBB113_25:
	s_or_b64 exec, exec, s[12:13]
	v_mov_b32_e32 v105, 0
	ds_read_b32 v105, v105 offset:184
	s_waitcnt lgkmcnt(0)
	v_mul_f32_e32 v104, v104, v105
	buffer_store_dword v104, off, s[0:3], 0 offset:184
.LBB113_26:
	s_or_b64 exec, exec, s[8:9]
	buffer_load_dword v104, off, s[0:3], 0 offset:180
	v_cmp_lt_u32_e64 s[6:7], 45, v0
	s_waitcnt vmcnt(0)
	ds_write_b32 v102, v104
	s_waitcnt lgkmcnt(0)
	; wave barrier
	s_and_saveexec_b64 s[8:9], s[6:7]
	s_cbranch_execz .LBB113_36
; %bb.27:
	s_andn2_b64 vcc, exec, s[10:11]
	s_cbranch_vccnz .LBB113_29
; %bb.28:
	buffer_load_dword v104, v103, s[0:3], 0 offen
	ds_read_b32 v105, v102
	s_waitcnt vmcnt(0) lgkmcnt(0)
	v_mul_f32_e32 v104, v104, v105
	s_cbranch_execz .LBB113_30
	s_branch .LBB113_31
.LBB113_29:
                                        ; implicit-def: $vgpr104
.LBB113_30:
	ds_read_b32 v104, v102
.LBB113_31:
	s_and_saveexec_b64 s[12:13], s[4:5]
	s_cbranch_execz .LBB113_35
; %bb.32:
	v_subrev_u32_e32 v105, 46, v0
	s_movk_i32 s61, 0x188
	s_mov_b64 s[4:5], 0
.LBB113_33:                             ; =>This Inner Loop Header: Depth=1
	v_mov_b32_e32 v106, s60
	buffer_load_dword v106, v106, s[0:3], 0 offen
	v_mov_b32_e32 v107, s61
	ds_read_b32 v107, v107
	v_add_u32_e32 v105, -1, v105
	s_add_i32 s61, s61, 4
	s_add_i32 s60, s60, 4
	v_cmp_eq_u32_e32 vcc, 0, v105
	s_or_b64 s[4:5], vcc, s[4:5]
	s_waitcnt vmcnt(0) lgkmcnt(0)
	v_fmac_f32_e32 v104, v106, v107
	s_andn2_b64 exec, exec, s[4:5]
	s_cbranch_execnz .LBB113_33
; %bb.34:
	s_or_b64 exec, exec, s[4:5]
.LBB113_35:
	s_or_b64 exec, exec, s[12:13]
	v_mov_b32_e32 v105, 0
	ds_read_b32 v105, v105 offset:180
	s_waitcnt lgkmcnt(0)
	v_mul_f32_e32 v104, v104, v105
	buffer_store_dword v104, off, s[0:3], 0 offset:180
.LBB113_36:
	;; [unrolled: 54-line block ×8, first 2 shown]
	s_or_b64 exec, exec, s[8:9]
	buffer_load_dword v104, off, s[0:3], 0 offset:152
	v_cmp_lt_u32_e64 s[4:5], 38, v0
	s_waitcnt vmcnt(0)
	ds_write_b32 v102, v104
	s_waitcnt lgkmcnt(0)
	; wave barrier
	s_and_saveexec_b64 s[8:9], s[4:5]
	s_cbranch_execz .LBB113_106
; %bb.97:
	s_andn2_b64 vcc, exec, s[10:11]
	s_cbranch_vccnz .LBB113_99
; %bb.98:
	buffer_load_dword v104, v103, s[0:3], 0 offen
	ds_read_b32 v105, v102
	s_waitcnt vmcnt(0) lgkmcnt(0)
	v_mul_f32_e32 v104, v104, v105
	s_cbranch_execz .LBB113_100
	s_branch .LBB113_101
.LBB113_99:
                                        ; implicit-def: $vgpr104
.LBB113_100:
	ds_read_b32 v104, v102
.LBB113_101:
	s_and_saveexec_b64 s[12:13], s[6:7]
	s_cbranch_execz .LBB113_105
; %bb.102:
	v_subrev_u32_e32 v105, 39, v0
	s_movk_i32 s54, 0x16c
	s_mov_b64 s[6:7], 0
.LBB113_103:                            ; =>This Inner Loop Header: Depth=1
	v_mov_b32_e32 v106, s53
	buffer_load_dword v106, v106, s[0:3], 0 offen
	v_mov_b32_e32 v107, s54
	ds_read_b32 v107, v107
	v_add_u32_e32 v105, -1, v105
	s_add_i32 s54, s54, 4
	s_add_i32 s53, s53, 4
	v_cmp_eq_u32_e32 vcc, 0, v105
	s_or_b64 s[6:7], vcc, s[6:7]
	s_waitcnt vmcnt(0) lgkmcnt(0)
	v_fmac_f32_e32 v104, v106, v107
	s_andn2_b64 exec, exec, s[6:7]
	s_cbranch_execnz .LBB113_103
; %bb.104:
	s_or_b64 exec, exec, s[6:7]
.LBB113_105:
	s_or_b64 exec, exec, s[12:13]
	v_mov_b32_e32 v105, 0
	ds_read_b32 v105, v105 offset:152
	s_waitcnt lgkmcnt(0)
	v_mul_f32_e32 v104, v104, v105
	buffer_store_dword v104, off, s[0:3], 0 offset:152
.LBB113_106:
	s_or_b64 exec, exec, s[8:9]
	buffer_load_dword v104, off, s[0:3], 0 offset:148
	v_cmp_lt_u32_e64 s[6:7], 37, v0
	s_waitcnt vmcnt(0)
	ds_write_b32 v102, v104
	s_waitcnt lgkmcnt(0)
	; wave barrier
	s_and_saveexec_b64 s[8:9], s[6:7]
	s_cbranch_execz .LBB113_116
; %bb.107:
	s_andn2_b64 vcc, exec, s[10:11]
	s_cbranch_vccnz .LBB113_109
; %bb.108:
	buffer_load_dword v104, v103, s[0:3], 0 offen
	ds_read_b32 v105, v102
	s_waitcnt vmcnt(0) lgkmcnt(0)
	v_mul_f32_e32 v104, v104, v105
	s_cbranch_execz .LBB113_110
	s_branch .LBB113_111
.LBB113_109:
                                        ; implicit-def: $vgpr104
.LBB113_110:
	ds_read_b32 v104, v102
.LBB113_111:
	s_and_saveexec_b64 s[12:13], s[4:5]
	s_cbranch_execz .LBB113_115
; %bb.112:
	v_subrev_u32_e32 v105, 38, v0
	s_movk_i32 s53, 0x168
	s_mov_b64 s[4:5], 0
.LBB113_113:                            ; =>This Inner Loop Header: Depth=1
	v_mov_b32_e32 v106, s52
	buffer_load_dword v106, v106, s[0:3], 0 offen
	v_mov_b32_e32 v107, s53
	ds_read_b32 v107, v107
	v_add_u32_e32 v105, -1, v105
	s_add_i32 s53, s53, 4
	s_add_i32 s52, s52, 4
	v_cmp_eq_u32_e32 vcc, 0, v105
	s_or_b64 s[4:5], vcc, s[4:5]
	s_waitcnt vmcnt(0) lgkmcnt(0)
	v_fmac_f32_e32 v104, v106, v107
	s_andn2_b64 exec, exec, s[4:5]
	s_cbranch_execnz .LBB113_113
; %bb.114:
	s_or_b64 exec, exec, s[4:5]
.LBB113_115:
	s_or_b64 exec, exec, s[12:13]
	v_mov_b32_e32 v105, 0
	ds_read_b32 v105, v105 offset:148
	s_waitcnt lgkmcnt(0)
	v_mul_f32_e32 v104, v104, v105
	buffer_store_dword v104, off, s[0:3], 0 offset:148
.LBB113_116:
	;; [unrolled: 54-line block ×23, first 2 shown]
	s_or_b64 exec, exec, s[8:9]
	buffer_load_dword v104, off, s[0:3], 0 offset:60
	v_cmp_lt_u32_e64 s[6:7], 15, v0
	s_waitcnt vmcnt(0)
	ds_write_b32 v102, v104
	s_waitcnt lgkmcnt(0)
	; wave barrier
	s_and_saveexec_b64 s[8:9], s[6:7]
	s_cbranch_execz .LBB113_336
; %bb.327:
	s_andn2_b64 vcc, exec, s[10:11]
	s_cbranch_vccnz .LBB113_329
; %bb.328:
	buffer_load_dword v104, v103, s[0:3], 0 offen
	ds_read_b32 v105, v102
	s_waitcnt vmcnt(0) lgkmcnt(0)
	v_mul_f32_e32 v104, v104, v105
	s_cbranch_execz .LBB113_330
	s_branch .LBB113_331
.LBB113_329:
                                        ; implicit-def: $vgpr104
.LBB113_330:
	ds_read_b32 v104, v102
.LBB113_331:
	s_and_saveexec_b64 s[12:13], s[4:5]
	s_cbranch_execz .LBB113_335
; %bb.332:
	v_add_u32_e32 v105, -16, v0
	s_movk_i32 s30, 0x110
	s_mov_b64 s[4:5], 0
.LBB113_333:                            ; =>This Inner Loop Header: Depth=1
	v_mov_b32_e32 v106, s29
	buffer_load_dword v106, v106, s[0:3], 0 offen
	v_mov_b32_e32 v107, s30
	ds_read_b32 v107, v107
	v_add_u32_e32 v105, -1, v105
	s_add_i32 s30, s30, 4
	s_add_i32 s29, s29, 4
	v_cmp_eq_u32_e32 vcc, 0, v105
	s_or_b64 s[4:5], vcc, s[4:5]
	s_waitcnt vmcnt(0) lgkmcnt(0)
	v_fmac_f32_e32 v104, v106, v107
	s_andn2_b64 exec, exec, s[4:5]
	s_cbranch_execnz .LBB113_333
; %bb.334:
	s_or_b64 exec, exec, s[4:5]
.LBB113_335:
	s_or_b64 exec, exec, s[12:13]
	v_mov_b32_e32 v105, 0
	ds_read_b32 v105, v105 offset:60
	s_waitcnt lgkmcnt(0)
	v_mul_f32_e32 v104, v104, v105
	buffer_store_dword v104, off, s[0:3], 0 offset:60
.LBB113_336:
	s_or_b64 exec, exec, s[8:9]
	buffer_load_dword v104, off, s[0:3], 0 offset:56
	v_cmp_lt_u32_e64 s[4:5], 14, v0
	s_waitcnt vmcnt(0)
	ds_write_b32 v102, v104
	s_waitcnt lgkmcnt(0)
	; wave barrier
	s_and_saveexec_b64 s[8:9], s[4:5]
	s_cbranch_execz .LBB113_346
; %bb.337:
	s_andn2_b64 vcc, exec, s[10:11]
	s_cbranch_vccnz .LBB113_339
; %bb.338:
	buffer_load_dword v104, v103, s[0:3], 0 offen
	ds_read_b32 v105, v102
	s_waitcnt vmcnt(0) lgkmcnt(0)
	v_mul_f32_e32 v104, v104, v105
	s_cbranch_execz .LBB113_340
	s_branch .LBB113_341
.LBB113_339:
                                        ; implicit-def: $vgpr104
.LBB113_340:
	ds_read_b32 v104, v102
.LBB113_341:
	s_and_saveexec_b64 s[12:13], s[6:7]
	s_cbranch_execz .LBB113_345
; %bb.342:
	v_add_u32_e32 v105, -15, v0
	s_movk_i32 s29, 0x10c
	s_mov_b64 s[6:7], 0
.LBB113_343:                            ; =>This Inner Loop Header: Depth=1
	v_mov_b32_e32 v106, s28
	buffer_load_dword v106, v106, s[0:3], 0 offen
	v_mov_b32_e32 v107, s29
	ds_read_b32 v107, v107
	v_add_u32_e32 v105, -1, v105
	s_add_i32 s29, s29, 4
	s_add_i32 s28, s28, 4
	v_cmp_eq_u32_e32 vcc, 0, v105
	s_or_b64 s[6:7], vcc, s[6:7]
	s_waitcnt vmcnt(0) lgkmcnt(0)
	v_fmac_f32_e32 v104, v106, v107
	s_andn2_b64 exec, exec, s[6:7]
	s_cbranch_execnz .LBB113_343
; %bb.344:
	s_or_b64 exec, exec, s[6:7]
.LBB113_345:
	s_or_b64 exec, exec, s[12:13]
	v_mov_b32_e32 v105, 0
	ds_read_b32 v105, v105 offset:56
	s_waitcnt lgkmcnt(0)
	v_mul_f32_e32 v104, v104, v105
	buffer_store_dword v104, off, s[0:3], 0 offset:56
.LBB113_346:
	;; [unrolled: 54-line block ×15, first 2 shown]
	s_or_b64 exec, exec, s[8:9]
	buffer_load_dword v104, off, s[0:3], 0
	v_cmp_ne_u32_e32 vcc, 0, v0
	s_waitcnt vmcnt(0)
	ds_write_b32 v102, v104
	s_waitcnt lgkmcnt(0)
	; wave barrier
	s_and_saveexec_b64 s[4:5], vcc
	s_cbranch_execz .LBB113_486
; %bb.477:
	s_andn2_b64 vcc, exec, s[10:11]
	s_cbranch_vccnz .LBB113_479
; %bb.478:
	buffer_load_dword v104, v103, s[0:3], 0 offen
	ds_read_b32 v105, v102
	s_waitcnt vmcnt(0) lgkmcnt(0)
	v_mul_f32_e32 v104, v104, v105
	s_cbranch_execz .LBB113_480
	s_branch .LBB113_481
.LBB113_479:
                                        ; implicit-def: $vgpr104
.LBB113_480:
	ds_read_b32 v104, v102
.LBB113_481:
	s_and_saveexec_b64 s[8:9], s[6:7]
	s_cbranch_execz .LBB113_485
; %bb.482:
	v_add_u32_e32 v105, -1, v0
	s_movk_i32 s12, 0xd4
	s_mov_b64 s[6:7], 0
.LBB113_483:                            ; =>This Inner Loop Header: Depth=1
	v_mov_b32_e32 v106, s14
	buffer_load_dword v106, v106, s[0:3], 0 offen
	v_mov_b32_e32 v107, s12
	ds_read_b32 v107, v107
	v_add_u32_e32 v105, -1, v105
	s_add_i32 s12, s12, 4
	s_add_i32 s14, s14, 4
	v_cmp_eq_u32_e32 vcc, 0, v105
	s_or_b64 s[6:7], vcc, s[6:7]
	s_waitcnt vmcnt(0) lgkmcnt(0)
	v_fmac_f32_e32 v104, v106, v107
	s_andn2_b64 exec, exec, s[6:7]
	s_cbranch_execnz .LBB113_483
; %bb.484:
	s_or_b64 exec, exec, s[6:7]
.LBB113_485:
	s_or_b64 exec, exec, s[8:9]
	v_mov_b32_e32 v105, 0
	ds_read_b32 v105, v105
	s_waitcnt lgkmcnt(0)
	v_mul_f32_e32 v104, v104, v105
	buffer_store_dword v104, off, s[0:3], 0
.LBB113_486:
	s_or_b64 exec, exec, s[4:5]
	s_mov_b64 s[4:5], 0
.LBB113_487:
	s_and_b64 vcc, exec, s[4:5]
	s_cbranch_vccz .LBB113_969
; %bb.488:
	buffer_load_dword v104, off, s[0:3], 0 offset:4
	v_cmp_eq_u32_e64 s[6:7], 0, v0
	s_waitcnt vmcnt(0)
	ds_write_b32 v102, v104
	s_waitcnt lgkmcnt(0)
	; wave barrier
	s_and_saveexec_b64 s[4:5], s[6:7]
	s_cbranch_execz .LBB113_494
; %bb.489:
	s_and_b64 vcc, exec, s[10:11]
	s_cbranch_vccz .LBB113_491
; %bb.490:
	buffer_load_dword v104, v103, s[0:3], 0 offen
	ds_read_b32 v105, v102
	s_waitcnt vmcnt(0) lgkmcnt(0)
	v_mul_f32_e32 v104, v104, v105
	s_cbranch_execz .LBB113_492
	s_branch .LBB113_493
.LBB113_491:
                                        ; implicit-def: $vgpr104
.LBB113_492:
	ds_read_b32 v104, v102
.LBB113_493:
	v_mov_b32_e32 v105, 0
	ds_read_b32 v105, v105 offset:4
	s_waitcnt lgkmcnt(0)
	v_mul_f32_e32 v104, v104, v105
	buffer_store_dword v104, off, s[0:3], 0 offset:4
.LBB113_494:
	s_or_b64 exec, exec, s[4:5]
	buffer_load_dword v104, off, s[0:3], 0 offset:8
	v_cndmask_b32_e64 v105, 0, 1, s[10:11]
	v_cmp_gt_u32_e32 vcc, 2, v0
	v_cmp_ne_u32_e64 s[4:5], 1, v105
	s_waitcnt vmcnt(0)
	ds_write_b32 v102, v104
	s_waitcnt lgkmcnt(0)
	; wave barrier
	s_and_saveexec_b64 s[8:9], vcc
	s_cbranch_execz .LBB113_500
; %bb.495:
	s_and_b64 vcc, exec, s[4:5]
	s_cbranch_vccnz .LBB113_497
; %bb.496:
	buffer_load_dword v104, v103, s[0:3], 0 offen
	ds_read_b32 v105, v102
	s_waitcnt vmcnt(0) lgkmcnt(0)
	v_mul_f32_e32 v104, v104, v105
	s_cbranch_execz .LBB113_498
	s_branch .LBB113_499
.LBB113_497:
                                        ; implicit-def: $vgpr104
.LBB113_498:
	ds_read_b32 v104, v102
.LBB113_499:
	buffer_load_dword v107, off, s[0:3], 0 offset:4
	v_mov_b32_e32 v105, 0
	ds_read2_b32 v[105:106], v105 offset0:2 offset1:53
	s_waitcnt vmcnt(0) lgkmcnt(0)
	v_fma_f32 v106, v107, v106, v104
	v_cndmask_b32_e64 v104, v104, v106, s[6:7]
	v_mul_f32_e32 v104, v104, v105
	buffer_store_dword v104, off, s[0:3], 0 offset:8
.LBB113_500:
	s_or_b64 exec, exec, s[8:9]
	buffer_load_dword v104, off, s[0:3], 0 offset:12
	v_cmp_gt_u32_e32 vcc, 3, v0
	s_waitcnt vmcnt(0)
	ds_write_b32 v102, v104
	s_waitcnt lgkmcnt(0)
	; wave barrier
	s_and_saveexec_b64 s[8:9], vcc
	s_cbranch_execz .LBB113_508
; %bb.501:
	s_and_b64 vcc, exec, s[4:5]
	s_cbranch_vccnz .LBB113_503
; %bb.502:
	buffer_load_dword v104, v103, s[0:3], 0 offen
	ds_read_b32 v105, v102
	s_waitcnt vmcnt(0) lgkmcnt(0)
	v_mul_f32_e32 v104, v104, v105
	s_cbranch_execz .LBB113_504
	s_branch .LBB113_505
.LBB113_503:
                                        ; implicit-def: $vgpr104
.LBB113_504:
	ds_read_b32 v104, v102
.LBB113_505:
	v_cmp_ne_u32_e32 vcc, 2, v0
	s_and_saveexec_b64 s[10:11], vcc
	s_cbranch_execz .LBB113_507
; %bb.506:
	buffer_load_dword v105, v103, s[0:3], 0 offen offset:4
	buffer_load_dword v106, off, s[0:3], 0 offset:8
	v_mov_b32_e32 v107, 0
	ds_read_b32 v108, v102 offset:4
	ds_read_b32 v107, v107 offset:216
	s_waitcnt vmcnt(1) lgkmcnt(1)
	v_fmac_f32_e32 v104, v105, v108
	s_waitcnt vmcnt(0) lgkmcnt(0)
	v_fma_f32 v105, v106, v107, v104
	v_cndmask_b32_e64 v104, v104, v105, s[6:7]
.LBB113_507:
	s_or_b64 exec, exec, s[10:11]
	v_mov_b32_e32 v105, 0
	ds_read_b32 v105, v105 offset:12
	s_waitcnt lgkmcnt(0)
	v_mul_f32_e32 v104, v104, v105
	buffer_store_dword v104, off, s[0:3], 0 offset:12
.LBB113_508:
	s_or_b64 exec, exec, s[8:9]
	buffer_load_dword v104, off, s[0:3], 0 offset:16
	v_cmp_gt_u32_e32 vcc, 4, v0
	s_waitcnt vmcnt(0)
	ds_write_b32 v102, v104
	s_waitcnt lgkmcnt(0)
	; wave barrier
	s_and_saveexec_b64 s[6:7], vcc
	s_cbranch_execz .LBB113_518
; %bb.509:
	s_and_b64 vcc, exec, s[4:5]
	s_cbranch_vccnz .LBB113_511
; %bb.510:
	buffer_load_dword v104, v103, s[0:3], 0 offen
	ds_read_b32 v105, v102
	s_waitcnt vmcnt(0) lgkmcnt(0)
	v_mul_f32_e32 v104, v104, v105
	s_cbranch_execz .LBB113_512
	s_branch .LBB113_513
.LBB113_511:
                                        ; implicit-def: $vgpr104
.LBB113_512:
	ds_read_b32 v104, v102
.LBB113_513:
	v_cmp_ne_u32_e32 vcc, 3, v0
	s_and_saveexec_b64 s[8:9], vcc
	s_cbranch_execz .LBB113_517
; %bb.514:
	s_mov_b32 s10, 0
	v_add_u32_e32 v105, 0xd4, v101
	v_add3_u32 v106, v101, s10, 4
	s_mov_b64 s[10:11], 0
	v_mov_b32_e32 v107, v0
.LBB113_515:                            ; =>This Inner Loop Header: Depth=1
	buffer_load_dword v108, v106, s[0:3], 0 offen
	ds_read_b32 v109, v105
	v_add_u32_e32 v107, 1, v107
	v_cmp_lt_u32_e32 vcc, 2, v107
	v_add_u32_e32 v105, 4, v105
	v_add_u32_e32 v106, 4, v106
	s_or_b64 s[10:11], vcc, s[10:11]
	s_waitcnt vmcnt(0) lgkmcnt(0)
	v_fmac_f32_e32 v104, v108, v109
	s_andn2_b64 exec, exec, s[10:11]
	s_cbranch_execnz .LBB113_515
; %bb.516:
	s_or_b64 exec, exec, s[10:11]
.LBB113_517:
	s_or_b64 exec, exec, s[8:9]
	v_mov_b32_e32 v105, 0
	ds_read_b32 v105, v105 offset:16
	s_waitcnt lgkmcnt(0)
	v_mul_f32_e32 v104, v104, v105
	buffer_store_dword v104, off, s[0:3], 0 offset:16
.LBB113_518:
	s_or_b64 exec, exec, s[6:7]
	buffer_load_dword v104, off, s[0:3], 0 offset:20
	v_cmp_gt_u32_e32 vcc, 5, v0
	s_waitcnt vmcnt(0)
	ds_write_b32 v102, v104
	s_waitcnt lgkmcnt(0)
	; wave barrier
	s_and_saveexec_b64 s[6:7], vcc
	s_cbranch_execz .LBB113_528
; %bb.519:
	s_and_b64 vcc, exec, s[4:5]
	s_cbranch_vccnz .LBB113_521
; %bb.520:
	buffer_load_dword v104, v103, s[0:3], 0 offen
	ds_read_b32 v105, v102
	s_waitcnt vmcnt(0) lgkmcnt(0)
	v_mul_f32_e32 v104, v104, v105
	s_cbranch_execz .LBB113_522
	s_branch .LBB113_523
.LBB113_521:
                                        ; implicit-def: $vgpr104
.LBB113_522:
	ds_read_b32 v104, v102
.LBB113_523:
	v_cmp_ne_u32_e32 vcc, 4, v0
	s_and_saveexec_b64 s[8:9], vcc
	s_cbranch_execz .LBB113_527
; %bb.524:
	s_mov_b32 s10, 0
	v_add_u32_e32 v105, 0xd4, v101
	v_add3_u32 v106, v101, s10, 4
	s_mov_b64 s[10:11], 0
	v_mov_b32_e32 v107, v0
.LBB113_525:                            ; =>This Inner Loop Header: Depth=1
	buffer_load_dword v108, v106, s[0:3], 0 offen
	ds_read_b32 v109, v105
	v_add_u32_e32 v107, 1, v107
	v_cmp_lt_u32_e32 vcc, 3, v107
	v_add_u32_e32 v105, 4, v105
	v_add_u32_e32 v106, 4, v106
	s_or_b64 s[10:11], vcc, s[10:11]
	s_waitcnt vmcnt(0) lgkmcnt(0)
	v_fmac_f32_e32 v104, v108, v109
	s_andn2_b64 exec, exec, s[10:11]
	s_cbranch_execnz .LBB113_525
; %bb.526:
	s_or_b64 exec, exec, s[10:11]
.LBB113_527:
	s_or_b64 exec, exec, s[8:9]
	v_mov_b32_e32 v105, 0
	ds_read_b32 v105, v105 offset:20
	s_waitcnt lgkmcnt(0)
	v_mul_f32_e32 v104, v104, v105
	buffer_store_dword v104, off, s[0:3], 0 offset:20
.LBB113_528:
	;; [unrolled: 55-line block ×44, first 2 shown]
	s_or_b64 exec, exec, s[6:7]
	buffer_load_dword v104, off, s[0:3], 0 offset:192
	v_cmp_gt_u32_e64 s[6:7], 48, v0
	s_waitcnt vmcnt(0)
	ds_write_b32 v102, v104
	s_waitcnt lgkmcnt(0)
	; wave barrier
	s_and_saveexec_b64 s[8:9], s[6:7]
	s_cbranch_execz .LBB113_958
; %bb.949:
	s_and_b64 vcc, exec, s[4:5]
	s_cbranch_vccnz .LBB113_951
; %bb.950:
	buffer_load_dword v104, v103, s[0:3], 0 offen
	ds_read_b32 v105, v102
	s_waitcnt vmcnt(0) lgkmcnt(0)
	v_mul_f32_e32 v104, v104, v105
	s_cbranch_execz .LBB113_952
	s_branch .LBB113_953
.LBB113_951:
                                        ; implicit-def: $vgpr104
.LBB113_952:
	ds_read_b32 v104, v102
.LBB113_953:
	v_cmp_ne_u32_e32 vcc, 47, v0
	s_and_saveexec_b64 s[10:11], vcc
	s_cbranch_execz .LBB113_957
; %bb.954:
	s_mov_b32 s12, 0
	v_add_u32_e32 v105, 0xd4, v101
	v_add3_u32 v106, v101, s12, 4
	s_mov_b64 s[12:13], 0
	v_mov_b32_e32 v107, v0
.LBB113_955:                            ; =>This Inner Loop Header: Depth=1
	buffer_load_dword v108, v106, s[0:3], 0 offen
	ds_read_b32 v109, v105
	v_add_u32_e32 v107, 1, v107
	v_cmp_lt_u32_e32 vcc, 46, v107
	v_add_u32_e32 v105, 4, v105
	v_add_u32_e32 v106, 4, v106
	s_or_b64 s[12:13], vcc, s[12:13]
	s_waitcnt vmcnt(0) lgkmcnt(0)
	v_fmac_f32_e32 v104, v108, v109
	s_andn2_b64 exec, exec, s[12:13]
	s_cbranch_execnz .LBB113_955
; %bb.956:
	s_or_b64 exec, exec, s[12:13]
.LBB113_957:
	s_or_b64 exec, exec, s[10:11]
	v_mov_b32_e32 v105, 0
	ds_read_b32 v105, v105 offset:192
	s_waitcnt lgkmcnt(0)
	v_mul_f32_e32 v104, v104, v105
	buffer_store_dword v104, off, s[0:3], 0 offset:192
.LBB113_958:
	s_or_b64 exec, exec, s[8:9]
	buffer_load_dword v104, off, s[0:3], 0 offset:196
	v_cmp_ne_u32_e32 vcc, 49, v0
	s_waitcnt vmcnt(0)
	ds_write_b32 v102, v104
	s_waitcnt lgkmcnt(0)
	; wave barrier
	s_and_saveexec_b64 s[8:9], vcc
	s_cbranch_execz .LBB113_968
; %bb.959:
	s_and_b64 vcc, exec, s[4:5]
	s_cbranch_vccnz .LBB113_961
; %bb.960:
	buffer_load_dword v103, v103, s[0:3], 0 offen
	ds_read_b32 v104, v102
	s_waitcnt vmcnt(0) lgkmcnt(0)
	v_mul_f32_e32 v103, v103, v104
	s_cbranch_execz .LBB113_962
	s_branch .LBB113_963
.LBB113_961:
                                        ; implicit-def: $vgpr103
.LBB113_962:
	ds_read_b32 v103, v102
.LBB113_963:
	s_and_saveexec_b64 s[4:5], s[6:7]
	s_cbranch_execz .LBB113_967
; %bb.964:
	s_mov_b32 s6, 0
	v_add_u32_e32 v102, 0xd4, v101
	v_add3_u32 v101, v101, s6, 4
	s_mov_b64 s[6:7], 0
.LBB113_965:                            ; =>This Inner Loop Header: Depth=1
	buffer_load_dword v104, v101, s[0:3], 0 offen
	ds_read_b32 v105, v102
	v_add_u32_e32 v0, 1, v0
	v_cmp_lt_u32_e32 vcc, 47, v0
	v_add_u32_e32 v102, 4, v102
	v_add_u32_e32 v101, 4, v101
	s_or_b64 s[6:7], vcc, s[6:7]
	s_waitcnt vmcnt(0) lgkmcnt(0)
	v_fmac_f32_e32 v103, v104, v105
	s_andn2_b64 exec, exec, s[6:7]
	s_cbranch_execnz .LBB113_965
; %bb.966:
	s_or_b64 exec, exec, s[6:7]
.LBB113_967:
	s_or_b64 exec, exec, s[4:5]
	v_mov_b32_e32 v0, 0
	ds_read_b32 v0, v0 offset:196
	s_waitcnt lgkmcnt(0)
	v_mul_f32_e32 v0, v103, v0
	buffer_store_dword v0, off, s[0:3], 0 offset:196
.LBB113_968:
	s_or_b64 exec, exec, s[8:9]
.LBB113_969:
	buffer_load_dword v0, off, s[0:3], 0
	s_waitcnt vmcnt(0)
	flat_store_dword v[1:2], v0
	buffer_load_dword v0, off, s[0:3], 0 offset:4
	s_waitcnt vmcnt(0)
	flat_store_dword v[3:4], v0
	buffer_load_dword v0, off, s[0:3], 0 offset:8
	;; [unrolled: 3-line block ×49, first 2 shown]
	s_waitcnt vmcnt(0)
	flat_store_dword v[99:100], v0
.LBB113_970:
	s_endpgm
	.section	.rodata,"a",@progbits
	.p2align	6, 0x0
	.amdhsa_kernel _ZN9rocsolver6v33100L18trti2_kernel_smallILi50EfPKPfEEv13rocblas_fill_17rocblas_diagonal_T1_iil
		.amdhsa_group_segment_fixed_size 408
		.amdhsa_private_segment_fixed_size 208
		.amdhsa_kernarg_size 32
		.amdhsa_user_sgpr_count 6
		.amdhsa_user_sgpr_private_segment_buffer 1
		.amdhsa_user_sgpr_dispatch_ptr 0
		.amdhsa_user_sgpr_queue_ptr 0
		.amdhsa_user_sgpr_kernarg_segment_ptr 1
		.amdhsa_user_sgpr_dispatch_id 0
		.amdhsa_user_sgpr_flat_scratch_init 0
		.amdhsa_user_sgpr_private_segment_size 0
		.amdhsa_uses_dynamic_stack 0
		.amdhsa_system_sgpr_private_segment_wavefront_offset 1
		.amdhsa_system_sgpr_workgroup_id_x 1
		.amdhsa_system_sgpr_workgroup_id_y 0
		.amdhsa_system_sgpr_workgroup_id_z 0
		.amdhsa_system_sgpr_workgroup_info 0
		.amdhsa_system_vgpr_workitem_id 0
		.amdhsa_next_free_vgpr 110
		.amdhsa_next_free_sgpr 63
		.amdhsa_reserve_vcc 1
		.amdhsa_reserve_flat_scratch 0
		.amdhsa_float_round_mode_32 0
		.amdhsa_float_round_mode_16_64 0
		.amdhsa_float_denorm_mode_32 3
		.amdhsa_float_denorm_mode_16_64 3
		.amdhsa_dx10_clamp 1
		.amdhsa_ieee_mode 1
		.amdhsa_fp16_overflow 0
		.amdhsa_exception_fp_ieee_invalid_op 0
		.amdhsa_exception_fp_denorm_src 0
		.amdhsa_exception_fp_ieee_div_zero 0
		.amdhsa_exception_fp_ieee_overflow 0
		.amdhsa_exception_fp_ieee_underflow 0
		.amdhsa_exception_fp_ieee_inexact 0
		.amdhsa_exception_int_div_zero 0
	.end_amdhsa_kernel
	.section	.text._ZN9rocsolver6v33100L18trti2_kernel_smallILi50EfPKPfEEv13rocblas_fill_17rocblas_diagonal_T1_iil,"axG",@progbits,_ZN9rocsolver6v33100L18trti2_kernel_smallILi50EfPKPfEEv13rocblas_fill_17rocblas_diagonal_T1_iil,comdat
.Lfunc_end113:
	.size	_ZN9rocsolver6v33100L18trti2_kernel_smallILi50EfPKPfEEv13rocblas_fill_17rocblas_diagonal_T1_iil, .Lfunc_end113-_ZN9rocsolver6v33100L18trti2_kernel_smallILi50EfPKPfEEv13rocblas_fill_17rocblas_diagonal_T1_iil
                                        ; -- End function
	.set _ZN9rocsolver6v33100L18trti2_kernel_smallILi50EfPKPfEEv13rocblas_fill_17rocblas_diagonal_T1_iil.num_vgpr, 110
	.set _ZN9rocsolver6v33100L18trti2_kernel_smallILi50EfPKPfEEv13rocblas_fill_17rocblas_diagonal_T1_iil.num_agpr, 0
	.set _ZN9rocsolver6v33100L18trti2_kernel_smallILi50EfPKPfEEv13rocblas_fill_17rocblas_diagonal_T1_iil.numbered_sgpr, 63
	.set _ZN9rocsolver6v33100L18trti2_kernel_smallILi50EfPKPfEEv13rocblas_fill_17rocblas_diagonal_T1_iil.num_named_barrier, 0
	.set _ZN9rocsolver6v33100L18trti2_kernel_smallILi50EfPKPfEEv13rocblas_fill_17rocblas_diagonal_T1_iil.private_seg_size, 208
	.set _ZN9rocsolver6v33100L18trti2_kernel_smallILi50EfPKPfEEv13rocblas_fill_17rocblas_diagonal_T1_iil.uses_vcc, 1
	.set _ZN9rocsolver6v33100L18trti2_kernel_smallILi50EfPKPfEEv13rocblas_fill_17rocblas_diagonal_T1_iil.uses_flat_scratch, 0
	.set _ZN9rocsolver6v33100L18trti2_kernel_smallILi50EfPKPfEEv13rocblas_fill_17rocblas_diagonal_T1_iil.has_dyn_sized_stack, 0
	.set _ZN9rocsolver6v33100L18trti2_kernel_smallILi50EfPKPfEEv13rocblas_fill_17rocblas_diagonal_T1_iil.has_recursion, 0
	.set _ZN9rocsolver6v33100L18trti2_kernel_smallILi50EfPKPfEEv13rocblas_fill_17rocblas_diagonal_T1_iil.has_indirect_call, 0
	.section	.AMDGPU.csdata,"",@progbits
; Kernel info:
; codeLenInByte = 24288
; TotalNumSgprs: 67
; NumVgprs: 110
; ScratchSize: 208
; MemoryBound: 0
; FloatMode: 240
; IeeeMode: 1
; LDSByteSize: 408 bytes/workgroup (compile time only)
; SGPRBlocks: 8
; VGPRBlocks: 27
; NumSGPRsForWavesPerEU: 67
; NumVGPRsForWavesPerEU: 110
; Occupancy: 2
; WaveLimiterHint : 1
; COMPUTE_PGM_RSRC2:SCRATCH_EN: 1
; COMPUTE_PGM_RSRC2:USER_SGPR: 6
; COMPUTE_PGM_RSRC2:TRAP_HANDLER: 0
; COMPUTE_PGM_RSRC2:TGID_X_EN: 1
; COMPUTE_PGM_RSRC2:TGID_Y_EN: 0
; COMPUTE_PGM_RSRC2:TGID_Z_EN: 0
; COMPUTE_PGM_RSRC2:TIDIG_COMP_CNT: 0
	.section	.text._ZN9rocsolver6v33100L18trti2_kernel_smallILi51EfPKPfEEv13rocblas_fill_17rocblas_diagonal_T1_iil,"axG",@progbits,_ZN9rocsolver6v33100L18trti2_kernel_smallILi51EfPKPfEEv13rocblas_fill_17rocblas_diagonal_T1_iil,comdat
	.globl	_ZN9rocsolver6v33100L18trti2_kernel_smallILi51EfPKPfEEv13rocblas_fill_17rocblas_diagonal_T1_iil ; -- Begin function _ZN9rocsolver6v33100L18trti2_kernel_smallILi51EfPKPfEEv13rocblas_fill_17rocblas_diagonal_T1_iil
	.p2align	8
	.type	_ZN9rocsolver6v33100L18trti2_kernel_smallILi51EfPKPfEEv13rocblas_fill_17rocblas_diagonal_T1_iil,@function
_ZN9rocsolver6v33100L18trti2_kernel_smallILi51EfPKPfEEv13rocblas_fill_17rocblas_diagonal_T1_iil: ; @_ZN9rocsolver6v33100L18trti2_kernel_smallILi51EfPKPfEEv13rocblas_fill_17rocblas_diagonal_T1_iil
; %bb.0:
	s_add_u32 s0, s0, s7
	s_addc_u32 s1, s1, 0
	v_cmp_gt_u32_e32 vcc, 51, v0
	s_and_saveexec_b64 s[8:9], vcc
	s_cbranch_execz .LBB114_990
; %bb.1:
	s_load_dwordx2 s[12:13], s[4:5], 0x10
	s_load_dwordx4 s[8:11], s[4:5], 0x0
	s_ashr_i32 s7, s6, 31
	s_lshl_b64 s[6:7], s[6:7], 3
	v_lshlrev_b32_e32 v103, 2, v0
	s_waitcnt lgkmcnt(0)
	s_ashr_i32 s5, s12, 31
	s_add_u32 s6, s10, s6
	s_addc_u32 s7, s11, s7
	s_load_dwordx2 s[6:7], s[6:7], 0x0
	s_mov_b32 s4, s12
	s_lshl_b64 s[4:5], s[4:5], 2
	s_movk_i32 s12, 0x84
	s_waitcnt lgkmcnt(0)
	s_add_u32 s4, s6, s4
	s_addc_u32 s5, s7, s5
	v_mov_b32_e32 v2, s5
	v_add_co_u32_e32 v1, vcc, s4, v103
	v_addc_co_u32_e32 v2, vcc, 0, v2, vcc
	flat_load_dword v5, v[1:2]
	s_mov_b32 s6, s13
	s_ashr_i32 s7, s13, 31
	s_lshl_b64 s[6:7], s[6:7], 2
	v_mov_b32_e32 v4, s7
	v_add_co_u32_e32 v3, vcc, s6, v1
	v_addc_co_u32_e32 v4, vcc, v2, v4, vcc
	s_add_i32 s6, s13, s13
	v_add_u32_e32 v7, s6, v0
	v_ashrrev_i32_e32 v8, 31, v7
	v_mov_b32_e32 v10, s5
	v_mov_b32_e32 v12, s5
	;; [unrolled: 1-line block ×48, first 2 shown]
	s_cmpk_lg_i32 s9, 0x84
	s_cselect_b64 s[10:11], -1, 0
	s_cmpk_eq_i32 s9, 0x84
	s_waitcnt vmcnt(0) lgkmcnt(0)
	buffer_store_dword v5, off, s[0:3], 0
	flat_load_dword v9, v[3:4]
	v_lshlrev_b64 v[5:6], 2, v[7:8]
	v_add_co_u32_e32 v5, vcc, s4, v5
	v_addc_co_u32_e32 v6, vcc, v10, v6, vcc
	s_waitcnt vmcnt(0) lgkmcnt(0)
	buffer_store_dword v9, off, s[0:3], 0 offset:4
	flat_load_dword v11, v[5:6]
	v_add_u32_e32 v9, s13, v7
	v_ashrrev_i32_e32 v10, 31, v9
	v_lshlrev_b64 v[7:8], 2, v[9:10]
	v_add_co_u32_e32 v7, vcc, s4, v7
	v_addc_co_u32_e32 v8, vcc, v12, v8, vcc
	s_waitcnt vmcnt(0) lgkmcnt(0)
	buffer_store_dword v11, off, s[0:3], 0 offset:8
	flat_load_dword v13, v[7:8]
	v_add_u32_e32 v11, s13, v9
	v_ashrrev_i32_e32 v12, 31, v11
	v_lshlrev_b64 v[9:10], 2, v[11:12]
	v_add_co_u32_e32 v9, vcc, s4, v9
	v_addc_co_u32_e32 v10, vcc, v14, v10, vcc
	s_waitcnt vmcnt(0) lgkmcnt(0)
	buffer_store_dword v13, off, s[0:3], 0 offset:12
	flat_load_dword v15, v[9:10]
	v_add_u32_e32 v13, s13, v11
	v_ashrrev_i32_e32 v14, 31, v13
	v_lshlrev_b64 v[11:12], 2, v[13:14]
	v_add_co_u32_e32 v11, vcc, s4, v11
	v_addc_co_u32_e32 v12, vcc, v16, v12, vcc
	s_waitcnt vmcnt(0) lgkmcnt(0)
	buffer_store_dword v15, off, s[0:3], 0 offset:16
	flat_load_dword v17, v[11:12]
	v_add_u32_e32 v15, s13, v13
	v_ashrrev_i32_e32 v16, 31, v15
	v_lshlrev_b64 v[13:14], 2, v[15:16]
	v_add_co_u32_e32 v13, vcc, s4, v13
	v_addc_co_u32_e32 v14, vcc, v18, v14, vcc
	s_waitcnt vmcnt(0) lgkmcnt(0)
	buffer_store_dword v17, off, s[0:3], 0 offset:20
	flat_load_dword v19, v[13:14]
	v_add_u32_e32 v17, s13, v15
	v_ashrrev_i32_e32 v18, 31, v17
	v_lshlrev_b64 v[15:16], 2, v[17:18]
	v_add_co_u32_e32 v15, vcc, s4, v15
	v_addc_co_u32_e32 v16, vcc, v20, v16, vcc
	s_waitcnt vmcnt(0) lgkmcnt(0)
	buffer_store_dword v19, off, s[0:3], 0 offset:24
	flat_load_dword v21, v[15:16]
	v_add_u32_e32 v19, s13, v17
	v_ashrrev_i32_e32 v20, 31, v19
	v_lshlrev_b64 v[17:18], 2, v[19:20]
	v_add_co_u32_e32 v17, vcc, s4, v17
	v_addc_co_u32_e32 v18, vcc, v22, v18, vcc
	s_waitcnt vmcnt(0) lgkmcnt(0)
	buffer_store_dword v21, off, s[0:3], 0 offset:28
	flat_load_dword v23, v[17:18]
	v_add_u32_e32 v21, s13, v19
	v_ashrrev_i32_e32 v22, 31, v21
	v_lshlrev_b64 v[19:20], 2, v[21:22]
	v_add_co_u32_e32 v19, vcc, s4, v19
	v_addc_co_u32_e32 v20, vcc, v24, v20, vcc
	s_waitcnt vmcnt(0) lgkmcnt(0)
	buffer_store_dword v23, off, s[0:3], 0 offset:32
	flat_load_dword v25, v[19:20]
	v_add_u32_e32 v23, s13, v21
	v_ashrrev_i32_e32 v24, 31, v23
	v_lshlrev_b64 v[21:22], 2, v[23:24]
	v_add_co_u32_e32 v21, vcc, s4, v21
	v_addc_co_u32_e32 v22, vcc, v26, v22, vcc
	s_waitcnt vmcnt(0) lgkmcnt(0)
	buffer_store_dword v25, off, s[0:3], 0 offset:36
	flat_load_dword v27, v[21:22]
	v_add_u32_e32 v25, s13, v23
	v_ashrrev_i32_e32 v26, 31, v25
	v_lshlrev_b64 v[23:24], 2, v[25:26]
	v_add_co_u32_e32 v23, vcc, s4, v23
	v_addc_co_u32_e32 v24, vcc, v28, v24, vcc
	s_waitcnt vmcnt(0) lgkmcnt(0)
	buffer_store_dword v27, off, s[0:3], 0 offset:40
	flat_load_dword v29, v[23:24]
	v_add_u32_e32 v27, s13, v25
	v_ashrrev_i32_e32 v28, 31, v27
	v_lshlrev_b64 v[25:26], 2, v[27:28]
	v_add_co_u32_e32 v25, vcc, s4, v25
	v_addc_co_u32_e32 v26, vcc, v30, v26, vcc
	s_waitcnt vmcnt(0) lgkmcnt(0)
	buffer_store_dword v29, off, s[0:3], 0 offset:44
	flat_load_dword v31, v[25:26]
	v_add_u32_e32 v29, s13, v27
	v_ashrrev_i32_e32 v30, 31, v29
	v_lshlrev_b64 v[27:28], 2, v[29:30]
	v_add_co_u32_e32 v27, vcc, s4, v27
	v_addc_co_u32_e32 v28, vcc, v32, v28, vcc
	s_waitcnt vmcnt(0) lgkmcnt(0)
	buffer_store_dword v31, off, s[0:3], 0 offset:48
	flat_load_dword v33, v[27:28]
	v_add_u32_e32 v31, s13, v29
	v_ashrrev_i32_e32 v32, 31, v31
	v_lshlrev_b64 v[29:30], 2, v[31:32]
	v_add_co_u32_e32 v29, vcc, s4, v29
	v_addc_co_u32_e32 v30, vcc, v34, v30, vcc
	s_waitcnt vmcnt(0) lgkmcnt(0)
	buffer_store_dword v33, off, s[0:3], 0 offset:52
	flat_load_dword v35, v[29:30]
	v_add_u32_e32 v33, s13, v31
	v_ashrrev_i32_e32 v34, 31, v33
	v_lshlrev_b64 v[31:32], 2, v[33:34]
	v_add_co_u32_e32 v31, vcc, s4, v31
	v_addc_co_u32_e32 v32, vcc, v36, v32, vcc
	s_waitcnt vmcnt(0) lgkmcnt(0)
	buffer_store_dword v35, off, s[0:3], 0 offset:56
	flat_load_dword v37, v[31:32]
	v_add_u32_e32 v35, s13, v33
	v_ashrrev_i32_e32 v36, 31, v35
	v_lshlrev_b64 v[33:34], 2, v[35:36]
	v_add_co_u32_e32 v33, vcc, s4, v33
	v_addc_co_u32_e32 v34, vcc, v38, v34, vcc
	s_waitcnt vmcnt(0) lgkmcnt(0)
	buffer_store_dword v37, off, s[0:3], 0 offset:60
	flat_load_dword v39, v[33:34]
	v_add_u32_e32 v37, s13, v35
	v_ashrrev_i32_e32 v38, 31, v37
	v_lshlrev_b64 v[35:36], 2, v[37:38]
	v_add_co_u32_e32 v35, vcc, s4, v35
	v_addc_co_u32_e32 v36, vcc, v40, v36, vcc
	s_waitcnt vmcnt(0) lgkmcnt(0)
	buffer_store_dword v39, off, s[0:3], 0 offset:64
	flat_load_dword v41, v[35:36]
	v_add_u32_e32 v39, s13, v37
	v_ashrrev_i32_e32 v40, 31, v39
	v_lshlrev_b64 v[37:38], 2, v[39:40]
	v_add_co_u32_e32 v37, vcc, s4, v37
	v_addc_co_u32_e32 v38, vcc, v42, v38, vcc
	s_waitcnt vmcnt(0) lgkmcnt(0)
	buffer_store_dword v41, off, s[0:3], 0 offset:68
	flat_load_dword v43, v[37:38]
	v_add_u32_e32 v41, s13, v39
	v_ashrrev_i32_e32 v42, 31, v41
	v_lshlrev_b64 v[39:40], 2, v[41:42]
	v_add_co_u32_e32 v39, vcc, s4, v39
	v_addc_co_u32_e32 v40, vcc, v44, v40, vcc
	s_waitcnt vmcnt(0) lgkmcnt(0)
	buffer_store_dword v43, off, s[0:3], 0 offset:72
	flat_load_dword v45, v[39:40]
	v_add_u32_e32 v43, s13, v41
	v_ashrrev_i32_e32 v44, 31, v43
	v_lshlrev_b64 v[41:42], 2, v[43:44]
	v_add_co_u32_e32 v41, vcc, s4, v41
	v_addc_co_u32_e32 v42, vcc, v46, v42, vcc
	s_waitcnt vmcnt(0) lgkmcnt(0)
	buffer_store_dword v45, off, s[0:3], 0 offset:76
	flat_load_dword v47, v[41:42]
	v_add_u32_e32 v45, s13, v43
	v_ashrrev_i32_e32 v46, 31, v45
	v_lshlrev_b64 v[43:44], 2, v[45:46]
	v_add_co_u32_e32 v43, vcc, s4, v43
	v_addc_co_u32_e32 v44, vcc, v48, v44, vcc
	s_waitcnt vmcnt(0) lgkmcnt(0)
	buffer_store_dword v47, off, s[0:3], 0 offset:80
	flat_load_dword v49, v[43:44]
	v_add_u32_e32 v47, s13, v45
	v_ashrrev_i32_e32 v48, 31, v47
	v_lshlrev_b64 v[45:46], 2, v[47:48]
	v_add_co_u32_e32 v45, vcc, s4, v45
	v_addc_co_u32_e32 v46, vcc, v50, v46, vcc
	s_waitcnt vmcnt(0) lgkmcnt(0)
	buffer_store_dword v49, off, s[0:3], 0 offset:84
	flat_load_dword v51, v[45:46]
	v_add_u32_e32 v49, s13, v47
	v_ashrrev_i32_e32 v50, 31, v49
	v_lshlrev_b64 v[47:48], 2, v[49:50]
	v_add_co_u32_e32 v47, vcc, s4, v47
	v_addc_co_u32_e32 v48, vcc, v52, v48, vcc
	s_waitcnt vmcnt(0) lgkmcnt(0)
	buffer_store_dword v51, off, s[0:3], 0 offset:88
	flat_load_dword v53, v[47:48]
	v_add_u32_e32 v51, s13, v49
	v_ashrrev_i32_e32 v52, 31, v51
	v_lshlrev_b64 v[49:50], 2, v[51:52]
	v_add_co_u32_e32 v49, vcc, s4, v49
	v_addc_co_u32_e32 v50, vcc, v54, v50, vcc
	s_waitcnt vmcnt(0) lgkmcnt(0)
	buffer_store_dword v53, off, s[0:3], 0 offset:92
	flat_load_dword v55, v[49:50]
	v_add_u32_e32 v53, s13, v51
	v_ashrrev_i32_e32 v54, 31, v53
	v_lshlrev_b64 v[51:52], 2, v[53:54]
	v_add_co_u32_e32 v51, vcc, s4, v51
	v_addc_co_u32_e32 v52, vcc, v56, v52, vcc
	s_waitcnt vmcnt(0) lgkmcnt(0)
	buffer_store_dword v55, off, s[0:3], 0 offset:96
	flat_load_dword v57, v[51:52]
	v_add_u32_e32 v55, s13, v53
	v_ashrrev_i32_e32 v56, 31, v55
	v_lshlrev_b64 v[53:54], 2, v[55:56]
	v_add_co_u32_e32 v53, vcc, s4, v53
	v_addc_co_u32_e32 v54, vcc, v58, v54, vcc
	s_waitcnt vmcnt(0) lgkmcnt(0)
	buffer_store_dword v57, off, s[0:3], 0 offset:100
	flat_load_dword v59, v[53:54]
	v_add_u32_e32 v57, s13, v55
	v_ashrrev_i32_e32 v58, 31, v57
	v_lshlrev_b64 v[55:56], 2, v[57:58]
	v_add_co_u32_e32 v55, vcc, s4, v55
	v_addc_co_u32_e32 v56, vcc, v60, v56, vcc
	s_waitcnt vmcnt(0) lgkmcnt(0)
	buffer_store_dword v59, off, s[0:3], 0 offset:104
	flat_load_dword v61, v[55:56]
	v_add_u32_e32 v59, s13, v57
	v_ashrrev_i32_e32 v60, 31, v59
	v_lshlrev_b64 v[57:58], 2, v[59:60]
	v_add_co_u32_e32 v57, vcc, s4, v57
	v_addc_co_u32_e32 v58, vcc, v62, v58, vcc
	s_waitcnt vmcnt(0) lgkmcnt(0)
	buffer_store_dword v61, off, s[0:3], 0 offset:108
	flat_load_dword v63, v[57:58]
	v_add_u32_e32 v61, s13, v59
	v_ashrrev_i32_e32 v62, 31, v61
	v_lshlrev_b64 v[59:60], 2, v[61:62]
	v_add_co_u32_e32 v59, vcc, s4, v59
	v_addc_co_u32_e32 v60, vcc, v64, v60, vcc
	s_waitcnt vmcnt(0) lgkmcnt(0)
	buffer_store_dword v63, off, s[0:3], 0 offset:112
	flat_load_dword v65, v[59:60]
	v_add_u32_e32 v63, s13, v61
	v_ashrrev_i32_e32 v64, 31, v63
	v_lshlrev_b64 v[61:62], 2, v[63:64]
	v_add_co_u32_e32 v61, vcc, s4, v61
	v_addc_co_u32_e32 v62, vcc, v66, v62, vcc
	s_waitcnt vmcnt(0) lgkmcnt(0)
	buffer_store_dword v65, off, s[0:3], 0 offset:116
	flat_load_dword v67, v[61:62]
	v_add_u32_e32 v65, s13, v63
	v_ashrrev_i32_e32 v66, 31, v65
	v_lshlrev_b64 v[63:64], 2, v[65:66]
	v_add_co_u32_e32 v63, vcc, s4, v63
	v_addc_co_u32_e32 v64, vcc, v68, v64, vcc
	s_waitcnt vmcnt(0) lgkmcnt(0)
	buffer_store_dword v67, off, s[0:3], 0 offset:120
	flat_load_dword v69, v[63:64]
	v_add_u32_e32 v67, s13, v65
	v_ashrrev_i32_e32 v68, 31, v67
	v_lshlrev_b64 v[65:66], 2, v[67:68]
	v_add_co_u32_e32 v65, vcc, s4, v65
	v_addc_co_u32_e32 v66, vcc, v70, v66, vcc
	s_waitcnt vmcnt(0) lgkmcnt(0)
	buffer_store_dword v69, off, s[0:3], 0 offset:124
	flat_load_dword v71, v[65:66]
	v_add_u32_e32 v69, s13, v67
	v_ashrrev_i32_e32 v70, 31, v69
	v_lshlrev_b64 v[67:68], 2, v[69:70]
	v_add_co_u32_e32 v67, vcc, s4, v67
	v_addc_co_u32_e32 v68, vcc, v72, v68, vcc
	s_waitcnt vmcnt(0) lgkmcnt(0)
	buffer_store_dword v71, off, s[0:3], 0 offset:128
	flat_load_dword v73, v[67:68]
	v_add_u32_e32 v71, s13, v69
	v_ashrrev_i32_e32 v72, 31, v71
	v_lshlrev_b64 v[69:70], 2, v[71:72]
	v_add_co_u32_e32 v69, vcc, s4, v69
	v_addc_co_u32_e32 v70, vcc, v74, v70, vcc
	s_waitcnt vmcnt(0) lgkmcnt(0)
	buffer_store_dword v73, off, s[0:3], 0 offset:132
	flat_load_dword v75, v[69:70]
	v_add_u32_e32 v73, s13, v71
	v_ashrrev_i32_e32 v74, 31, v73
	v_lshlrev_b64 v[71:72], 2, v[73:74]
	v_add_co_u32_e32 v71, vcc, s4, v71
	v_addc_co_u32_e32 v72, vcc, v76, v72, vcc
	s_waitcnt vmcnt(0) lgkmcnt(0)
	buffer_store_dword v75, off, s[0:3], 0 offset:136
	flat_load_dword v77, v[71:72]
	v_add_u32_e32 v75, s13, v73
	v_ashrrev_i32_e32 v76, 31, v75
	v_lshlrev_b64 v[73:74], 2, v[75:76]
	v_add_co_u32_e32 v73, vcc, s4, v73
	v_addc_co_u32_e32 v74, vcc, v78, v74, vcc
	s_waitcnt vmcnt(0) lgkmcnt(0)
	buffer_store_dword v77, off, s[0:3], 0 offset:140
	flat_load_dword v79, v[73:74]
	v_add_u32_e32 v77, s13, v75
	v_ashrrev_i32_e32 v78, 31, v77
	v_lshlrev_b64 v[75:76], 2, v[77:78]
	v_add_co_u32_e32 v75, vcc, s4, v75
	v_addc_co_u32_e32 v76, vcc, v80, v76, vcc
	s_waitcnt vmcnt(0) lgkmcnt(0)
	buffer_store_dword v79, off, s[0:3], 0 offset:144
	flat_load_dword v81, v[75:76]
	v_add_u32_e32 v79, s13, v77
	v_ashrrev_i32_e32 v80, 31, v79
	v_lshlrev_b64 v[77:78], 2, v[79:80]
	v_add_co_u32_e32 v77, vcc, s4, v77
	v_addc_co_u32_e32 v78, vcc, v82, v78, vcc
	s_waitcnt vmcnt(0) lgkmcnt(0)
	buffer_store_dword v81, off, s[0:3], 0 offset:148
	flat_load_dword v83, v[77:78]
	v_add_u32_e32 v81, s13, v79
	v_ashrrev_i32_e32 v82, 31, v81
	v_lshlrev_b64 v[79:80], 2, v[81:82]
	v_add_co_u32_e32 v79, vcc, s4, v79
	v_addc_co_u32_e32 v80, vcc, v84, v80, vcc
	s_waitcnt vmcnt(0) lgkmcnt(0)
	buffer_store_dword v83, off, s[0:3], 0 offset:152
	flat_load_dword v85, v[79:80]
	v_add_u32_e32 v83, s13, v81
	v_ashrrev_i32_e32 v84, 31, v83
	v_lshlrev_b64 v[81:82], 2, v[83:84]
	v_add_co_u32_e32 v81, vcc, s4, v81
	v_addc_co_u32_e32 v82, vcc, v86, v82, vcc
	s_waitcnt vmcnt(0) lgkmcnt(0)
	buffer_store_dword v85, off, s[0:3], 0 offset:156
	flat_load_dword v87, v[81:82]
	v_add_u32_e32 v85, s13, v83
	v_ashrrev_i32_e32 v86, 31, v85
	v_lshlrev_b64 v[83:84], 2, v[85:86]
	v_add_co_u32_e32 v83, vcc, s4, v83
	v_addc_co_u32_e32 v84, vcc, v88, v84, vcc
	s_waitcnt vmcnt(0) lgkmcnt(0)
	buffer_store_dword v87, off, s[0:3], 0 offset:160
	flat_load_dword v89, v[83:84]
	v_add_u32_e32 v87, s13, v85
	v_ashrrev_i32_e32 v88, 31, v87
	v_lshlrev_b64 v[85:86], 2, v[87:88]
	v_add_co_u32_e32 v85, vcc, s4, v85
	v_addc_co_u32_e32 v86, vcc, v90, v86, vcc
	s_waitcnt vmcnt(0) lgkmcnt(0)
	buffer_store_dword v89, off, s[0:3], 0 offset:164
	flat_load_dword v91, v[85:86]
	v_add_u32_e32 v89, s13, v87
	v_ashrrev_i32_e32 v90, 31, v89
	v_lshlrev_b64 v[87:88], 2, v[89:90]
	v_add_co_u32_e32 v87, vcc, s4, v87
	v_addc_co_u32_e32 v88, vcc, v92, v88, vcc
	s_waitcnt vmcnt(0) lgkmcnt(0)
	buffer_store_dword v91, off, s[0:3], 0 offset:168
	flat_load_dword v93, v[87:88]
	v_add_u32_e32 v91, s13, v89
	v_ashrrev_i32_e32 v92, 31, v91
	v_lshlrev_b64 v[89:90], 2, v[91:92]
	v_add_co_u32_e32 v89, vcc, s4, v89
	v_addc_co_u32_e32 v90, vcc, v94, v90, vcc
	s_waitcnt vmcnt(0) lgkmcnt(0)
	buffer_store_dword v93, off, s[0:3], 0 offset:172
	flat_load_dword v95, v[89:90]
	v_add_u32_e32 v93, s13, v91
	v_ashrrev_i32_e32 v94, 31, v93
	v_lshlrev_b64 v[91:92], 2, v[93:94]
	v_add_co_u32_e32 v91, vcc, s4, v91
	v_addc_co_u32_e32 v92, vcc, v96, v92, vcc
	s_waitcnt vmcnt(0) lgkmcnt(0)
	buffer_store_dword v95, off, s[0:3], 0 offset:176
	flat_load_dword v97, v[91:92]
	v_add_u32_e32 v95, s13, v93
	v_ashrrev_i32_e32 v96, 31, v95
	v_lshlrev_b64 v[93:94], 2, v[95:96]
	v_add_co_u32_e32 v93, vcc, s4, v93
	v_addc_co_u32_e32 v94, vcc, v98, v94, vcc
	s_waitcnt vmcnt(0) lgkmcnt(0)
	buffer_store_dword v97, off, s[0:3], 0 offset:180
	flat_load_dword v99, v[93:94]
	v_add_u32_e32 v97, s13, v95
	v_ashrrev_i32_e32 v98, 31, v97
	v_lshlrev_b64 v[95:96], 2, v[97:98]
	v_add_co_u32_e32 v95, vcc, s4, v95
	v_addc_co_u32_e32 v96, vcc, v100, v96, vcc
	s_waitcnt vmcnt(0) lgkmcnt(0)
	buffer_store_dword v99, off, s[0:3], 0 offset:184
	flat_load_dword v101, v[95:96]
	v_add_u32_e32 v99, s13, v97
	v_ashrrev_i32_e32 v100, 31, v99
	v_lshlrev_b64 v[97:98], 2, v[99:100]
	v_add_co_u32_e32 v97, vcc, s4, v97
	v_addc_co_u32_e32 v98, vcc, v102, v98, vcc
	s_waitcnt vmcnt(0) lgkmcnt(0)
	buffer_store_dword v101, off, s[0:3], 0 offset:188
	flat_load_dword v104, v[97:98]
	v_add_u32_e32 v101, s13, v99
	v_ashrrev_i32_e32 v102, 31, v101
	v_lshlrev_b64 v[99:100], 2, v[101:102]
	v_add_u32_e32 v101, s13, v101
	v_add_co_u32_e32 v99, vcc, s4, v99
	v_addc_co_u32_e32 v100, vcc, v105, v100, vcc
	v_ashrrev_i32_e32 v102, 31, v101
	v_lshlrev_b64 v[101:102], 2, v[101:102]
	v_add_co_u32_e32 v101, vcc, s4, v101
	v_addc_co_u32_e32 v102, vcc, v105, v102, vcc
	s_waitcnt vmcnt(0) lgkmcnt(0)
	buffer_store_dword v104, off, s[0:3], 0 offset:192
	flat_load_dword v104, v[99:100]
	s_waitcnt vmcnt(0) lgkmcnt(0)
	buffer_store_dword v104, off, s[0:3], 0 offset:196
	flat_load_dword v104, v[101:102]
	s_waitcnt vmcnt(0) lgkmcnt(0)
	buffer_store_dword v104, off, s[0:3], 0 offset:200
	v_mov_b32_e32 v104, -1.0
	s_cbranch_scc1 .LBB114_3
; %bb.2:
	v_mov_b32_e32 v104, 0
	v_lshl_add_u32 v104, v0, 2, v104
	buffer_load_dword v105, v104, s[0:3], 0 offen
	s_waitcnt vmcnt(0)
	v_div_scale_f32 v106, s[4:5], v105, v105, 1.0
	v_div_scale_f32 v107, vcc, 1.0, v105, 1.0
	v_rcp_f32_e32 v108, v106
	v_fma_f32 v109, -v106, v108, 1.0
	v_fmac_f32_e32 v108, v109, v108
	v_mul_f32_e32 v109, v107, v108
	v_fma_f32 v110, -v106, v109, v107
	v_fmac_f32_e32 v109, v110, v108
	v_fma_f32 v106, -v106, v109, v107
	v_div_fmas_f32 v106, v106, v108, v109
	v_div_fixup_f32 v105, v106, v105, 1.0
	buffer_store_dword v105, v104, s[0:3], 0 offen
	v_xor_b32_e32 v104, 0x80000000, v105
.LBB114_3:
	ds_write_b32 v103, v104
	s_cmpk_eq_i32 s8, 0x79
	v_add_u32_e32 v104, 0xd0, v103
	v_mov_b32_e32 v105, v103
	s_mov_b64 s[4:5], -1
	s_cbranch_scc1 .LBB114_497
; %bb.4:
	buffer_load_dword v106, off, s[0:3], 0 offset:196
	s_movk_i32 s30, 0x44
	s_movk_i32 s31, 0x48
	;; [unrolled: 1-line block ×31, first 2 shown]
	v_cmp_eq_u32_e64 s[4:5], 50, v0
	s_waitcnt vmcnt(0)
	ds_write_b32 v104, v106
	s_waitcnt lgkmcnt(0)
	; wave barrier
	s_and_saveexec_b64 s[6:7], s[4:5]
	s_cbranch_execz .LBB114_10
; %bb.5:
	s_and_b64 vcc, exec, s[10:11]
	s_cbranch_vccz .LBB114_7
; %bb.6:
	buffer_load_dword v106, v105, s[0:3], 0 offen
	ds_read_b32 v107, v104
	s_waitcnt vmcnt(0) lgkmcnt(0)
	v_mul_f32_e32 v106, v106, v107
	s_cbranch_execz .LBB114_8
	s_branch .LBB114_9
.LBB114_7:
                                        ; implicit-def: $vgpr106
.LBB114_8:
	ds_read_b32 v106, v104
.LBB114_9:
	v_mov_b32_e32 v107, 0
	ds_read_b32 v107, v107 offset:196
	s_waitcnt lgkmcnt(0)
	v_mul_f32_e32 v106, v106, v107
	buffer_store_dword v106, off, s[0:3], 0 offset:196
.LBB114_10:
	s_or_b64 exec, exec, s[6:7]
	buffer_load_dword v106, off, s[0:3], 0 offset:192
	s_or_b32 s14, 0, 4
	s_or_b32 s15, 0, 8
	;; [unrolled: 1-line block ×3, first 2 shown]
	s_mov_b32 s17, 16
	s_mov_b32 s18, 20
	;; [unrolled: 1-line block ×15, first 2 shown]
	v_cmp_lt_u32_e64 s[6:7], 48, v0
	s_waitcnt vmcnt(0)
	ds_write_b32 v104, v106
	s_waitcnt lgkmcnt(0)
	; wave barrier
	s_and_saveexec_b64 s[8:9], s[6:7]
	s_cbranch_execz .LBB114_16
; %bb.11:
	s_andn2_b64 vcc, exec, s[10:11]
	s_cbranch_vccnz .LBB114_13
; %bb.12:
	buffer_load_dword v106, v105, s[0:3], 0 offen
	ds_read_b32 v107, v104
	s_waitcnt vmcnt(0) lgkmcnt(0)
	v_mul_f32_e32 v106, v106, v107
	s_cbranch_execz .LBB114_14
	s_branch .LBB114_15
.LBB114_13:
                                        ; implicit-def: $vgpr106
.LBB114_14:
	ds_read_b32 v106, v104
.LBB114_15:
	buffer_load_dword v109, off, s[0:3], 0 offset:196
	v_mov_b32_e32 v107, 0
	ds_read2_b32 v[107:108], v107 offset0:48 offset1:101
	s_waitcnt vmcnt(0) lgkmcnt(0)
	v_fma_f32 v108, v109, v108, v106
	v_cndmask_b32_e64 v106, v106, v108, s[4:5]
	v_mul_f32_e32 v106, v106, v107
	buffer_store_dword v106, off, s[0:3], 0 offset:192
.LBB114_16:
	s_or_b64 exec, exec, s[8:9]
	buffer_load_dword v106, off, s[0:3], 0 offset:188
	v_cmp_lt_u32_e64 s[4:5], 47, v0
	s_waitcnt vmcnt(0)
	ds_write_b32 v104, v106
	s_waitcnt lgkmcnt(0)
	; wave barrier
	s_and_saveexec_b64 s[8:9], s[4:5]
	s_cbranch_execz .LBB114_26
; %bb.17:
	s_andn2_b64 vcc, exec, s[10:11]
	s_cbranch_vccnz .LBB114_19
; %bb.18:
	buffer_load_dword v106, v105, s[0:3], 0 offen
	ds_read_b32 v107, v104
	s_waitcnt vmcnt(0) lgkmcnt(0)
	v_mul_f32_e32 v106, v106, v107
	s_cbranch_execz .LBB114_20
	s_branch .LBB114_21
.LBB114_19:
                                        ; implicit-def: $vgpr106
.LBB114_20:
	ds_read_b32 v106, v104
.LBB114_21:
	s_and_saveexec_b64 s[12:13], s[6:7]
	s_cbranch_execz .LBB114_25
; %bb.22:
	v_subrev_u32_e32 v107, 48, v0
	s_movk_i32 s63, 0x190
	s_mov_b64 s[6:7], 0
.LBB114_23:                             ; =>This Inner Loop Header: Depth=1
	v_mov_b32_e32 v108, s62
	buffer_load_dword v108, v108, s[0:3], 0 offen
	v_mov_b32_e32 v109, s63
	ds_read_b32 v109, v109
	v_add_u32_e32 v107, -1, v107
	s_add_i32 s63, s63, 4
	s_add_i32 s62, s62, 4
	v_cmp_eq_u32_e32 vcc, 0, v107
	s_or_b64 s[6:7], vcc, s[6:7]
	s_waitcnt vmcnt(0) lgkmcnt(0)
	v_fmac_f32_e32 v106, v108, v109
	s_andn2_b64 exec, exec, s[6:7]
	s_cbranch_execnz .LBB114_23
; %bb.24:
	s_or_b64 exec, exec, s[6:7]
.LBB114_25:
	s_or_b64 exec, exec, s[12:13]
	v_mov_b32_e32 v107, 0
	ds_read_b32 v107, v107 offset:188
	s_waitcnt lgkmcnt(0)
	v_mul_f32_e32 v106, v106, v107
	buffer_store_dword v106, off, s[0:3], 0 offset:188
.LBB114_26:
	s_or_b64 exec, exec, s[8:9]
	buffer_load_dword v106, off, s[0:3], 0 offset:184
	v_cmp_lt_u32_e64 s[6:7], 46, v0
	s_waitcnt vmcnt(0)
	ds_write_b32 v104, v106
	s_waitcnt lgkmcnt(0)
	; wave barrier
	s_and_saveexec_b64 s[8:9], s[6:7]
	s_cbranch_execz .LBB114_36
; %bb.27:
	s_andn2_b64 vcc, exec, s[10:11]
	s_cbranch_vccnz .LBB114_29
; %bb.28:
	buffer_load_dword v106, v105, s[0:3], 0 offen
	ds_read_b32 v107, v104
	s_waitcnt vmcnt(0) lgkmcnt(0)
	v_mul_f32_e32 v106, v106, v107
	s_cbranch_execz .LBB114_30
	s_branch .LBB114_31
.LBB114_29:
                                        ; implicit-def: $vgpr106
.LBB114_30:
	ds_read_b32 v106, v104
.LBB114_31:
	s_and_saveexec_b64 s[12:13], s[4:5]
	s_cbranch_execz .LBB114_35
; %bb.32:
	v_subrev_u32_e32 v107, 47, v0
	s_movk_i32 s62, 0x18c
	s_mov_b64 s[4:5], 0
.LBB114_33:                             ; =>This Inner Loop Header: Depth=1
	v_mov_b32_e32 v108, s61
	buffer_load_dword v108, v108, s[0:3], 0 offen
	v_mov_b32_e32 v109, s62
	ds_read_b32 v109, v109
	v_add_u32_e32 v107, -1, v107
	s_add_i32 s62, s62, 4
	s_add_i32 s61, s61, 4
	v_cmp_eq_u32_e32 vcc, 0, v107
	s_or_b64 s[4:5], vcc, s[4:5]
	s_waitcnt vmcnt(0) lgkmcnt(0)
	v_fmac_f32_e32 v106, v108, v109
	s_andn2_b64 exec, exec, s[4:5]
	s_cbranch_execnz .LBB114_33
; %bb.34:
	s_or_b64 exec, exec, s[4:5]
.LBB114_35:
	s_or_b64 exec, exec, s[12:13]
	v_mov_b32_e32 v107, 0
	ds_read_b32 v107, v107 offset:184
	s_waitcnt lgkmcnt(0)
	v_mul_f32_e32 v106, v106, v107
	buffer_store_dword v106, off, s[0:3], 0 offset:184
.LBB114_36:
	;; [unrolled: 54-line block ×8, first 2 shown]
	s_or_b64 exec, exec, s[8:9]
	buffer_load_dword v106, off, s[0:3], 0 offset:156
	v_cmp_lt_u32_e64 s[4:5], 39, v0
	s_waitcnt vmcnt(0)
	ds_write_b32 v104, v106
	s_waitcnt lgkmcnt(0)
	; wave barrier
	s_and_saveexec_b64 s[8:9], s[4:5]
	s_cbranch_execz .LBB114_106
; %bb.97:
	s_andn2_b64 vcc, exec, s[10:11]
	s_cbranch_vccnz .LBB114_99
; %bb.98:
	buffer_load_dword v106, v105, s[0:3], 0 offen
	ds_read_b32 v107, v104
	s_waitcnt vmcnt(0) lgkmcnt(0)
	v_mul_f32_e32 v106, v106, v107
	s_cbranch_execz .LBB114_100
	s_branch .LBB114_101
.LBB114_99:
                                        ; implicit-def: $vgpr106
.LBB114_100:
	ds_read_b32 v106, v104
.LBB114_101:
	s_and_saveexec_b64 s[12:13], s[6:7]
	s_cbranch_execz .LBB114_105
; %bb.102:
	v_subrev_u32_e32 v107, 40, v0
	s_movk_i32 s55, 0x170
	s_mov_b64 s[6:7], 0
.LBB114_103:                            ; =>This Inner Loop Header: Depth=1
	v_mov_b32_e32 v108, s54
	buffer_load_dword v108, v108, s[0:3], 0 offen
	v_mov_b32_e32 v109, s55
	ds_read_b32 v109, v109
	v_add_u32_e32 v107, -1, v107
	s_add_i32 s55, s55, 4
	s_add_i32 s54, s54, 4
	v_cmp_eq_u32_e32 vcc, 0, v107
	s_or_b64 s[6:7], vcc, s[6:7]
	s_waitcnt vmcnt(0) lgkmcnt(0)
	v_fmac_f32_e32 v106, v108, v109
	s_andn2_b64 exec, exec, s[6:7]
	s_cbranch_execnz .LBB114_103
; %bb.104:
	s_or_b64 exec, exec, s[6:7]
.LBB114_105:
	s_or_b64 exec, exec, s[12:13]
	v_mov_b32_e32 v107, 0
	ds_read_b32 v107, v107 offset:156
	s_waitcnt lgkmcnt(0)
	v_mul_f32_e32 v106, v106, v107
	buffer_store_dword v106, off, s[0:3], 0 offset:156
.LBB114_106:
	s_or_b64 exec, exec, s[8:9]
	buffer_load_dword v106, off, s[0:3], 0 offset:152
	v_cmp_lt_u32_e64 s[6:7], 38, v0
	s_waitcnt vmcnt(0)
	ds_write_b32 v104, v106
	s_waitcnt lgkmcnt(0)
	; wave barrier
	s_and_saveexec_b64 s[8:9], s[6:7]
	s_cbranch_execz .LBB114_116
; %bb.107:
	s_andn2_b64 vcc, exec, s[10:11]
	s_cbranch_vccnz .LBB114_109
; %bb.108:
	buffer_load_dword v106, v105, s[0:3], 0 offen
	ds_read_b32 v107, v104
	s_waitcnt vmcnt(0) lgkmcnt(0)
	v_mul_f32_e32 v106, v106, v107
	s_cbranch_execz .LBB114_110
	s_branch .LBB114_111
.LBB114_109:
                                        ; implicit-def: $vgpr106
.LBB114_110:
	ds_read_b32 v106, v104
.LBB114_111:
	s_and_saveexec_b64 s[12:13], s[4:5]
	s_cbranch_execz .LBB114_115
; %bb.112:
	v_subrev_u32_e32 v107, 39, v0
	s_movk_i32 s54, 0x16c
	s_mov_b64 s[4:5], 0
.LBB114_113:                            ; =>This Inner Loop Header: Depth=1
	v_mov_b32_e32 v108, s53
	buffer_load_dword v108, v108, s[0:3], 0 offen
	v_mov_b32_e32 v109, s54
	ds_read_b32 v109, v109
	v_add_u32_e32 v107, -1, v107
	s_add_i32 s54, s54, 4
	s_add_i32 s53, s53, 4
	v_cmp_eq_u32_e32 vcc, 0, v107
	s_or_b64 s[4:5], vcc, s[4:5]
	s_waitcnt vmcnt(0) lgkmcnt(0)
	v_fmac_f32_e32 v106, v108, v109
	s_andn2_b64 exec, exec, s[4:5]
	s_cbranch_execnz .LBB114_113
; %bb.114:
	s_or_b64 exec, exec, s[4:5]
.LBB114_115:
	s_or_b64 exec, exec, s[12:13]
	v_mov_b32_e32 v107, 0
	ds_read_b32 v107, v107 offset:152
	s_waitcnt lgkmcnt(0)
	v_mul_f32_e32 v106, v106, v107
	buffer_store_dword v106, off, s[0:3], 0 offset:152
.LBB114_116:
	;; [unrolled: 54-line block ×24, first 2 shown]
	s_or_b64 exec, exec, s[8:9]
	buffer_load_dword v106, off, s[0:3], 0 offset:60
	v_cmp_lt_u32_e64 s[4:5], 15, v0
	s_waitcnt vmcnt(0)
	ds_write_b32 v104, v106
	s_waitcnt lgkmcnt(0)
	; wave barrier
	s_and_saveexec_b64 s[8:9], s[4:5]
	s_cbranch_execz .LBB114_346
; %bb.337:
	s_andn2_b64 vcc, exec, s[10:11]
	s_cbranch_vccnz .LBB114_339
; %bb.338:
	buffer_load_dword v106, v105, s[0:3], 0 offen
	ds_read_b32 v107, v104
	s_waitcnt vmcnt(0) lgkmcnt(0)
	v_mul_f32_e32 v106, v106, v107
	s_cbranch_execz .LBB114_340
	s_branch .LBB114_341
.LBB114_339:
                                        ; implicit-def: $vgpr106
.LBB114_340:
	ds_read_b32 v106, v104
.LBB114_341:
	s_and_saveexec_b64 s[12:13], s[6:7]
	s_cbranch_execz .LBB114_345
; %bb.342:
	v_add_u32_e32 v107, -16, v0
	s_movk_i32 s30, 0x110
	s_mov_b64 s[6:7], 0
.LBB114_343:                            ; =>This Inner Loop Header: Depth=1
	v_mov_b32_e32 v108, s29
	buffer_load_dword v108, v108, s[0:3], 0 offen
	v_mov_b32_e32 v109, s30
	ds_read_b32 v109, v109
	v_add_u32_e32 v107, -1, v107
	s_add_i32 s30, s30, 4
	s_add_i32 s29, s29, 4
	v_cmp_eq_u32_e32 vcc, 0, v107
	s_or_b64 s[6:7], vcc, s[6:7]
	s_waitcnt vmcnt(0) lgkmcnt(0)
	v_fmac_f32_e32 v106, v108, v109
	s_andn2_b64 exec, exec, s[6:7]
	s_cbranch_execnz .LBB114_343
; %bb.344:
	s_or_b64 exec, exec, s[6:7]
.LBB114_345:
	s_or_b64 exec, exec, s[12:13]
	v_mov_b32_e32 v107, 0
	ds_read_b32 v107, v107 offset:60
	s_waitcnt lgkmcnt(0)
	v_mul_f32_e32 v106, v106, v107
	buffer_store_dword v106, off, s[0:3], 0 offset:60
.LBB114_346:
	s_or_b64 exec, exec, s[8:9]
	buffer_load_dword v106, off, s[0:3], 0 offset:56
	v_cmp_lt_u32_e64 s[6:7], 14, v0
	s_waitcnt vmcnt(0)
	ds_write_b32 v104, v106
	s_waitcnt lgkmcnt(0)
	; wave barrier
	s_and_saveexec_b64 s[8:9], s[6:7]
	s_cbranch_execz .LBB114_356
; %bb.347:
	s_andn2_b64 vcc, exec, s[10:11]
	s_cbranch_vccnz .LBB114_349
; %bb.348:
	buffer_load_dword v106, v105, s[0:3], 0 offen
	ds_read_b32 v107, v104
	s_waitcnt vmcnt(0) lgkmcnt(0)
	v_mul_f32_e32 v106, v106, v107
	s_cbranch_execz .LBB114_350
	s_branch .LBB114_351
.LBB114_349:
                                        ; implicit-def: $vgpr106
.LBB114_350:
	ds_read_b32 v106, v104
.LBB114_351:
	s_and_saveexec_b64 s[12:13], s[4:5]
	s_cbranch_execz .LBB114_355
; %bb.352:
	v_add_u32_e32 v107, -15, v0
	s_movk_i32 s29, 0x10c
	s_mov_b64 s[4:5], 0
.LBB114_353:                            ; =>This Inner Loop Header: Depth=1
	v_mov_b32_e32 v108, s28
	buffer_load_dword v108, v108, s[0:3], 0 offen
	v_mov_b32_e32 v109, s29
	ds_read_b32 v109, v109
	v_add_u32_e32 v107, -1, v107
	s_add_i32 s29, s29, 4
	s_add_i32 s28, s28, 4
	v_cmp_eq_u32_e32 vcc, 0, v107
	s_or_b64 s[4:5], vcc, s[4:5]
	s_waitcnt vmcnt(0) lgkmcnt(0)
	v_fmac_f32_e32 v106, v108, v109
	s_andn2_b64 exec, exec, s[4:5]
	s_cbranch_execnz .LBB114_353
; %bb.354:
	s_or_b64 exec, exec, s[4:5]
.LBB114_355:
	s_or_b64 exec, exec, s[12:13]
	v_mov_b32_e32 v107, 0
	ds_read_b32 v107, v107 offset:56
	s_waitcnt lgkmcnt(0)
	v_mul_f32_e32 v106, v106, v107
	buffer_store_dword v106, off, s[0:3], 0 offset:56
.LBB114_356:
	;; [unrolled: 54-line block ×15, first 2 shown]
	s_or_b64 exec, exec, s[8:9]
	buffer_load_dword v106, off, s[0:3], 0
	v_cmp_ne_u32_e32 vcc, 0, v0
	s_waitcnt vmcnt(0)
	ds_write_b32 v104, v106
	s_waitcnt lgkmcnt(0)
	; wave barrier
	s_and_saveexec_b64 s[6:7], vcc
	s_cbranch_execz .LBB114_496
; %bb.487:
	s_andn2_b64 vcc, exec, s[10:11]
	s_cbranch_vccnz .LBB114_489
; %bb.488:
	buffer_load_dword v106, v105, s[0:3], 0 offen
	ds_read_b32 v107, v104
	s_waitcnt vmcnt(0) lgkmcnt(0)
	v_mul_f32_e32 v106, v106, v107
	s_cbranch_execz .LBB114_490
	s_branch .LBB114_491
.LBB114_489:
                                        ; implicit-def: $vgpr106
.LBB114_490:
	ds_read_b32 v106, v104
.LBB114_491:
	s_and_saveexec_b64 s[8:9], s[4:5]
	s_cbranch_execz .LBB114_495
; %bb.492:
	v_add_u32_e32 v107, -1, v0
	s_movk_i32 s12, 0xd4
	s_mov_b64 s[4:5], 0
.LBB114_493:                            ; =>This Inner Loop Header: Depth=1
	v_mov_b32_e32 v108, s14
	buffer_load_dword v108, v108, s[0:3], 0 offen
	v_mov_b32_e32 v109, s12
	ds_read_b32 v109, v109
	v_add_u32_e32 v107, -1, v107
	s_add_i32 s12, s12, 4
	s_add_i32 s14, s14, 4
	v_cmp_eq_u32_e32 vcc, 0, v107
	s_or_b64 s[4:5], vcc, s[4:5]
	s_waitcnt vmcnt(0) lgkmcnt(0)
	v_fmac_f32_e32 v106, v108, v109
	s_andn2_b64 exec, exec, s[4:5]
	s_cbranch_execnz .LBB114_493
; %bb.494:
	s_or_b64 exec, exec, s[4:5]
.LBB114_495:
	s_or_b64 exec, exec, s[8:9]
	v_mov_b32_e32 v107, 0
	ds_read_b32 v107, v107
	s_waitcnt lgkmcnt(0)
	v_mul_f32_e32 v106, v106, v107
	buffer_store_dword v106, off, s[0:3], 0
.LBB114_496:
	s_or_b64 exec, exec, s[6:7]
	s_mov_b64 s[4:5], 0
.LBB114_497:
	s_and_b64 vcc, exec, s[4:5]
	s_cbranch_vccz .LBB114_989
; %bb.498:
	buffer_load_dword v106, off, s[0:3], 0 offset:4
	v_cmp_eq_u32_e64 s[6:7], 0, v0
	s_waitcnt vmcnt(0)
	ds_write_b32 v104, v106
	s_waitcnt lgkmcnt(0)
	; wave barrier
	s_and_saveexec_b64 s[4:5], s[6:7]
	s_cbranch_execz .LBB114_504
; %bb.499:
	s_and_b64 vcc, exec, s[10:11]
	s_cbranch_vccz .LBB114_501
; %bb.500:
	buffer_load_dword v106, v105, s[0:3], 0 offen
	ds_read_b32 v107, v104
	s_waitcnt vmcnt(0) lgkmcnt(0)
	v_mul_f32_e32 v106, v106, v107
	s_cbranch_execz .LBB114_502
	s_branch .LBB114_503
.LBB114_501:
                                        ; implicit-def: $vgpr106
.LBB114_502:
	ds_read_b32 v106, v104
.LBB114_503:
	v_mov_b32_e32 v107, 0
	ds_read_b32 v107, v107 offset:4
	s_waitcnt lgkmcnt(0)
	v_mul_f32_e32 v106, v106, v107
	buffer_store_dword v106, off, s[0:3], 0 offset:4
.LBB114_504:
	s_or_b64 exec, exec, s[4:5]
	buffer_load_dword v106, off, s[0:3], 0 offset:8
	v_cndmask_b32_e64 v107, 0, 1, s[10:11]
	v_cmp_gt_u32_e32 vcc, 2, v0
	v_cmp_ne_u32_e64 s[4:5], 1, v107
	s_waitcnt vmcnt(0)
	ds_write_b32 v104, v106
	s_waitcnt lgkmcnt(0)
	; wave barrier
	s_and_saveexec_b64 s[8:9], vcc
	s_cbranch_execz .LBB114_510
; %bb.505:
	s_and_b64 vcc, exec, s[4:5]
	s_cbranch_vccnz .LBB114_507
; %bb.506:
	buffer_load_dword v106, v105, s[0:3], 0 offen
	ds_read_b32 v107, v104
	s_waitcnt vmcnt(0) lgkmcnt(0)
	v_mul_f32_e32 v106, v106, v107
	s_cbranch_execz .LBB114_508
	s_branch .LBB114_509
.LBB114_507:
                                        ; implicit-def: $vgpr106
.LBB114_508:
	ds_read_b32 v106, v104
.LBB114_509:
	buffer_load_dword v109, off, s[0:3], 0 offset:4
	v_mov_b32_e32 v107, 0
	ds_read2_b32 v[107:108], v107 offset0:2 offset1:53
	s_waitcnt vmcnt(0) lgkmcnt(0)
	v_fma_f32 v108, v109, v108, v106
	v_cndmask_b32_e64 v106, v106, v108, s[6:7]
	v_mul_f32_e32 v106, v106, v107
	buffer_store_dword v106, off, s[0:3], 0 offset:8
.LBB114_510:
	s_or_b64 exec, exec, s[8:9]
	buffer_load_dword v106, off, s[0:3], 0 offset:12
	v_cmp_gt_u32_e32 vcc, 3, v0
	s_waitcnt vmcnt(0)
	ds_write_b32 v104, v106
	s_waitcnt lgkmcnt(0)
	; wave barrier
	s_and_saveexec_b64 s[8:9], vcc
	s_cbranch_execz .LBB114_518
; %bb.511:
	s_and_b64 vcc, exec, s[4:5]
	s_cbranch_vccnz .LBB114_513
; %bb.512:
	buffer_load_dword v106, v105, s[0:3], 0 offen
	ds_read_b32 v107, v104
	s_waitcnt vmcnt(0) lgkmcnt(0)
	v_mul_f32_e32 v106, v106, v107
	s_cbranch_execz .LBB114_514
	s_branch .LBB114_515
.LBB114_513:
                                        ; implicit-def: $vgpr106
.LBB114_514:
	ds_read_b32 v106, v104
.LBB114_515:
	v_cmp_ne_u32_e32 vcc, 2, v0
	s_and_saveexec_b64 s[10:11], vcc
	s_cbranch_execz .LBB114_517
; %bb.516:
	buffer_load_dword v107, v105, s[0:3], 0 offen offset:4
	buffer_load_dword v108, off, s[0:3], 0 offset:8
	v_mov_b32_e32 v109, 0
	ds_read_b32 v110, v104 offset:4
	ds_read_b32 v109, v109 offset:216
	s_waitcnt vmcnt(1) lgkmcnt(1)
	v_fmac_f32_e32 v106, v107, v110
	s_waitcnt vmcnt(0) lgkmcnt(0)
	v_fma_f32 v107, v108, v109, v106
	v_cndmask_b32_e64 v106, v106, v107, s[6:7]
.LBB114_517:
	s_or_b64 exec, exec, s[10:11]
	v_mov_b32_e32 v107, 0
	ds_read_b32 v107, v107 offset:12
	s_waitcnt lgkmcnt(0)
	v_mul_f32_e32 v106, v106, v107
	buffer_store_dword v106, off, s[0:3], 0 offset:12
.LBB114_518:
	s_or_b64 exec, exec, s[8:9]
	buffer_load_dword v106, off, s[0:3], 0 offset:16
	v_cmp_gt_u32_e32 vcc, 4, v0
	s_waitcnt vmcnt(0)
	ds_write_b32 v104, v106
	s_waitcnt lgkmcnt(0)
	; wave barrier
	s_and_saveexec_b64 s[6:7], vcc
	s_cbranch_execz .LBB114_528
; %bb.519:
	s_and_b64 vcc, exec, s[4:5]
	s_cbranch_vccnz .LBB114_521
; %bb.520:
	buffer_load_dword v106, v105, s[0:3], 0 offen
	ds_read_b32 v107, v104
	s_waitcnt vmcnt(0) lgkmcnt(0)
	v_mul_f32_e32 v106, v106, v107
	s_cbranch_execz .LBB114_522
	s_branch .LBB114_523
.LBB114_521:
                                        ; implicit-def: $vgpr106
.LBB114_522:
	ds_read_b32 v106, v104
.LBB114_523:
	v_cmp_ne_u32_e32 vcc, 3, v0
	s_and_saveexec_b64 s[8:9], vcc
	s_cbranch_execz .LBB114_527
; %bb.524:
	s_mov_b32 s10, 0
	v_add_u32_e32 v107, 0xd4, v103
	v_add3_u32 v108, v103, s10, 4
	s_mov_b64 s[10:11], 0
	v_mov_b32_e32 v109, v0
.LBB114_525:                            ; =>This Inner Loop Header: Depth=1
	buffer_load_dword v110, v108, s[0:3], 0 offen
	ds_read_b32 v111, v107
	v_add_u32_e32 v109, 1, v109
	v_cmp_lt_u32_e32 vcc, 2, v109
	v_add_u32_e32 v107, 4, v107
	v_add_u32_e32 v108, 4, v108
	s_or_b64 s[10:11], vcc, s[10:11]
	s_waitcnt vmcnt(0) lgkmcnt(0)
	v_fmac_f32_e32 v106, v110, v111
	s_andn2_b64 exec, exec, s[10:11]
	s_cbranch_execnz .LBB114_525
; %bb.526:
	s_or_b64 exec, exec, s[10:11]
.LBB114_527:
	s_or_b64 exec, exec, s[8:9]
	v_mov_b32_e32 v107, 0
	ds_read_b32 v107, v107 offset:16
	s_waitcnt lgkmcnt(0)
	v_mul_f32_e32 v106, v106, v107
	buffer_store_dword v106, off, s[0:3], 0 offset:16
.LBB114_528:
	s_or_b64 exec, exec, s[6:7]
	buffer_load_dword v106, off, s[0:3], 0 offset:20
	v_cmp_gt_u32_e32 vcc, 5, v0
	s_waitcnt vmcnt(0)
	ds_write_b32 v104, v106
	s_waitcnt lgkmcnt(0)
	; wave barrier
	s_and_saveexec_b64 s[6:7], vcc
	s_cbranch_execz .LBB114_538
; %bb.529:
	s_and_b64 vcc, exec, s[4:5]
	s_cbranch_vccnz .LBB114_531
; %bb.530:
	buffer_load_dword v106, v105, s[0:3], 0 offen
	ds_read_b32 v107, v104
	s_waitcnt vmcnt(0) lgkmcnt(0)
	v_mul_f32_e32 v106, v106, v107
	s_cbranch_execz .LBB114_532
	s_branch .LBB114_533
.LBB114_531:
                                        ; implicit-def: $vgpr106
.LBB114_532:
	ds_read_b32 v106, v104
.LBB114_533:
	v_cmp_ne_u32_e32 vcc, 4, v0
	s_and_saveexec_b64 s[8:9], vcc
	s_cbranch_execz .LBB114_537
; %bb.534:
	s_mov_b32 s10, 0
	v_add_u32_e32 v107, 0xd4, v103
	v_add3_u32 v108, v103, s10, 4
	s_mov_b64 s[10:11], 0
	v_mov_b32_e32 v109, v0
.LBB114_535:                            ; =>This Inner Loop Header: Depth=1
	buffer_load_dword v110, v108, s[0:3], 0 offen
	ds_read_b32 v111, v107
	v_add_u32_e32 v109, 1, v109
	v_cmp_lt_u32_e32 vcc, 3, v109
	v_add_u32_e32 v107, 4, v107
	v_add_u32_e32 v108, 4, v108
	s_or_b64 s[10:11], vcc, s[10:11]
	s_waitcnt vmcnt(0) lgkmcnt(0)
	v_fmac_f32_e32 v106, v110, v111
	s_andn2_b64 exec, exec, s[10:11]
	s_cbranch_execnz .LBB114_535
; %bb.536:
	s_or_b64 exec, exec, s[10:11]
.LBB114_537:
	s_or_b64 exec, exec, s[8:9]
	v_mov_b32_e32 v107, 0
	ds_read_b32 v107, v107 offset:20
	s_waitcnt lgkmcnt(0)
	v_mul_f32_e32 v106, v106, v107
	buffer_store_dword v106, off, s[0:3], 0 offset:20
.LBB114_538:
	;; [unrolled: 55-line block ×45, first 2 shown]
	s_or_b64 exec, exec, s[6:7]
	buffer_load_dword v106, off, s[0:3], 0 offset:196
	v_cmp_gt_u32_e64 s[6:7], 49, v0
	s_waitcnt vmcnt(0)
	ds_write_b32 v104, v106
	s_waitcnt lgkmcnt(0)
	; wave barrier
	s_and_saveexec_b64 s[8:9], s[6:7]
	s_cbranch_execz .LBB114_978
; %bb.969:
	s_and_b64 vcc, exec, s[4:5]
	s_cbranch_vccnz .LBB114_971
; %bb.970:
	buffer_load_dword v106, v105, s[0:3], 0 offen
	ds_read_b32 v107, v104
	s_waitcnt vmcnt(0) lgkmcnt(0)
	v_mul_f32_e32 v106, v106, v107
	s_cbranch_execz .LBB114_972
	s_branch .LBB114_973
.LBB114_971:
                                        ; implicit-def: $vgpr106
.LBB114_972:
	ds_read_b32 v106, v104
.LBB114_973:
	v_cmp_ne_u32_e32 vcc, 48, v0
	s_and_saveexec_b64 s[10:11], vcc
	s_cbranch_execz .LBB114_977
; %bb.974:
	s_mov_b32 s12, 0
	v_add_u32_e32 v107, 0xd4, v103
	v_add3_u32 v108, v103, s12, 4
	s_mov_b64 s[12:13], 0
	v_mov_b32_e32 v109, v0
.LBB114_975:                            ; =>This Inner Loop Header: Depth=1
	buffer_load_dword v110, v108, s[0:3], 0 offen
	ds_read_b32 v111, v107
	v_add_u32_e32 v109, 1, v109
	v_cmp_lt_u32_e32 vcc, 47, v109
	v_add_u32_e32 v107, 4, v107
	v_add_u32_e32 v108, 4, v108
	s_or_b64 s[12:13], vcc, s[12:13]
	s_waitcnt vmcnt(0) lgkmcnt(0)
	v_fmac_f32_e32 v106, v110, v111
	s_andn2_b64 exec, exec, s[12:13]
	s_cbranch_execnz .LBB114_975
; %bb.976:
	s_or_b64 exec, exec, s[12:13]
.LBB114_977:
	s_or_b64 exec, exec, s[10:11]
	v_mov_b32_e32 v107, 0
	ds_read_b32 v107, v107 offset:196
	s_waitcnt lgkmcnt(0)
	v_mul_f32_e32 v106, v106, v107
	buffer_store_dword v106, off, s[0:3], 0 offset:196
.LBB114_978:
	s_or_b64 exec, exec, s[8:9]
	buffer_load_dword v106, off, s[0:3], 0 offset:200
	v_cmp_ne_u32_e32 vcc, 50, v0
	s_waitcnt vmcnt(0)
	ds_write_b32 v104, v106
	s_waitcnt lgkmcnt(0)
	; wave barrier
	s_and_saveexec_b64 s[8:9], vcc
	s_cbranch_execz .LBB114_988
; %bb.979:
	s_and_b64 vcc, exec, s[4:5]
	s_cbranch_vccnz .LBB114_981
; %bb.980:
	buffer_load_dword v105, v105, s[0:3], 0 offen
	ds_read_b32 v106, v104
	s_waitcnt vmcnt(0) lgkmcnt(0)
	v_mul_f32_e32 v105, v105, v106
	s_cbranch_execz .LBB114_982
	s_branch .LBB114_983
.LBB114_981:
                                        ; implicit-def: $vgpr105
.LBB114_982:
	ds_read_b32 v105, v104
.LBB114_983:
	s_and_saveexec_b64 s[4:5], s[6:7]
	s_cbranch_execz .LBB114_987
; %bb.984:
	s_mov_b32 s6, 0
	v_add_u32_e32 v104, 0xd4, v103
	v_add3_u32 v103, v103, s6, 4
	s_mov_b64 s[6:7], 0
.LBB114_985:                            ; =>This Inner Loop Header: Depth=1
	buffer_load_dword v106, v103, s[0:3], 0 offen
	ds_read_b32 v107, v104
	v_add_u32_e32 v0, 1, v0
	v_cmp_lt_u32_e32 vcc, 48, v0
	v_add_u32_e32 v104, 4, v104
	v_add_u32_e32 v103, 4, v103
	s_or_b64 s[6:7], vcc, s[6:7]
	s_waitcnt vmcnt(0) lgkmcnt(0)
	v_fmac_f32_e32 v105, v106, v107
	s_andn2_b64 exec, exec, s[6:7]
	s_cbranch_execnz .LBB114_985
; %bb.986:
	s_or_b64 exec, exec, s[6:7]
.LBB114_987:
	s_or_b64 exec, exec, s[4:5]
	v_mov_b32_e32 v0, 0
	ds_read_b32 v0, v0 offset:200
	s_waitcnt lgkmcnt(0)
	v_mul_f32_e32 v0, v105, v0
	buffer_store_dword v0, off, s[0:3], 0 offset:200
.LBB114_988:
	s_or_b64 exec, exec, s[8:9]
.LBB114_989:
	buffer_load_dword v0, off, s[0:3], 0
	s_waitcnt vmcnt(0)
	flat_store_dword v[1:2], v0
	buffer_load_dword v0, off, s[0:3], 0 offset:4
	s_waitcnt vmcnt(0)
	flat_store_dword v[3:4], v0
	buffer_load_dword v0, off, s[0:3], 0 offset:8
	;; [unrolled: 3-line block ×50, first 2 shown]
	s_waitcnt vmcnt(0)
	flat_store_dword v[101:102], v0
.LBB114_990:
	s_endpgm
	.section	.rodata,"a",@progbits
	.p2align	6, 0x0
	.amdhsa_kernel _ZN9rocsolver6v33100L18trti2_kernel_smallILi51EfPKPfEEv13rocblas_fill_17rocblas_diagonal_T1_iil
		.amdhsa_group_segment_fixed_size 412
		.amdhsa_private_segment_fixed_size 208
		.amdhsa_kernarg_size 32
		.amdhsa_user_sgpr_count 6
		.amdhsa_user_sgpr_private_segment_buffer 1
		.amdhsa_user_sgpr_dispatch_ptr 0
		.amdhsa_user_sgpr_queue_ptr 0
		.amdhsa_user_sgpr_kernarg_segment_ptr 1
		.amdhsa_user_sgpr_dispatch_id 0
		.amdhsa_user_sgpr_flat_scratch_init 0
		.amdhsa_user_sgpr_private_segment_size 0
		.amdhsa_uses_dynamic_stack 0
		.amdhsa_system_sgpr_private_segment_wavefront_offset 1
		.amdhsa_system_sgpr_workgroup_id_x 1
		.amdhsa_system_sgpr_workgroup_id_y 0
		.amdhsa_system_sgpr_workgroup_id_z 0
		.amdhsa_system_sgpr_workgroup_info 0
		.amdhsa_system_vgpr_workitem_id 0
		.amdhsa_next_free_vgpr 112
		.amdhsa_next_free_sgpr 64
		.amdhsa_reserve_vcc 1
		.amdhsa_reserve_flat_scratch 0
		.amdhsa_float_round_mode_32 0
		.amdhsa_float_round_mode_16_64 0
		.amdhsa_float_denorm_mode_32 3
		.amdhsa_float_denorm_mode_16_64 3
		.amdhsa_dx10_clamp 1
		.amdhsa_ieee_mode 1
		.amdhsa_fp16_overflow 0
		.amdhsa_exception_fp_ieee_invalid_op 0
		.amdhsa_exception_fp_denorm_src 0
		.amdhsa_exception_fp_ieee_div_zero 0
		.amdhsa_exception_fp_ieee_overflow 0
		.amdhsa_exception_fp_ieee_underflow 0
		.amdhsa_exception_fp_ieee_inexact 0
		.amdhsa_exception_int_div_zero 0
	.end_amdhsa_kernel
	.section	.text._ZN9rocsolver6v33100L18trti2_kernel_smallILi51EfPKPfEEv13rocblas_fill_17rocblas_diagonal_T1_iil,"axG",@progbits,_ZN9rocsolver6v33100L18trti2_kernel_smallILi51EfPKPfEEv13rocblas_fill_17rocblas_diagonal_T1_iil,comdat
.Lfunc_end114:
	.size	_ZN9rocsolver6v33100L18trti2_kernel_smallILi51EfPKPfEEv13rocblas_fill_17rocblas_diagonal_T1_iil, .Lfunc_end114-_ZN9rocsolver6v33100L18trti2_kernel_smallILi51EfPKPfEEv13rocblas_fill_17rocblas_diagonal_T1_iil
                                        ; -- End function
	.set _ZN9rocsolver6v33100L18trti2_kernel_smallILi51EfPKPfEEv13rocblas_fill_17rocblas_diagonal_T1_iil.num_vgpr, 112
	.set _ZN9rocsolver6v33100L18trti2_kernel_smallILi51EfPKPfEEv13rocblas_fill_17rocblas_diagonal_T1_iil.num_agpr, 0
	.set _ZN9rocsolver6v33100L18trti2_kernel_smallILi51EfPKPfEEv13rocblas_fill_17rocblas_diagonal_T1_iil.numbered_sgpr, 64
	.set _ZN9rocsolver6v33100L18trti2_kernel_smallILi51EfPKPfEEv13rocblas_fill_17rocblas_diagonal_T1_iil.num_named_barrier, 0
	.set _ZN9rocsolver6v33100L18trti2_kernel_smallILi51EfPKPfEEv13rocblas_fill_17rocblas_diagonal_T1_iil.private_seg_size, 208
	.set _ZN9rocsolver6v33100L18trti2_kernel_smallILi51EfPKPfEEv13rocblas_fill_17rocblas_diagonal_T1_iil.uses_vcc, 1
	.set _ZN9rocsolver6v33100L18trti2_kernel_smallILi51EfPKPfEEv13rocblas_fill_17rocblas_diagonal_T1_iil.uses_flat_scratch, 0
	.set _ZN9rocsolver6v33100L18trti2_kernel_smallILi51EfPKPfEEv13rocblas_fill_17rocblas_diagonal_T1_iil.has_dyn_sized_stack, 0
	.set _ZN9rocsolver6v33100L18trti2_kernel_smallILi51EfPKPfEEv13rocblas_fill_17rocblas_diagonal_T1_iil.has_recursion, 0
	.set _ZN9rocsolver6v33100L18trti2_kernel_smallILi51EfPKPfEEv13rocblas_fill_17rocblas_diagonal_T1_iil.has_indirect_call, 0
	.section	.AMDGPU.csdata,"",@progbits
; Kernel info:
; codeLenInByte = 24784
; TotalNumSgprs: 68
; NumVgprs: 112
; ScratchSize: 208
; MemoryBound: 0
; FloatMode: 240
; IeeeMode: 1
; LDSByteSize: 412 bytes/workgroup (compile time only)
; SGPRBlocks: 8
; VGPRBlocks: 27
; NumSGPRsForWavesPerEU: 68
; NumVGPRsForWavesPerEU: 112
; Occupancy: 2
; WaveLimiterHint : 1
; COMPUTE_PGM_RSRC2:SCRATCH_EN: 1
; COMPUTE_PGM_RSRC2:USER_SGPR: 6
; COMPUTE_PGM_RSRC2:TRAP_HANDLER: 0
; COMPUTE_PGM_RSRC2:TGID_X_EN: 1
; COMPUTE_PGM_RSRC2:TGID_Y_EN: 0
; COMPUTE_PGM_RSRC2:TGID_Z_EN: 0
; COMPUTE_PGM_RSRC2:TIDIG_COMP_CNT: 0
	.section	.text._ZN9rocsolver6v33100L18trti2_kernel_smallILi52EfPKPfEEv13rocblas_fill_17rocblas_diagonal_T1_iil,"axG",@progbits,_ZN9rocsolver6v33100L18trti2_kernel_smallILi52EfPKPfEEv13rocblas_fill_17rocblas_diagonal_T1_iil,comdat
	.globl	_ZN9rocsolver6v33100L18trti2_kernel_smallILi52EfPKPfEEv13rocblas_fill_17rocblas_diagonal_T1_iil ; -- Begin function _ZN9rocsolver6v33100L18trti2_kernel_smallILi52EfPKPfEEv13rocblas_fill_17rocblas_diagonal_T1_iil
	.p2align	8
	.type	_ZN9rocsolver6v33100L18trti2_kernel_smallILi52EfPKPfEEv13rocblas_fill_17rocblas_diagonal_T1_iil,@function
_ZN9rocsolver6v33100L18trti2_kernel_smallILi52EfPKPfEEv13rocblas_fill_17rocblas_diagonal_T1_iil: ; @_ZN9rocsolver6v33100L18trti2_kernel_smallILi52EfPKPfEEv13rocblas_fill_17rocblas_diagonal_T1_iil
; %bb.0:
	s_add_u32 s0, s0, s7
	s_addc_u32 s1, s1, 0
	v_cmp_gt_u32_e32 vcc, 52, v0
	s_and_saveexec_b64 s[8:9], vcc
	s_cbranch_execz .LBB115_1010
; %bb.1:
	s_load_dwordx2 s[12:13], s[4:5], 0x10
	s_load_dwordx4 s[8:11], s[4:5], 0x0
	s_ashr_i32 s7, s6, 31
	s_lshl_b64 s[6:7], s[6:7], 3
	v_lshlrev_b32_e32 v105, 2, v0
	s_waitcnt lgkmcnt(0)
	s_ashr_i32 s5, s12, 31
	s_add_u32 s6, s10, s6
	s_addc_u32 s7, s11, s7
	s_load_dwordx2 s[6:7], s[6:7], 0x0
	s_mov_b32 s4, s12
	s_lshl_b64 s[4:5], s[4:5], 2
	s_movk_i32 s12, 0x84
	s_waitcnt lgkmcnt(0)
	s_add_u32 s4, s6, s4
	s_addc_u32 s5, s7, s5
	v_mov_b32_e32 v2, s5
	v_add_co_u32_e32 v1, vcc, s4, v105
	v_addc_co_u32_e32 v2, vcc, 0, v2, vcc
	flat_load_dword v5, v[1:2]
	s_mov_b32 s6, s13
	s_ashr_i32 s7, s13, 31
	s_lshl_b64 s[6:7], s[6:7], 2
	v_mov_b32_e32 v4, s7
	v_add_co_u32_e32 v3, vcc, s6, v1
	v_addc_co_u32_e32 v4, vcc, v2, v4, vcc
	s_add_i32 s6, s13, s13
	v_add_u32_e32 v7, s6, v0
	v_ashrrev_i32_e32 v8, 31, v7
	v_mov_b32_e32 v10, s5
	v_mov_b32_e32 v12, s5
	;; [unrolled: 1-line block ×49, first 2 shown]
	s_cmpk_lg_i32 s9, 0x84
	s_cselect_b64 s[10:11], -1, 0
	s_cmpk_eq_i32 s9, 0x84
	s_waitcnt vmcnt(0) lgkmcnt(0)
	buffer_store_dword v5, off, s[0:3], 0
	flat_load_dword v9, v[3:4]
	v_lshlrev_b64 v[5:6], 2, v[7:8]
	v_add_co_u32_e32 v5, vcc, s4, v5
	v_addc_co_u32_e32 v6, vcc, v10, v6, vcc
	s_waitcnt vmcnt(0) lgkmcnt(0)
	buffer_store_dword v9, off, s[0:3], 0 offset:4
	flat_load_dword v11, v[5:6]
	v_add_u32_e32 v9, s13, v7
	v_ashrrev_i32_e32 v10, 31, v9
	v_lshlrev_b64 v[7:8], 2, v[9:10]
	v_add_co_u32_e32 v7, vcc, s4, v7
	v_addc_co_u32_e32 v8, vcc, v12, v8, vcc
	s_waitcnt vmcnt(0) lgkmcnt(0)
	buffer_store_dword v11, off, s[0:3], 0 offset:8
	flat_load_dword v13, v[7:8]
	v_add_u32_e32 v11, s13, v9
	v_ashrrev_i32_e32 v12, 31, v11
	;; [unrolled: 8-line block ×48, first 2 shown]
	v_lshlrev_b64 v[101:102], 2, v[103:104]
	v_add_u32_e32 v103, s13, v103
	v_add_co_u32_e32 v101, vcc, s4, v101
	v_addc_co_u32_e32 v102, vcc, v107, v102, vcc
	v_ashrrev_i32_e32 v104, 31, v103
	v_lshlrev_b64 v[103:104], 2, v[103:104]
	v_add_co_u32_e32 v103, vcc, s4, v103
	v_addc_co_u32_e32 v104, vcc, v107, v104, vcc
	s_waitcnt vmcnt(0) lgkmcnt(0)
	buffer_store_dword v106, off, s[0:3], 0 offset:196
	flat_load_dword v106, v[101:102]
	s_waitcnt vmcnt(0) lgkmcnt(0)
	buffer_store_dword v106, off, s[0:3], 0 offset:200
	flat_load_dword v106, v[103:104]
	s_waitcnt vmcnt(0) lgkmcnt(0)
	buffer_store_dword v106, off, s[0:3], 0 offset:204
	v_mov_b32_e32 v106, -1.0
	s_cbranch_scc1 .LBB115_3
; %bb.2:
	v_mov_b32_e32 v106, 0
	v_lshl_add_u32 v106, v0, 2, v106
	buffer_load_dword v107, v106, s[0:3], 0 offen
	s_waitcnt vmcnt(0)
	v_div_scale_f32 v108, s[4:5], v107, v107, 1.0
	v_div_scale_f32 v109, vcc, 1.0, v107, 1.0
	v_rcp_f32_e32 v110, v108
	v_fma_f32 v111, -v108, v110, 1.0
	v_fmac_f32_e32 v110, v111, v110
	v_mul_f32_e32 v111, v109, v110
	v_fma_f32 v112, -v108, v111, v109
	v_fmac_f32_e32 v111, v112, v110
	v_fma_f32 v108, -v108, v111, v109
	v_div_fmas_f32 v108, v108, v110, v111
	v_div_fixup_f32 v107, v108, v107, 1.0
	buffer_store_dword v107, v106, s[0:3], 0 offen
	v_xor_b32_e32 v106, 0x80000000, v107
.LBB115_3:
	ds_write_b32 v105, v106
	s_cmpk_eq_i32 s8, 0x79
	v_add_u32_e32 v106, 0xd0, v105
	v_mov_b32_e32 v107, v105
	s_mov_b64 s[4:5], -1
	s_cbranch_scc1 .LBB115_507
; %bb.4:
	buffer_load_dword v108, off, s[0:3], 0 offset:200
	s_movk_i32 s30, 0x44
	s_movk_i32 s31, 0x48
	;; [unrolled: 1-line block ×32, first 2 shown]
	v_cmp_eq_u32_e64 s[4:5], 51, v0
	s_waitcnt vmcnt(0)
	ds_write_b32 v106, v108
	s_waitcnt lgkmcnt(0)
	; wave barrier
	s_and_saveexec_b64 s[6:7], s[4:5]
	s_cbranch_execz .LBB115_10
; %bb.5:
	s_and_b64 vcc, exec, s[10:11]
	s_cbranch_vccz .LBB115_7
; %bb.6:
	buffer_load_dword v108, v107, s[0:3], 0 offen
	ds_read_b32 v109, v106
	s_waitcnt vmcnt(0) lgkmcnt(0)
	v_mul_f32_e32 v108, v108, v109
	s_cbranch_execz .LBB115_8
	s_branch .LBB115_9
.LBB115_7:
                                        ; implicit-def: $vgpr108
.LBB115_8:
	ds_read_b32 v108, v106
.LBB115_9:
	v_mov_b32_e32 v109, 0
	ds_read_b32 v109, v109 offset:200
	s_waitcnt lgkmcnt(0)
	v_mul_f32_e32 v108, v108, v109
	buffer_store_dword v108, off, s[0:3], 0 offset:200
.LBB115_10:
	s_or_b64 exec, exec, s[6:7]
	buffer_load_dword v108, off, s[0:3], 0 offset:196
	s_or_b32 s14, 0, 4
	s_or_b32 s15, 0, 8
	s_or_b32 s16, 0, 12
	s_mov_b32 s17, 16
	s_mov_b32 s18, 20
	;; [unrolled: 1-line block ×15, first 2 shown]
	v_cmp_lt_u32_e64 s[6:7], 49, v0
	s_waitcnt vmcnt(0)
	ds_write_b32 v106, v108
	s_waitcnt lgkmcnt(0)
	; wave barrier
	s_and_saveexec_b64 s[8:9], s[6:7]
	s_cbranch_execz .LBB115_16
; %bb.11:
	s_andn2_b64 vcc, exec, s[10:11]
	s_cbranch_vccnz .LBB115_13
; %bb.12:
	buffer_load_dword v108, v107, s[0:3], 0 offen
	ds_read_b32 v109, v106
	s_waitcnt vmcnt(0) lgkmcnt(0)
	v_mul_f32_e32 v108, v108, v109
	s_cbranch_execz .LBB115_14
	s_branch .LBB115_15
.LBB115_13:
                                        ; implicit-def: $vgpr108
.LBB115_14:
	ds_read_b32 v108, v106
.LBB115_15:
	buffer_load_dword v111, off, s[0:3], 0 offset:200
	v_mov_b32_e32 v109, 0
	ds_read2_b32 v[109:110], v109 offset0:49 offset1:102
	s_waitcnt vmcnt(0) lgkmcnt(0)
	v_fma_f32 v110, v111, v110, v108
	v_cndmask_b32_e64 v108, v108, v110, s[4:5]
	v_mul_f32_e32 v108, v108, v109
	buffer_store_dword v108, off, s[0:3], 0 offset:196
.LBB115_16:
	s_or_b64 exec, exec, s[8:9]
	buffer_load_dword v108, off, s[0:3], 0 offset:192
	v_cmp_lt_u32_e64 s[4:5], 48, v0
	s_waitcnt vmcnt(0)
	ds_write_b32 v106, v108
	s_waitcnt lgkmcnt(0)
	; wave barrier
	s_and_saveexec_b64 s[8:9], s[4:5]
	s_cbranch_execz .LBB115_26
; %bb.17:
	s_andn2_b64 vcc, exec, s[10:11]
	s_cbranch_vccnz .LBB115_19
; %bb.18:
	buffer_load_dword v108, v107, s[0:3], 0 offen
	ds_read_b32 v109, v106
	s_waitcnt vmcnt(0) lgkmcnt(0)
	v_mul_f32_e32 v108, v108, v109
	s_cbranch_execz .LBB115_20
	s_branch .LBB115_21
.LBB115_19:
                                        ; implicit-def: $vgpr108
.LBB115_20:
	ds_read_b32 v108, v106
.LBB115_21:
	s_and_saveexec_b64 s[12:13], s[6:7]
	s_cbranch_execz .LBB115_25
; %bb.22:
	v_subrev_u32_e32 v109, 49, v0
	s_movk_i32 s64, 0x194
	s_mov_b64 s[6:7], 0
.LBB115_23:                             ; =>This Inner Loop Header: Depth=1
	v_mov_b32_e32 v110, s63
	buffer_load_dword v110, v110, s[0:3], 0 offen
	v_mov_b32_e32 v111, s64
	ds_read_b32 v111, v111
	v_add_u32_e32 v109, -1, v109
	s_add_i32 s64, s64, 4
	s_add_i32 s63, s63, 4
	v_cmp_eq_u32_e32 vcc, 0, v109
	s_or_b64 s[6:7], vcc, s[6:7]
	s_waitcnt vmcnt(0) lgkmcnt(0)
	v_fmac_f32_e32 v108, v110, v111
	s_andn2_b64 exec, exec, s[6:7]
	s_cbranch_execnz .LBB115_23
; %bb.24:
	s_or_b64 exec, exec, s[6:7]
.LBB115_25:
	s_or_b64 exec, exec, s[12:13]
	v_mov_b32_e32 v109, 0
	ds_read_b32 v109, v109 offset:192
	s_waitcnt lgkmcnt(0)
	v_mul_f32_e32 v108, v108, v109
	buffer_store_dword v108, off, s[0:3], 0 offset:192
.LBB115_26:
	s_or_b64 exec, exec, s[8:9]
	buffer_load_dword v108, off, s[0:3], 0 offset:188
	v_cmp_lt_u32_e64 s[6:7], 47, v0
	s_waitcnt vmcnt(0)
	ds_write_b32 v106, v108
	s_waitcnt lgkmcnt(0)
	; wave barrier
	s_and_saveexec_b64 s[8:9], s[6:7]
	s_cbranch_execz .LBB115_36
; %bb.27:
	s_andn2_b64 vcc, exec, s[10:11]
	s_cbranch_vccnz .LBB115_29
; %bb.28:
	buffer_load_dword v108, v107, s[0:3], 0 offen
	ds_read_b32 v109, v106
	s_waitcnt vmcnt(0) lgkmcnt(0)
	v_mul_f32_e32 v108, v108, v109
	s_cbranch_execz .LBB115_30
	s_branch .LBB115_31
.LBB115_29:
                                        ; implicit-def: $vgpr108
.LBB115_30:
	ds_read_b32 v108, v106
.LBB115_31:
	s_and_saveexec_b64 s[12:13], s[4:5]
	s_cbranch_execz .LBB115_35
; %bb.32:
	v_subrev_u32_e32 v109, 48, v0
	s_movk_i32 s63, 0x190
	s_mov_b64 s[4:5], 0
.LBB115_33:                             ; =>This Inner Loop Header: Depth=1
	v_mov_b32_e32 v110, s62
	buffer_load_dword v110, v110, s[0:3], 0 offen
	v_mov_b32_e32 v111, s63
	ds_read_b32 v111, v111
	v_add_u32_e32 v109, -1, v109
	s_add_i32 s63, s63, 4
	s_add_i32 s62, s62, 4
	v_cmp_eq_u32_e32 vcc, 0, v109
	s_or_b64 s[4:5], vcc, s[4:5]
	s_waitcnt vmcnt(0) lgkmcnt(0)
	v_fmac_f32_e32 v108, v110, v111
	s_andn2_b64 exec, exec, s[4:5]
	s_cbranch_execnz .LBB115_33
; %bb.34:
	s_or_b64 exec, exec, s[4:5]
.LBB115_35:
	s_or_b64 exec, exec, s[12:13]
	v_mov_b32_e32 v109, 0
	ds_read_b32 v109, v109 offset:188
	s_waitcnt lgkmcnt(0)
	v_mul_f32_e32 v108, v108, v109
	buffer_store_dword v108, off, s[0:3], 0 offset:188
.LBB115_36:
	;; [unrolled: 54-line block ×8, first 2 shown]
	s_or_b64 exec, exec, s[8:9]
	buffer_load_dword v108, off, s[0:3], 0 offset:160
	v_cmp_lt_u32_e64 s[4:5], 40, v0
	s_waitcnt vmcnt(0)
	ds_write_b32 v106, v108
	s_waitcnt lgkmcnt(0)
	; wave barrier
	s_and_saveexec_b64 s[8:9], s[4:5]
	s_cbranch_execz .LBB115_106
; %bb.97:
	s_andn2_b64 vcc, exec, s[10:11]
	s_cbranch_vccnz .LBB115_99
; %bb.98:
	buffer_load_dword v108, v107, s[0:3], 0 offen
	ds_read_b32 v109, v106
	s_waitcnt vmcnt(0) lgkmcnt(0)
	v_mul_f32_e32 v108, v108, v109
	s_cbranch_execz .LBB115_100
	s_branch .LBB115_101
.LBB115_99:
                                        ; implicit-def: $vgpr108
.LBB115_100:
	ds_read_b32 v108, v106
.LBB115_101:
	s_and_saveexec_b64 s[12:13], s[6:7]
	s_cbranch_execz .LBB115_105
; %bb.102:
	v_subrev_u32_e32 v109, 41, v0
	s_movk_i32 s56, 0x174
	s_mov_b64 s[6:7], 0
.LBB115_103:                            ; =>This Inner Loop Header: Depth=1
	v_mov_b32_e32 v110, s55
	buffer_load_dword v110, v110, s[0:3], 0 offen
	v_mov_b32_e32 v111, s56
	ds_read_b32 v111, v111
	v_add_u32_e32 v109, -1, v109
	s_add_i32 s56, s56, 4
	s_add_i32 s55, s55, 4
	v_cmp_eq_u32_e32 vcc, 0, v109
	s_or_b64 s[6:7], vcc, s[6:7]
	s_waitcnt vmcnt(0) lgkmcnt(0)
	v_fmac_f32_e32 v108, v110, v111
	s_andn2_b64 exec, exec, s[6:7]
	s_cbranch_execnz .LBB115_103
; %bb.104:
	s_or_b64 exec, exec, s[6:7]
.LBB115_105:
	s_or_b64 exec, exec, s[12:13]
	v_mov_b32_e32 v109, 0
	ds_read_b32 v109, v109 offset:160
	s_waitcnt lgkmcnt(0)
	v_mul_f32_e32 v108, v108, v109
	buffer_store_dword v108, off, s[0:3], 0 offset:160
.LBB115_106:
	s_or_b64 exec, exec, s[8:9]
	buffer_load_dword v108, off, s[0:3], 0 offset:156
	v_cmp_lt_u32_e64 s[6:7], 39, v0
	s_waitcnt vmcnt(0)
	ds_write_b32 v106, v108
	s_waitcnt lgkmcnt(0)
	; wave barrier
	s_and_saveexec_b64 s[8:9], s[6:7]
	s_cbranch_execz .LBB115_116
; %bb.107:
	s_andn2_b64 vcc, exec, s[10:11]
	s_cbranch_vccnz .LBB115_109
; %bb.108:
	buffer_load_dword v108, v107, s[0:3], 0 offen
	ds_read_b32 v109, v106
	s_waitcnt vmcnt(0) lgkmcnt(0)
	v_mul_f32_e32 v108, v108, v109
	s_cbranch_execz .LBB115_110
	s_branch .LBB115_111
.LBB115_109:
                                        ; implicit-def: $vgpr108
.LBB115_110:
	ds_read_b32 v108, v106
.LBB115_111:
	s_and_saveexec_b64 s[12:13], s[4:5]
	s_cbranch_execz .LBB115_115
; %bb.112:
	v_subrev_u32_e32 v109, 40, v0
	s_movk_i32 s55, 0x170
	s_mov_b64 s[4:5], 0
.LBB115_113:                            ; =>This Inner Loop Header: Depth=1
	v_mov_b32_e32 v110, s54
	buffer_load_dword v110, v110, s[0:3], 0 offen
	v_mov_b32_e32 v111, s55
	ds_read_b32 v111, v111
	v_add_u32_e32 v109, -1, v109
	s_add_i32 s55, s55, 4
	s_add_i32 s54, s54, 4
	v_cmp_eq_u32_e32 vcc, 0, v109
	s_or_b64 s[4:5], vcc, s[4:5]
	s_waitcnt vmcnt(0) lgkmcnt(0)
	v_fmac_f32_e32 v108, v110, v111
	s_andn2_b64 exec, exec, s[4:5]
	s_cbranch_execnz .LBB115_113
; %bb.114:
	s_or_b64 exec, exec, s[4:5]
.LBB115_115:
	s_or_b64 exec, exec, s[12:13]
	v_mov_b32_e32 v109, 0
	ds_read_b32 v109, v109 offset:156
	s_waitcnt lgkmcnt(0)
	v_mul_f32_e32 v108, v108, v109
	buffer_store_dword v108, off, s[0:3], 0 offset:156
.LBB115_116:
	;; [unrolled: 54-line block ×25, first 2 shown]
	s_or_b64 exec, exec, s[8:9]
	buffer_load_dword v108, off, s[0:3], 0 offset:60
	v_cmp_lt_u32_e64 s[6:7], 15, v0
	s_waitcnt vmcnt(0)
	ds_write_b32 v106, v108
	s_waitcnt lgkmcnt(0)
	; wave barrier
	s_and_saveexec_b64 s[8:9], s[6:7]
	s_cbranch_execz .LBB115_356
; %bb.347:
	s_andn2_b64 vcc, exec, s[10:11]
	s_cbranch_vccnz .LBB115_349
; %bb.348:
	buffer_load_dword v108, v107, s[0:3], 0 offen
	ds_read_b32 v109, v106
	s_waitcnt vmcnt(0) lgkmcnt(0)
	v_mul_f32_e32 v108, v108, v109
	s_cbranch_execz .LBB115_350
	s_branch .LBB115_351
.LBB115_349:
                                        ; implicit-def: $vgpr108
.LBB115_350:
	ds_read_b32 v108, v106
.LBB115_351:
	s_and_saveexec_b64 s[12:13], s[4:5]
	s_cbranch_execz .LBB115_355
; %bb.352:
	v_add_u32_e32 v109, -16, v0
	s_movk_i32 s30, 0x110
	s_mov_b64 s[4:5], 0
.LBB115_353:                            ; =>This Inner Loop Header: Depth=1
	v_mov_b32_e32 v110, s29
	buffer_load_dword v110, v110, s[0:3], 0 offen
	v_mov_b32_e32 v111, s30
	ds_read_b32 v111, v111
	v_add_u32_e32 v109, -1, v109
	s_add_i32 s30, s30, 4
	s_add_i32 s29, s29, 4
	v_cmp_eq_u32_e32 vcc, 0, v109
	s_or_b64 s[4:5], vcc, s[4:5]
	s_waitcnt vmcnt(0) lgkmcnt(0)
	v_fmac_f32_e32 v108, v110, v111
	s_andn2_b64 exec, exec, s[4:5]
	s_cbranch_execnz .LBB115_353
; %bb.354:
	s_or_b64 exec, exec, s[4:5]
.LBB115_355:
	s_or_b64 exec, exec, s[12:13]
	v_mov_b32_e32 v109, 0
	ds_read_b32 v109, v109 offset:60
	s_waitcnt lgkmcnt(0)
	v_mul_f32_e32 v108, v108, v109
	buffer_store_dword v108, off, s[0:3], 0 offset:60
.LBB115_356:
	s_or_b64 exec, exec, s[8:9]
	buffer_load_dword v108, off, s[0:3], 0 offset:56
	v_cmp_lt_u32_e64 s[4:5], 14, v0
	s_waitcnt vmcnt(0)
	ds_write_b32 v106, v108
	s_waitcnt lgkmcnt(0)
	; wave barrier
	s_and_saveexec_b64 s[8:9], s[4:5]
	s_cbranch_execz .LBB115_366
; %bb.357:
	s_andn2_b64 vcc, exec, s[10:11]
	s_cbranch_vccnz .LBB115_359
; %bb.358:
	buffer_load_dword v108, v107, s[0:3], 0 offen
	ds_read_b32 v109, v106
	s_waitcnt vmcnt(0) lgkmcnt(0)
	v_mul_f32_e32 v108, v108, v109
	s_cbranch_execz .LBB115_360
	s_branch .LBB115_361
.LBB115_359:
                                        ; implicit-def: $vgpr108
.LBB115_360:
	ds_read_b32 v108, v106
.LBB115_361:
	s_and_saveexec_b64 s[12:13], s[6:7]
	s_cbranch_execz .LBB115_365
; %bb.362:
	v_add_u32_e32 v109, -15, v0
	s_movk_i32 s29, 0x10c
	s_mov_b64 s[6:7], 0
.LBB115_363:                            ; =>This Inner Loop Header: Depth=1
	v_mov_b32_e32 v110, s28
	buffer_load_dword v110, v110, s[0:3], 0 offen
	v_mov_b32_e32 v111, s29
	ds_read_b32 v111, v111
	v_add_u32_e32 v109, -1, v109
	s_add_i32 s29, s29, 4
	s_add_i32 s28, s28, 4
	v_cmp_eq_u32_e32 vcc, 0, v109
	s_or_b64 s[6:7], vcc, s[6:7]
	s_waitcnt vmcnt(0) lgkmcnt(0)
	v_fmac_f32_e32 v108, v110, v111
	s_andn2_b64 exec, exec, s[6:7]
	s_cbranch_execnz .LBB115_363
; %bb.364:
	s_or_b64 exec, exec, s[6:7]
.LBB115_365:
	s_or_b64 exec, exec, s[12:13]
	v_mov_b32_e32 v109, 0
	ds_read_b32 v109, v109 offset:56
	s_waitcnt lgkmcnt(0)
	v_mul_f32_e32 v108, v108, v109
	buffer_store_dword v108, off, s[0:3], 0 offset:56
.LBB115_366:
	;; [unrolled: 54-line block ×15, first 2 shown]
	s_or_b64 exec, exec, s[8:9]
	buffer_load_dword v108, off, s[0:3], 0
	v_cmp_ne_u32_e32 vcc, 0, v0
	s_waitcnt vmcnt(0)
	ds_write_b32 v106, v108
	s_waitcnt lgkmcnt(0)
	; wave barrier
	s_and_saveexec_b64 s[4:5], vcc
	s_cbranch_execz .LBB115_506
; %bb.497:
	s_andn2_b64 vcc, exec, s[10:11]
	s_cbranch_vccnz .LBB115_499
; %bb.498:
	buffer_load_dword v108, v107, s[0:3], 0 offen
	ds_read_b32 v109, v106
	s_waitcnt vmcnt(0) lgkmcnt(0)
	v_mul_f32_e32 v108, v108, v109
	s_cbranch_execz .LBB115_500
	s_branch .LBB115_501
.LBB115_499:
                                        ; implicit-def: $vgpr108
.LBB115_500:
	ds_read_b32 v108, v106
.LBB115_501:
	s_and_saveexec_b64 s[8:9], s[6:7]
	s_cbranch_execz .LBB115_505
; %bb.502:
	v_add_u32_e32 v109, -1, v0
	s_movk_i32 s12, 0xd4
	s_mov_b64 s[6:7], 0
.LBB115_503:                            ; =>This Inner Loop Header: Depth=1
	v_mov_b32_e32 v110, s14
	buffer_load_dword v110, v110, s[0:3], 0 offen
	v_mov_b32_e32 v111, s12
	ds_read_b32 v111, v111
	v_add_u32_e32 v109, -1, v109
	s_add_i32 s12, s12, 4
	s_add_i32 s14, s14, 4
	v_cmp_eq_u32_e32 vcc, 0, v109
	s_or_b64 s[6:7], vcc, s[6:7]
	s_waitcnt vmcnt(0) lgkmcnt(0)
	v_fmac_f32_e32 v108, v110, v111
	s_andn2_b64 exec, exec, s[6:7]
	s_cbranch_execnz .LBB115_503
; %bb.504:
	s_or_b64 exec, exec, s[6:7]
.LBB115_505:
	s_or_b64 exec, exec, s[8:9]
	v_mov_b32_e32 v109, 0
	ds_read_b32 v109, v109
	s_waitcnt lgkmcnt(0)
	v_mul_f32_e32 v108, v108, v109
	buffer_store_dword v108, off, s[0:3], 0
.LBB115_506:
	s_or_b64 exec, exec, s[4:5]
	s_mov_b64 s[4:5], 0
.LBB115_507:
	s_and_b64 vcc, exec, s[4:5]
	s_cbranch_vccz .LBB115_1009
; %bb.508:
	buffer_load_dword v108, off, s[0:3], 0 offset:4
	v_cmp_eq_u32_e64 s[6:7], 0, v0
	s_waitcnt vmcnt(0)
	ds_write_b32 v106, v108
	s_waitcnt lgkmcnt(0)
	; wave barrier
	s_and_saveexec_b64 s[4:5], s[6:7]
	s_cbranch_execz .LBB115_514
; %bb.509:
	s_and_b64 vcc, exec, s[10:11]
	s_cbranch_vccz .LBB115_511
; %bb.510:
	buffer_load_dword v108, v107, s[0:3], 0 offen
	ds_read_b32 v109, v106
	s_waitcnt vmcnt(0) lgkmcnt(0)
	v_mul_f32_e32 v108, v108, v109
	s_cbranch_execz .LBB115_512
	s_branch .LBB115_513
.LBB115_511:
                                        ; implicit-def: $vgpr108
.LBB115_512:
	ds_read_b32 v108, v106
.LBB115_513:
	v_mov_b32_e32 v109, 0
	ds_read_b32 v109, v109 offset:4
	s_waitcnt lgkmcnt(0)
	v_mul_f32_e32 v108, v108, v109
	buffer_store_dword v108, off, s[0:3], 0 offset:4
.LBB115_514:
	s_or_b64 exec, exec, s[4:5]
	buffer_load_dword v108, off, s[0:3], 0 offset:8
	v_cndmask_b32_e64 v109, 0, 1, s[10:11]
	v_cmp_gt_u32_e32 vcc, 2, v0
	v_cmp_ne_u32_e64 s[4:5], 1, v109
	s_waitcnt vmcnt(0)
	ds_write_b32 v106, v108
	s_waitcnt lgkmcnt(0)
	; wave barrier
	s_and_saveexec_b64 s[8:9], vcc
	s_cbranch_execz .LBB115_520
; %bb.515:
	s_and_b64 vcc, exec, s[4:5]
	s_cbranch_vccnz .LBB115_517
; %bb.516:
	buffer_load_dword v108, v107, s[0:3], 0 offen
	ds_read_b32 v109, v106
	s_waitcnt vmcnt(0) lgkmcnt(0)
	v_mul_f32_e32 v108, v108, v109
	s_cbranch_execz .LBB115_518
	s_branch .LBB115_519
.LBB115_517:
                                        ; implicit-def: $vgpr108
.LBB115_518:
	ds_read_b32 v108, v106
.LBB115_519:
	buffer_load_dword v111, off, s[0:3], 0 offset:4
	v_mov_b32_e32 v109, 0
	ds_read2_b32 v[109:110], v109 offset0:2 offset1:53
	s_waitcnt vmcnt(0) lgkmcnt(0)
	v_fma_f32 v110, v111, v110, v108
	v_cndmask_b32_e64 v108, v108, v110, s[6:7]
	v_mul_f32_e32 v108, v108, v109
	buffer_store_dword v108, off, s[0:3], 0 offset:8
.LBB115_520:
	s_or_b64 exec, exec, s[8:9]
	buffer_load_dword v108, off, s[0:3], 0 offset:12
	v_cmp_gt_u32_e32 vcc, 3, v0
	s_waitcnt vmcnt(0)
	ds_write_b32 v106, v108
	s_waitcnt lgkmcnt(0)
	; wave barrier
	s_and_saveexec_b64 s[8:9], vcc
	s_cbranch_execz .LBB115_528
; %bb.521:
	s_and_b64 vcc, exec, s[4:5]
	s_cbranch_vccnz .LBB115_523
; %bb.522:
	buffer_load_dword v108, v107, s[0:3], 0 offen
	ds_read_b32 v109, v106
	s_waitcnt vmcnt(0) lgkmcnt(0)
	v_mul_f32_e32 v108, v108, v109
	s_cbranch_execz .LBB115_524
	s_branch .LBB115_525
.LBB115_523:
                                        ; implicit-def: $vgpr108
.LBB115_524:
	ds_read_b32 v108, v106
.LBB115_525:
	v_cmp_ne_u32_e32 vcc, 2, v0
	s_and_saveexec_b64 s[10:11], vcc
	s_cbranch_execz .LBB115_527
; %bb.526:
	buffer_load_dword v109, v107, s[0:3], 0 offen offset:4
	buffer_load_dword v110, off, s[0:3], 0 offset:8
	v_mov_b32_e32 v111, 0
	ds_read_b32 v112, v106 offset:4
	ds_read_b32 v111, v111 offset:216
	s_waitcnt vmcnt(1) lgkmcnt(1)
	v_fmac_f32_e32 v108, v109, v112
	s_waitcnt vmcnt(0) lgkmcnt(0)
	v_fma_f32 v109, v110, v111, v108
	v_cndmask_b32_e64 v108, v108, v109, s[6:7]
.LBB115_527:
	s_or_b64 exec, exec, s[10:11]
	v_mov_b32_e32 v109, 0
	ds_read_b32 v109, v109 offset:12
	s_waitcnt lgkmcnt(0)
	v_mul_f32_e32 v108, v108, v109
	buffer_store_dword v108, off, s[0:3], 0 offset:12
.LBB115_528:
	s_or_b64 exec, exec, s[8:9]
	buffer_load_dword v108, off, s[0:3], 0 offset:16
	v_cmp_gt_u32_e32 vcc, 4, v0
	s_waitcnt vmcnt(0)
	ds_write_b32 v106, v108
	s_waitcnt lgkmcnt(0)
	; wave barrier
	s_and_saveexec_b64 s[6:7], vcc
	s_cbranch_execz .LBB115_538
; %bb.529:
	s_and_b64 vcc, exec, s[4:5]
	s_cbranch_vccnz .LBB115_531
; %bb.530:
	buffer_load_dword v108, v107, s[0:3], 0 offen
	ds_read_b32 v109, v106
	s_waitcnt vmcnt(0) lgkmcnt(0)
	v_mul_f32_e32 v108, v108, v109
	s_cbranch_execz .LBB115_532
	s_branch .LBB115_533
.LBB115_531:
                                        ; implicit-def: $vgpr108
.LBB115_532:
	ds_read_b32 v108, v106
.LBB115_533:
	v_cmp_ne_u32_e32 vcc, 3, v0
	s_and_saveexec_b64 s[8:9], vcc
	s_cbranch_execz .LBB115_537
; %bb.534:
	s_mov_b32 s10, 0
	v_add_u32_e32 v109, 0xd4, v105
	v_add3_u32 v110, v105, s10, 4
	s_mov_b64 s[10:11], 0
	v_mov_b32_e32 v111, v0
.LBB115_535:                            ; =>This Inner Loop Header: Depth=1
	buffer_load_dword v112, v110, s[0:3], 0 offen
	ds_read_b32 v113, v109
	v_add_u32_e32 v111, 1, v111
	v_cmp_lt_u32_e32 vcc, 2, v111
	v_add_u32_e32 v109, 4, v109
	v_add_u32_e32 v110, 4, v110
	s_or_b64 s[10:11], vcc, s[10:11]
	s_waitcnt vmcnt(0) lgkmcnt(0)
	v_fmac_f32_e32 v108, v112, v113
	s_andn2_b64 exec, exec, s[10:11]
	s_cbranch_execnz .LBB115_535
; %bb.536:
	s_or_b64 exec, exec, s[10:11]
.LBB115_537:
	s_or_b64 exec, exec, s[8:9]
	v_mov_b32_e32 v109, 0
	ds_read_b32 v109, v109 offset:16
	s_waitcnt lgkmcnt(0)
	v_mul_f32_e32 v108, v108, v109
	buffer_store_dword v108, off, s[0:3], 0 offset:16
.LBB115_538:
	s_or_b64 exec, exec, s[6:7]
	buffer_load_dword v108, off, s[0:3], 0 offset:20
	v_cmp_gt_u32_e32 vcc, 5, v0
	s_waitcnt vmcnt(0)
	ds_write_b32 v106, v108
	s_waitcnt lgkmcnt(0)
	; wave barrier
	s_and_saveexec_b64 s[6:7], vcc
	s_cbranch_execz .LBB115_548
; %bb.539:
	s_and_b64 vcc, exec, s[4:5]
	s_cbranch_vccnz .LBB115_541
; %bb.540:
	buffer_load_dword v108, v107, s[0:3], 0 offen
	ds_read_b32 v109, v106
	s_waitcnt vmcnt(0) lgkmcnt(0)
	v_mul_f32_e32 v108, v108, v109
	s_cbranch_execz .LBB115_542
	s_branch .LBB115_543
.LBB115_541:
                                        ; implicit-def: $vgpr108
.LBB115_542:
	ds_read_b32 v108, v106
.LBB115_543:
	v_cmp_ne_u32_e32 vcc, 4, v0
	s_and_saveexec_b64 s[8:9], vcc
	s_cbranch_execz .LBB115_547
; %bb.544:
	s_mov_b32 s10, 0
	v_add_u32_e32 v109, 0xd4, v105
	v_add3_u32 v110, v105, s10, 4
	s_mov_b64 s[10:11], 0
	v_mov_b32_e32 v111, v0
.LBB115_545:                            ; =>This Inner Loop Header: Depth=1
	buffer_load_dword v112, v110, s[0:3], 0 offen
	ds_read_b32 v113, v109
	v_add_u32_e32 v111, 1, v111
	v_cmp_lt_u32_e32 vcc, 3, v111
	v_add_u32_e32 v109, 4, v109
	v_add_u32_e32 v110, 4, v110
	s_or_b64 s[10:11], vcc, s[10:11]
	s_waitcnt vmcnt(0) lgkmcnt(0)
	v_fmac_f32_e32 v108, v112, v113
	s_andn2_b64 exec, exec, s[10:11]
	s_cbranch_execnz .LBB115_545
; %bb.546:
	s_or_b64 exec, exec, s[10:11]
.LBB115_547:
	s_or_b64 exec, exec, s[8:9]
	v_mov_b32_e32 v109, 0
	ds_read_b32 v109, v109 offset:20
	s_waitcnt lgkmcnt(0)
	v_mul_f32_e32 v108, v108, v109
	buffer_store_dword v108, off, s[0:3], 0 offset:20
.LBB115_548:
	;; [unrolled: 55-line block ×46, first 2 shown]
	s_or_b64 exec, exec, s[6:7]
	buffer_load_dword v108, off, s[0:3], 0 offset:200
	v_cmp_gt_u32_e64 s[6:7], 50, v0
	s_waitcnt vmcnt(0)
	ds_write_b32 v106, v108
	s_waitcnt lgkmcnt(0)
	; wave barrier
	s_and_saveexec_b64 s[8:9], s[6:7]
	s_cbranch_execz .LBB115_998
; %bb.989:
	s_and_b64 vcc, exec, s[4:5]
	s_cbranch_vccnz .LBB115_991
; %bb.990:
	buffer_load_dword v108, v107, s[0:3], 0 offen
	ds_read_b32 v109, v106
	s_waitcnt vmcnt(0) lgkmcnt(0)
	v_mul_f32_e32 v108, v108, v109
	s_cbranch_execz .LBB115_992
	s_branch .LBB115_993
.LBB115_991:
                                        ; implicit-def: $vgpr108
.LBB115_992:
	ds_read_b32 v108, v106
.LBB115_993:
	v_cmp_ne_u32_e32 vcc, 49, v0
	s_and_saveexec_b64 s[10:11], vcc
	s_cbranch_execz .LBB115_997
; %bb.994:
	s_mov_b32 s12, 0
	v_add_u32_e32 v109, 0xd4, v105
	v_add3_u32 v110, v105, s12, 4
	s_mov_b64 s[12:13], 0
	v_mov_b32_e32 v111, v0
.LBB115_995:                            ; =>This Inner Loop Header: Depth=1
	buffer_load_dword v112, v110, s[0:3], 0 offen
	ds_read_b32 v113, v109
	v_add_u32_e32 v111, 1, v111
	v_cmp_lt_u32_e32 vcc, 48, v111
	v_add_u32_e32 v109, 4, v109
	v_add_u32_e32 v110, 4, v110
	s_or_b64 s[12:13], vcc, s[12:13]
	s_waitcnt vmcnt(0) lgkmcnt(0)
	v_fmac_f32_e32 v108, v112, v113
	s_andn2_b64 exec, exec, s[12:13]
	s_cbranch_execnz .LBB115_995
; %bb.996:
	s_or_b64 exec, exec, s[12:13]
.LBB115_997:
	s_or_b64 exec, exec, s[10:11]
	v_mov_b32_e32 v109, 0
	ds_read_b32 v109, v109 offset:200
	s_waitcnt lgkmcnt(0)
	v_mul_f32_e32 v108, v108, v109
	buffer_store_dword v108, off, s[0:3], 0 offset:200
.LBB115_998:
	s_or_b64 exec, exec, s[8:9]
	buffer_load_dword v108, off, s[0:3], 0 offset:204
	v_cmp_ne_u32_e32 vcc, 51, v0
	s_waitcnt vmcnt(0)
	ds_write_b32 v106, v108
	s_waitcnt lgkmcnt(0)
	; wave barrier
	s_and_saveexec_b64 s[8:9], vcc
	s_cbranch_execz .LBB115_1008
; %bb.999:
	s_and_b64 vcc, exec, s[4:5]
	s_cbranch_vccnz .LBB115_1001
; %bb.1000:
	buffer_load_dword v107, v107, s[0:3], 0 offen
	ds_read_b32 v108, v106
	s_waitcnt vmcnt(0) lgkmcnt(0)
	v_mul_f32_e32 v107, v107, v108
	s_cbranch_execz .LBB115_1002
	s_branch .LBB115_1003
.LBB115_1001:
                                        ; implicit-def: $vgpr107
.LBB115_1002:
	ds_read_b32 v107, v106
.LBB115_1003:
	s_and_saveexec_b64 s[4:5], s[6:7]
	s_cbranch_execz .LBB115_1007
; %bb.1004:
	s_mov_b32 s6, 0
	v_add_u32_e32 v106, 0xd4, v105
	v_add3_u32 v105, v105, s6, 4
	s_mov_b64 s[6:7], 0
.LBB115_1005:                           ; =>This Inner Loop Header: Depth=1
	buffer_load_dword v108, v105, s[0:3], 0 offen
	ds_read_b32 v109, v106
	v_add_u32_e32 v0, 1, v0
	v_cmp_lt_u32_e32 vcc, 49, v0
	v_add_u32_e32 v106, 4, v106
	v_add_u32_e32 v105, 4, v105
	s_or_b64 s[6:7], vcc, s[6:7]
	s_waitcnt vmcnt(0) lgkmcnt(0)
	v_fmac_f32_e32 v107, v108, v109
	s_andn2_b64 exec, exec, s[6:7]
	s_cbranch_execnz .LBB115_1005
; %bb.1006:
	s_or_b64 exec, exec, s[6:7]
.LBB115_1007:
	s_or_b64 exec, exec, s[4:5]
	v_mov_b32_e32 v0, 0
	ds_read_b32 v0, v0 offset:204
	s_waitcnt lgkmcnt(0)
	v_mul_f32_e32 v0, v107, v0
	buffer_store_dword v0, off, s[0:3], 0 offset:204
.LBB115_1008:
	s_or_b64 exec, exec, s[8:9]
.LBB115_1009:
	buffer_load_dword v0, off, s[0:3], 0
	s_waitcnt vmcnt(0)
	flat_store_dword v[1:2], v0
	buffer_load_dword v0, off, s[0:3], 0 offset:4
	s_waitcnt vmcnt(0)
	flat_store_dword v[3:4], v0
	buffer_load_dword v0, off, s[0:3], 0 offset:8
	s_waitcnt vmcnt(0)
	flat_store_dword v[5:6], v0
	buffer_load_dword v0, off, s[0:3], 0 offset:12
	s_waitcnt vmcnt(0)
	flat_store_dword v[7:8], v0
	buffer_load_dword v0, off, s[0:3], 0 offset:16
	s_waitcnt vmcnt(0)
	flat_store_dword v[9:10], v0
	buffer_load_dword v0, off, s[0:3], 0 offset:20
	s_waitcnt vmcnt(0)
	flat_store_dword v[11:12], v0
	buffer_load_dword v0, off, s[0:3], 0 offset:24
	s_waitcnt vmcnt(0)
	flat_store_dword v[13:14], v0
	buffer_load_dword v0, off, s[0:3], 0 offset:28
	s_waitcnt vmcnt(0)
	flat_store_dword v[15:16], v0
	buffer_load_dword v0, off, s[0:3], 0 offset:32
	s_waitcnt vmcnt(0)
	flat_store_dword v[17:18], v0
	buffer_load_dword v0, off, s[0:3], 0 offset:36
	s_waitcnt vmcnt(0)
	flat_store_dword v[19:20], v0
	buffer_load_dword v0, off, s[0:3], 0 offset:40
	s_waitcnt vmcnt(0)
	flat_store_dword v[21:22], v0
	buffer_load_dword v0, off, s[0:3], 0 offset:44
	s_waitcnt vmcnt(0)
	flat_store_dword v[23:24], v0
	buffer_load_dword v0, off, s[0:3], 0 offset:48
	s_waitcnt vmcnt(0)
	flat_store_dword v[25:26], v0
	buffer_load_dword v0, off, s[0:3], 0 offset:52
	s_waitcnt vmcnt(0)
	flat_store_dword v[27:28], v0
	buffer_load_dword v0, off, s[0:3], 0 offset:56
	s_waitcnt vmcnt(0)
	flat_store_dword v[29:30], v0
	buffer_load_dword v0, off, s[0:3], 0 offset:60
	s_waitcnt vmcnt(0)
	flat_store_dword v[31:32], v0
	buffer_load_dword v0, off, s[0:3], 0 offset:64
	s_waitcnt vmcnt(0)
	flat_store_dword v[33:34], v0
	buffer_load_dword v0, off, s[0:3], 0 offset:68
	s_waitcnt vmcnt(0)
	flat_store_dword v[35:36], v0
	buffer_load_dword v0, off, s[0:3], 0 offset:72
	s_waitcnt vmcnt(0)
	flat_store_dword v[37:38], v0
	buffer_load_dword v0, off, s[0:3], 0 offset:76
	s_waitcnt vmcnt(0)
	flat_store_dword v[39:40], v0
	buffer_load_dword v0, off, s[0:3], 0 offset:80
	s_waitcnt vmcnt(0)
	flat_store_dword v[41:42], v0
	buffer_load_dword v0, off, s[0:3], 0 offset:84
	s_waitcnt vmcnt(0)
	flat_store_dword v[43:44], v0
	buffer_load_dword v0, off, s[0:3], 0 offset:88
	s_waitcnt vmcnt(0)
	flat_store_dword v[45:46], v0
	buffer_load_dword v0, off, s[0:3], 0 offset:92
	s_waitcnt vmcnt(0)
	flat_store_dword v[47:48], v0
	buffer_load_dword v0, off, s[0:3], 0 offset:96
	s_waitcnt vmcnt(0)
	flat_store_dword v[49:50], v0
	buffer_load_dword v0, off, s[0:3], 0 offset:100
	s_waitcnt vmcnt(0)
	flat_store_dword v[51:52], v0
	buffer_load_dword v0, off, s[0:3], 0 offset:104
	s_waitcnt vmcnt(0)
	flat_store_dword v[53:54], v0
	buffer_load_dword v0, off, s[0:3], 0 offset:108
	s_waitcnt vmcnt(0)
	flat_store_dword v[55:56], v0
	buffer_load_dword v0, off, s[0:3], 0 offset:112
	s_waitcnt vmcnt(0)
	flat_store_dword v[57:58], v0
	buffer_load_dword v0, off, s[0:3], 0 offset:116
	s_waitcnt vmcnt(0)
	flat_store_dword v[59:60], v0
	buffer_load_dword v0, off, s[0:3], 0 offset:120
	s_waitcnt vmcnt(0)
	flat_store_dword v[61:62], v0
	buffer_load_dword v0, off, s[0:3], 0 offset:124
	s_waitcnt vmcnt(0)
	flat_store_dword v[63:64], v0
	buffer_load_dword v0, off, s[0:3], 0 offset:128
	s_waitcnt vmcnt(0)
	flat_store_dword v[65:66], v0
	buffer_load_dword v0, off, s[0:3], 0 offset:132
	s_waitcnt vmcnt(0)
	flat_store_dword v[67:68], v0
	buffer_load_dword v0, off, s[0:3], 0 offset:136
	s_waitcnt vmcnt(0)
	flat_store_dword v[69:70], v0
	buffer_load_dword v0, off, s[0:3], 0 offset:140
	s_waitcnt vmcnt(0)
	flat_store_dword v[71:72], v0
	buffer_load_dword v0, off, s[0:3], 0 offset:144
	s_waitcnt vmcnt(0)
	flat_store_dword v[73:74], v0
	buffer_load_dword v0, off, s[0:3], 0 offset:148
	s_waitcnt vmcnt(0)
	flat_store_dword v[75:76], v0
	buffer_load_dword v0, off, s[0:3], 0 offset:152
	s_waitcnt vmcnt(0)
	flat_store_dword v[77:78], v0
	buffer_load_dword v0, off, s[0:3], 0 offset:156
	s_waitcnt vmcnt(0)
	flat_store_dword v[79:80], v0
	buffer_load_dword v0, off, s[0:3], 0 offset:160
	s_waitcnt vmcnt(0)
	flat_store_dword v[81:82], v0
	buffer_load_dword v0, off, s[0:3], 0 offset:164
	s_waitcnt vmcnt(0)
	flat_store_dword v[83:84], v0
	buffer_load_dword v0, off, s[0:3], 0 offset:168
	s_waitcnt vmcnt(0)
	flat_store_dword v[85:86], v0
	buffer_load_dword v0, off, s[0:3], 0 offset:172
	s_waitcnt vmcnt(0)
	flat_store_dword v[87:88], v0
	buffer_load_dword v0, off, s[0:3], 0 offset:176
	s_waitcnt vmcnt(0)
	flat_store_dword v[89:90], v0
	buffer_load_dword v0, off, s[0:3], 0 offset:180
	s_waitcnt vmcnt(0)
	flat_store_dword v[91:92], v0
	buffer_load_dword v0, off, s[0:3], 0 offset:184
	s_waitcnt vmcnt(0)
	flat_store_dword v[93:94], v0
	buffer_load_dword v0, off, s[0:3], 0 offset:188
	s_waitcnt vmcnt(0)
	flat_store_dword v[95:96], v0
	buffer_load_dword v0, off, s[0:3], 0 offset:192
	s_waitcnt vmcnt(0)
	flat_store_dword v[97:98], v0
	buffer_load_dword v0, off, s[0:3], 0 offset:196
	s_waitcnt vmcnt(0)
	flat_store_dword v[99:100], v0
	buffer_load_dword v0, off, s[0:3], 0 offset:200
	s_waitcnt vmcnt(0)
	flat_store_dword v[101:102], v0
	buffer_load_dword v0, off, s[0:3], 0 offset:204
	s_waitcnt vmcnt(0)
	flat_store_dword v[103:104], v0
.LBB115_1010:
	s_endpgm
	.section	.rodata,"a",@progbits
	.p2align	6, 0x0
	.amdhsa_kernel _ZN9rocsolver6v33100L18trti2_kernel_smallILi52EfPKPfEEv13rocblas_fill_17rocblas_diagonal_T1_iil
		.amdhsa_group_segment_fixed_size 416
		.amdhsa_private_segment_fixed_size 224
		.amdhsa_kernarg_size 32
		.amdhsa_user_sgpr_count 6
		.amdhsa_user_sgpr_private_segment_buffer 1
		.amdhsa_user_sgpr_dispatch_ptr 0
		.amdhsa_user_sgpr_queue_ptr 0
		.amdhsa_user_sgpr_kernarg_segment_ptr 1
		.amdhsa_user_sgpr_dispatch_id 0
		.amdhsa_user_sgpr_flat_scratch_init 0
		.amdhsa_user_sgpr_private_segment_size 0
		.amdhsa_uses_dynamic_stack 0
		.amdhsa_system_sgpr_private_segment_wavefront_offset 1
		.amdhsa_system_sgpr_workgroup_id_x 1
		.amdhsa_system_sgpr_workgroup_id_y 0
		.amdhsa_system_sgpr_workgroup_id_z 0
		.amdhsa_system_sgpr_workgroup_info 0
		.amdhsa_system_vgpr_workitem_id 0
		.amdhsa_next_free_vgpr 114
		.amdhsa_next_free_sgpr 65
		.amdhsa_reserve_vcc 1
		.amdhsa_reserve_flat_scratch 0
		.amdhsa_float_round_mode_32 0
		.amdhsa_float_round_mode_16_64 0
		.amdhsa_float_denorm_mode_32 3
		.amdhsa_float_denorm_mode_16_64 3
		.amdhsa_dx10_clamp 1
		.amdhsa_ieee_mode 1
		.amdhsa_fp16_overflow 0
		.amdhsa_exception_fp_ieee_invalid_op 0
		.amdhsa_exception_fp_denorm_src 0
		.amdhsa_exception_fp_ieee_div_zero 0
		.amdhsa_exception_fp_ieee_overflow 0
		.amdhsa_exception_fp_ieee_underflow 0
		.amdhsa_exception_fp_ieee_inexact 0
		.amdhsa_exception_int_div_zero 0
	.end_amdhsa_kernel
	.section	.text._ZN9rocsolver6v33100L18trti2_kernel_smallILi52EfPKPfEEv13rocblas_fill_17rocblas_diagonal_T1_iil,"axG",@progbits,_ZN9rocsolver6v33100L18trti2_kernel_smallILi52EfPKPfEEv13rocblas_fill_17rocblas_diagonal_T1_iil,comdat
.Lfunc_end115:
	.size	_ZN9rocsolver6v33100L18trti2_kernel_smallILi52EfPKPfEEv13rocblas_fill_17rocblas_diagonal_T1_iil, .Lfunc_end115-_ZN9rocsolver6v33100L18trti2_kernel_smallILi52EfPKPfEEv13rocblas_fill_17rocblas_diagonal_T1_iil
                                        ; -- End function
	.set _ZN9rocsolver6v33100L18trti2_kernel_smallILi52EfPKPfEEv13rocblas_fill_17rocblas_diagonal_T1_iil.num_vgpr, 114
	.set _ZN9rocsolver6v33100L18trti2_kernel_smallILi52EfPKPfEEv13rocblas_fill_17rocblas_diagonal_T1_iil.num_agpr, 0
	.set _ZN9rocsolver6v33100L18trti2_kernel_smallILi52EfPKPfEEv13rocblas_fill_17rocblas_diagonal_T1_iil.numbered_sgpr, 65
	.set _ZN9rocsolver6v33100L18trti2_kernel_smallILi52EfPKPfEEv13rocblas_fill_17rocblas_diagonal_T1_iil.num_named_barrier, 0
	.set _ZN9rocsolver6v33100L18trti2_kernel_smallILi52EfPKPfEEv13rocblas_fill_17rocblas_diagonal_T1_iil.private_seg_size, 224
	.set _ZN9rocsolver6v33100L18trti2_kernel_smallILi52EfPKPfEEv13rocblas_fill_17rocblas_diagonal_T1_iil.uses_vcc, 1
	.set _ZN9rocsolver6v33100L18trti2_kernel_smallILi52EfPKPfEEv13rocblas_fill_17rocblas_diagonal_T1_iil.uses_flat_scratch, 0
	.set _ZN9rocsolver6v33100L18trti2_kernel_smallILi52EfPKPfEEv13rocblas_fill_17rocblas_diagonal_T1_iil.has_dyn_sized_stack, 0
	.set _ZN9rocsolver6v33100L18trti2_kernel_smallILi52EfPKPfEEv13rocblas_fill_17rocblas_diagonal_T1_iil.has_recursion, 0
	.set _ZN9rocsolver6v33100L18trti2_kernel_smallILi52EfPKPfEEv13rocblas_fill_17rocblas_diagonal_T1_iil.has_indirect_call, 0
	.section	.AMDGPU.csdata,"",@progbits
; Kernel info:
; codeLenInByte = 25280
; TotalNumSgprs: 69
; NumVgprs: 114
; ScratchSize: 224
; MemoryBound: 0
; FloatMode: 240
; IeeeMode: 1
; LDSByteSize: 416 bytes/workgroup (compile time only)
; SGPRBlocks: 8
; VGPRBlocks: 28
; NumSGPRsForWavesPerEU: 69
; NumVGPRsForWavesPerEU: 114
; Occupancy: 2
; WaveLimiterHint : 1
; COMPUTE_PGM_RSRC2:SCRATCH_EN: 1
; COMPUTE_PGM_RSRC2:USER_SGPR: 6
; COMPUTE_PGM_RSRC2:TRAP_HANDLER: 0
; COMPUTE_PGM_RSRC2:TGID_X_EN: 1
; COMPUTE_PGM_RSRC2:TGID_Y_EN: 0
; COMPUTE_PGM_RSRC2:TGID_Z_EN: 0
; COMPUTE_PGM_RSRC2:TIDIG_COMP_CNT: 0
	.section	.text._ZN9rocsolver6v33100L18trti2_kernel_smallILi53EfPKPfEEv13rocblas_fill_17rocblas_diagonal_T1_iil,"axG",@progbits,_ZN9rocsolver6v33100L18trti2_kernel_smallILi53EfPKPfEEv13rocblas_fill_17rocblas_diagonal_T1_iil,comdat
	.globl	_ZN9rocsolver6v33100L18trti2_kernel_smallILi53EfPKPfEEv13rocblas_fill_17rocblas_diagonal_T1_iil ; -- Begin function _ZN9rocsolver6v33100L18trti2_kernel_smallILi53EfPKPfEEv13rocblas_fill_17rocblas_diagonal_T1_iil
	.p2align	8
	.type	_ZN9rocsolver6v33100L18trti2_kernel_smallILi53EfPKPfEEv13rocblas_fill_17rocblas_diagonal_T1_iil,@function
_ZN9rocsolver6v33100L18trti2_kernel_smallILi53EfPKPfEEv13rocblas_fill_17rocblas_diagonal_T1_iil: ; @_ZN9rocsolver6v33100L18trti2_kernel_smallILi53EfPKPfEEv13rocblas_fill_17rocblas_diagonal_T1_iil
; %bb.0:
	s_add_u32 s0, s0, s7
	s_addc_u32 s1, s1, 0
	v_cmp_gt_u32_e32 vcc, 53, v0
	s_and_saveexec_b64 s[8:9], vcc
	s_cbranch_execz .LBB116_1030
; %bb.1:
	s_load_dwordx2 s[12:13], s[4:5], 0x10
	s_load_dwordx4 s[8:11], s[4:5], 0x0
	s_ashr_i32 s7, s6, 31
	s_lshl_b64 s[6:7], s[6:7], 3
	v_lshlrev_b32_e32 v107, 2, v0
	s_waitcnt lgkmcnt(0)
	s_ashr_i32 s5, s12, 31
	s_add_u32 s6, s10, s6
	s_addc_u32 s7, s11, s7
	s_load_dwordx2 s[6:7], s[6:7], 0x0
	s_mov_b32 s4, s12
	s_lshl_b64 s[4:5], s[4:5], 2
	s_movk_i32 s12, 0x84
	s_waitcnt lgkmcnt(0)
	s_add_u32 s4, s6, s4
	s_addc_u32 s5, s7, s5
	v_mov_b32_e32 v2, s5
	v_add_co_u32_e32 v1, vcc, s4, v107
	v_addc_co_u32_e32 v2, vcc, 0, v2, vcc
	flat_load_dword v5, v[1:2]
	s_mov_b32 s6, s13
	s_ashr_i32 s7, s13, 31
	s_lshl_b64 s[6:7], s[6:7], 2
	v_mov_b32_e32 v4, s7
	v_add_co_u32_e32 v3, vcc, s6, v1
	v_addc_co_u32_e32 v4, vcc, v2, v4, vcc
	s_add_i32 s6, s13, s13
	v_add_u32_e32 v7, s6, v0
	v_ashrrev_i32_e32 v8, 31, v7
	v_mov_b32_e32 v10, s5
	v_mov_b32_e32 v12, s5
	;; [unrolled: 1-line block ×50, first 2 shown]
	s_cmpk_lg_i32 s9, 0x84
	s_cselect_b64 s[10:11], -1, 0
	s_cmpk_eq_i32 s9, 0x84
	s_waitcnt vmcnt(0) lgkmcnt(0)
	buffer_store_dword v5, off, s[0:3], 0
	flat_load_dword v9, v[3:4]
	v_lshlrev_b64 v[5:6], 2, v[7:8]
	v_add_co_u32_e32 v5, vcc, s4, v5
	v_addc_co_u32_e32 v6, vcc, v10, v6, vcc
	s_waitcnt vmcnt(0) lgkmcnt(0)
	buffer_store_dword v9, off, s[0:3], 0 offset:4
	flat_load_dword v11, v[5:6]
	v_add_u32_e32 v9, s13, v7
	v_ashrrev_i32_e32 v10, 31, v9
	v_lshlrev_b64 v[7:8], 2, v[9:10]
	v_add_co_u32_e32 v7, vcc, s4, v7
	v_addc_co_u32_e32 v8, vcc, v12, v8, vcc
	s_waitcnt vmcnt(0) lgkmcnt(0)
	buffer_store_dword v11, off, s[0:3], 0 offset:8
	flat_load_dword v13, v[7:8]
	v_add_u32_e32 v11, s13, v9
	v_ashrrev_i32_e32 v12, 31, v11
	;; [unrolled: 8-line block ×49, first 2 shown]
	v_lshlrev_b64 v[103:104], 2, v[105:106]
	v_add_u32_e32 v105, s13, v105
	v_add_co_u32_e32 v103, vcc, s4, v103
	v_addc_co_u32_e32 v104, vcc, v109, v104, vcc
	v_ashrrev_i32_e32 v106, 31, v105
	v_lshlrev_b64 v[105:106], 2, v[105:106]
	v_add_co_u32_e32 v105, vcc, s4, v105
	v_addc_co_u32_e32 v106, vcc, v109, v106, vcc
	s_waitcnt vmcnt(0) lgkmcnt(0)
	buffer_store_dword v108, off, s[0:3], 0 offset:200
	flat_load_dword v108, v[103:104]
	s_waitcnt vmcnt(0) lgkmcnt(0)
	buffer_store_dword v108, off, s[0:3], 0 offset:204
	flat_load_dword v108, v[105:106]
	s_waitcnt vmcnt(0) lgkmcnt(0)
	buffer_store_dword v108, off, s[0:3], 0 offset:208
	v_mov_b32_e32 v108, -1.0
	s_cbranch_scc1 .LBB116_3
; %bb.2:
	v_mov_b32_e32 v108, 0
	v_lshl_add_u32 v108, v0, 2, v108
	buffer_load_dword v109, v108, s[0:3], 0 offen
	s_waitcnt vmcnt(0)
	v_div_scale_f32 v110, s[4:5], v109, v109, 1.0
	v_div_scale_f32 v111, vcc, 1.0, v109, 1.0
	v_rcp_f32_e32 v112, v110
	v_fma_f32 v113, -v110, v112, 1.0
	v_fmac_f32_e32 v112, v113, v112
	v_mul_f32_e32 v113, v111, v112
	v_fma_f32 v114, -v110, v113, v111
	v_fmac_f32_e32 v113, v114, v112
	v_fma_f32 v110, -v110, v113, v111
	v_div_fmas_f32 v110, v110, v112, v113
	v_div_fixup_f32 v109, v110, v109, 1.0
	buffer_store_dword v109, v108, s[0:3], 0 offen
	v_xor_b32_e32 v108, 0x80000000, v109
.LBB116_3:
	ds_write_b32 v107, v108
	s_cmpk_eq_i32 s8, 0x79
	v_add_u32_e32 v108, 0xe0, v107
	v_mov_b32_e32 v109, v107
	s_mov_b64 s[4:5], -1
	s_cbranch_scc1 .LBB116_517
; %bb.4:
	buffer_load_dword v110, off, s[0:3], 0 offset:204
	s_movk_i32 s30, 0x44
	s_movk_i32 s31, 0x48
	s_movk_i32 s33, 0x4c
	s_movk_i32 s34, 0x50
	s_movk_i32 s35, 0x54
	s_movk_i32 s36, 0x58
	s_movk_i32 s37, 0x5c
	s_movk_i32 s38, 0x60
	s_movk_i32 s39, 0x64
	s_movk_i32 s40, 0x68
	s_movk_i32 s41, 0x6c
	s_movk_i32 s42, 0x70
	s_movk_i32 s43, 0x74
	s_movk_i32 s44, 0x78
	s_movk_i32 s45, 0x7c
	s_movk_i32 s46, 0x80
	s_movk_i32 s13, 0x88
	s_movk_i32 s49, 0x8c
	s_movk_i32 s50, 0x90
	s_movk_i32 s51, 0x94
	s_movk_i32 s52, 0x98
	s_movk_i32 s53, 0x9c
	s_movk_i32 s54, 0xa0
	s_movk_i32 s55, 0xa4
	s_movk_i32 s56, 0xa8
	s_movk_i32 s57, 0xac
	s_movk_i32 s58, 0xb0
	s_movk_i32 s59, 0xb4
	s_movk_i32 s60, 0xb8
	s_movk_i32 s61, 0xbc
	s_movk_i32 s62, 0xc0
	s_movk_i32 s63, 0xc4
	s_movk_i32 s64, 0xc8
	v_cmp_eq_u32_e64 s[4:5], 52, v0
	s_waitcnt vmcnt(0)
	ds_write_b32 v108, v110
	s_waitcnt lgkmcnt(0)
	; wave barrier
	s_and_saveexec_b64 s[6:7], s[4:5]
	s_cbranch_execz .LBB116_10
; %bb.5:
	s_and_b64 vcc, exec, s[10:11]
	s_cbranch_vccz .LBB116_7
; %bb.6:
	buffer_load_dword v110, v109, s[0:3], 0 offen
	ds_read_b32 v111, v108
	s_waitcnt vmcnt(0) lgkmcnt(0)
	v_mul_f32_e32 v110, v110, v111
	s_cbranch_execz .LBB116_8
	s_branch .LBB116_9
.LBB116_7:
                                        ; implicit-def: $vgpr110
.LBB116_8:
	ds_read_b32 v110, v108
.LBB116_9:
	v_mov_b32_e32 v111, 0
	ds_read_b32 v111, v111 offset:204
	s_waitcnt lgkmcnt(0)
	v_mul_f32_e32 v110, v110, v111
	buffer_store_dword v110, off, s[0:3], 0 offset:204
.LBB116_10:
	s_or_b64 exec, exec, s[6:7]
	buffer_load_dword v110, off, s[0:3], 0 offset:200
	s_or_b32 s14, 0, 4
	s_or_b32 s15, 0, 8
	;; [unrolled: 1-line block ×3, first 2 shown]
	s_mov_b32 s17, 16
	s_mov_b32 s18, 20
	;; [unrolled: 1-line block ×15, first 2 shown]
	v_cmp_lt_u32_e64 s[6:7], 50, v0
	s_waitcnt vmcnt(0)
	ds_write_b32 v108, v110
	s_waitcnt lgkmcnt(0)
	; wave barrier
	s_and_saveexec_b64 s[8:9], s[6:7]
	s_cbranch_execz .LBB116_16
; %bb.11:
	s_andn2_b64 vcc, exec, s[10:11]
	s_cbranch_vccnz .LBB116_13
; %bb.12:
	buffer_load_dword v110, v109, s[0:3], 0 offen
	ds_read_b32 v111, v108
	s_waitcnt vmcnt(0) lgkmcnt(0)
	v_mul_f32_e32 v110, v110, v111
	s_cbranch_execz .LBB116_14
	s_branch .LBB116_15
.LBB116_13:
                                        ; implicit-def: $vgpr110
.LBB116_14:
	ds_read_b32 v110, v108
.LBB116_15:
	buffer_load_dword v113, off, s[0:3], 0 offset:204
	v_mov_b32_e32 v111, 0
	ds_read2_b32 v[111:112], v111 offset0:50 offset1:107
	s_waitcnt vmcnt(0) lgkmcnt(0)
	v_fma_f32 v112, v113, v112, v110
	v_cndmask_b32_e64 v110, v110, v112, s[4:5]
	v_mul_f32_e32 v110, v110, v111
	buffer_store_dword v110, off, s[0:3], 0 offset:200
.LBB116_16:
	s_or_b64 exec, exec, s[8:9]
	buffer_load_dword v110, off, s[0:3], 0 offset:196
	v_cmp_lt_u32_e64 s[4:5], 49, v0
	s_waitcnt vmcnt(0)
	ds_write_b32 v108, v110
	s_waitcnt lgkmcnt(0)
	; wave barrier
	s_and_saveexec_b64 s[8:9], s[4:5]
	s_cbranch_execz .LBB116_26
; %bb.17:
	s_andn2_b64 vcc, exec, s[10:11]
	s_cbranch_vccnz .LBB116_19
; %bb.18:
	buffer_load_dword v110, v109, s[0:3], 0 offen
	ds_read_b32 v111, v108
	s_waitcnt vmcnt(0) lgkmcnt(0)
	v_mul_f32_e32 v110, v110, v111
	s_cbranch_execz .LBB116_20
	s_branch .LBB116_21
.LBB116_19:
                                        ; implicit-def: $vgpr110
.LBB116_20:
	ds_read_b32 v110, v108
.LBB116_21:
	s_and_saveexec_b64 s[12:13], s[6:7]
	s_cbranch_execz .LBB116_25
; %bb.22:
	v_subrev_u32_e32 v111, 50, v0
	s_movk_i32 s65, 0x1a8
	s_mov_b64 s[6:7], 0
.LBB116_23:                             ; =>This Inner Loop Header: Depth=1
	v_mov_b32_e32 v112, s64
	buffer_load_dword v112, v112, s[0:3], 0 offen
	v_mov_b32_e32 v113, s65
	ds_read_b32 v113, v113
	v_add_u32_e32 v111, -1, v111
	s_add_i32 s65, s65, 4
	s_add_i32 s64, s64, 4
	v_cmp_eq_u32_e32 vcc, 0, v111
	s_or_b64 s[6:7], vcc, s[6:7]
	s_waitcnt vmcnt(0) lgkmcnt(0)
	v_fmac_f32_e32 v110, v112, v113
	s_andn2_b64 exec, exec, s[6:7]
	s_cbranch_execnz .LBB116_23
; %bb.24:
	s_or_b64 exec, exec, s[6:7]
.LBB116_25:
	s_or_b64 exec, exec, s[12:13]
	v_mov_b32_e32 v111, 0
	ds_read_b32 v111, v111 offset:196
	s_waitcnt lgkmcnt(0)
	v_mul_f32_e32 v110, v110, v111
	buffer_store_dword v110, off, s[0:3], 0 offset:196
.LBB116_26:
	s_or_b64 exec, exec, s[8:9]
	buffer_load_dword v110, off, s[0:3], 0 offset:192
	v_cmp_lt_u32_e64 s[6:7], 48, v0
	s_waitcnt vmcnt(0)
	ds_write_b32 v108, v110
	s_waitcnt lgkmcnt(0)
	; wave barrier
	s_and_saveexec_b64 s[8:9], s[6:7]
	s_cbranch_execz .LBB116_36
; %bb.27:
	s_andn2_b64 vcc, exec, s[10:11]
	s_cbranch_vccnz .LBB116_29
; %bb.28:
	buffer_load_dword v110, v109, s[0:3], 0 offen
	ds_read_b32 v111, v108
	s_waitcnt vmcnt(0) lgkmcnt(0)
	v_mul_f32_e32 v110, v110, v111
	s_cbranch_execz .LBB116_30
	s_branch .LBB116_31
.LBB116_29:
                                        ; implicit-def: $vgpr110
.LBB116_30:
	ds_read_b32 v110, v108
.LBB116_31:
	s_and_saveexec_b64 s[12:13], s[4:5]
	s_cbranch_execz .LBB116_35
; %bb.32:
	v_subrev_u32_e32 v111, 49, v0
	s_movk_i32 s64, 0x1a4
	s_mov_b64 s[4:5], 0
.LBB116_33:                             ; =>This Inner Loop Header: Depth=1
	v_mov_b32_e32 v112, s63
	buffer_load_dword v112, v112, s[0:3], 0 offen
	v_mov_b32_e32 v113, s64
	ds_read_b32 v113, v113
	v_add_u32_e32 v111, -1, v111
	s_add_i32 s64, s64, 4
	s_add_i32 s63, s63, 4
	v_cmp_eq_u32_e32 vcc, 0, v111
	s_or_b64 s[4:5], vcc, s[4:5]
	s_waitcnt vmcnt(0) lgkmcnt(0)
	v_fmac_f32_e32 v110, v112, v113
	s_andn2_b64 exec, exec, s[4:5]
	s_cbranch_execnz .LBB116_33
; %bb.34:
	s_or_b64 exec, exec, s[4:5]
.LBB116_35:
	s_or_b64 exec, exec, s[12:13]
	v_mov_b32_e32 v111, 0
	ds_read_b32 v111, v111 offset:192
	s_waitcnt lgkmcnt(0)
	v_mul_f32_e32 v110, v110, v111
	buffer_store_dword v110, off, s[0:3], 0 offset:192
.LBB116_36:
	;; [unrolled: 54-line block ×8, first 2 shown]
	s_or_b64 exec, exec, s[8:9]
	buffer_load_dword v110, off, s[0:3], 0 offset:164
	v_cmp_lt_u32_e64 s[4:5], 41, v0
	s_waitcnt vmcnt(0)
	ds_write_b32 v108, v110
	s_waitcnt lgkmcnt(0)
	; wave barrier
	s_and_saveexec_b64 s[8:9], s[4:5]
	s_cbranch_execz .LBB116_106
; %bb.97:
	s_andn2_b64 vcc, exec, s[10:11]
	s_cbranch_vccnz .LBB116_99
; %bb.98:
	buffer_load_dword v110, v109, s[0:3], 0 offen
	ds_read_b32 v111, v108
	s_waitcnt vmcnt(0) lgkmcnt(0)
	v_mul_f32_e32 v110, v110, v111
	s_cbranch_execz .LBB116_100
	s_branch .LBB116_101
.LBB116_99:
                                        ; implicit-def: $vgpr110
.LBB116_100:
	ds_read_b32 v110, v108
.LBB116_101:
	s_and_saveexec_b64 s[12:13], s[6:7]
	s_cbranch_execz .LBB116_105
; %bb.102:
	v_subrev_u32_e32 v111, 42, v0
	s_movk_i32 s57, 0x188
	s_mov_b64 s[6:7], 0
.LBB116_103:                            ; =>This Inner Loop Header: Depth=1
	v_mov_b32_e32 v112, s56
	buffer_load_dword v112, v112, s[0:3], 0 offen
	v_mov_b32_e32 v113, s57
	ds_read_b32 v113, v113
	v_add_u32_e32 v111, -1, v111
	s_add_i32 s57, s57, 4
	s_add_i32 s56, s56, 4
	v_cmp_eq_u32_e32 vcc, 0, v111
	s_or_b64 s[6:7], vcc, s[6:7]
	s_waitcnt vmcnt(0) lgkmcnt(0)
	v_fmac_f32_e32 v110, v112, v113
	s_andn2_b64 exec, exec, s[6:7]
	s_cbranch_execnz .LBB116_103
; %bb.104:
	s_or_b64 exec, exec, s[6:7]
.LBB116_105:
	s_or_b64 exec, exec, s[12:13]
	v_mov_b32_e32 v111, 0
	ds_read_b32 v111, v111 offset:164
	s_waitcnt lgkmcnt(0)
	v_mul_f32_e32 v110, v110, v111
	buffer_store_dword v110, off, s[0:3], 0 offset:164
.LBB116_106:
	s_or_b64 exec, exec, s[8:9]
	buffer_load_dword v110, off, s[0:3], 0 offset:160
	v_cmp_lt_u32_e64 s[6:7], 40, v0
	s_waitcnt vmcnt(0)
	ds_write_b32 v108, v110
	s_waitcnt lgkmcnt(0)
	; wave barrier
	s_and_saveexec_b64 s[8:9], s[6:7]
	s_cbranch_execz .LBB116_116
; %bb.107:
	s_andn2_b64 vcc, exec, s[10:11]
	s_cbranch_vccnz .LBB116_109
; %bb.108:
	buffer_load_dword v110, v109, s[0:3], 0 offen
	ds_read_b32 v111, v108
	s_waitcnt vmcnt(0) lgkmcnt(0)
	v_mul_f32_e32 v110, v110, v111
	s_cbranch_execz .LBB116_110
	s_branch .LBB116_111
.LBB116_109:
                                        ; implicit-def: $vgpr110
.LBB116_110:
	ds_read_b32 v110, v108
.LBB116_111:
	s_and_saveexec_b64 s[12:13], s[4:5]
	s_cbranch_execz .LBB116_115
; %bb.112:
	v_subrev_u32_e32 v111, 41, v0
	s_movk_i32 s56, 0x184
	s_mov_b64 s[4:5], 0
.LBB116_113:                            ; =>This Inner Loop Header: Depth=1
	v_mov_b32_e32 v112, s55
	buffer_load_dword v112, v112, s[0:3], 0 offen
	v_mov_b32_e32 v113, s56
	ds_read_b32 v113, v113
	v_add_u32_e32 v111, -1, v111
	s_add_i32 s56, s56, 4
	s_add_i32 s55, s55, 4
	v_cmp_eq_u32_e32 vcc, 0, v111
	s_or_b64 s[4:5], vcc, s[4:5]
	s_waitcnt vmcnt(0) lgkmcnt(0)
	v_fmac_f32_e32 v110, v112, v113
	s_andn2_b64 exec, exec, s[4:5]
	s_cbranch_execnz .LBB116_113
; %bb.114:
	s_or_b64 exec, exec, s[4:5]
.LBB116_115:
	s_or_b64 exec, exec, s[12:13]
	v_mov_b32_e32 v111, 0
	ds_read_b32 v111, v111 offset:160
	s_waitcnt lgkmcnt(0)
	v_mul_f32_e32 v110, v110, v111
	buffer_store_dword v110, off, s[0:3], 0 offset:160
.LBB116_116:
	;; [unrolled: 54-line block ×26, first 2 shown]
	s_or_b64 exec, exec, s[8:9]
	buffer_load_dword v110, off, s[0:3], 0 offset:60
	v_cmp_lt_u32_e64 s[4:5], 15, v0
	s_waitcnt vmcnt(0)
	ds_write_b32 v108, v110
	s_waitcnt lgkmcnt(0)
	; wave barrier
	s_and_saveexec_b64 s[8:9], s[4:5]
	s_cbranch_execz .LBB116_366
; %bb.357:
	s_andn2_b64 vcc, exec, s[10:11]
	s_cbranch_vccnz .LBB116_359
; %bb.358:
	buffer_load_dword v110, v109, s[0:3], 0 offen
	ds_read_b32 v111, v108
	s_waitcnt vmcnt(0) lgkmcnt(0)
	v_mul_f32_e32 v110, v110, v111
	s_cbranch_execz .LBB116_360
	s_branch .LBB116_361
.LBB116_359:
                                        ; implicit-def: $vgpr110
.LBB116_360:
	ds_read_b32 v110, v108
.LBB116_361:
	s_and_saveexec_b64 s[12:13], s[6:7]
	s_cbranch_execz .LBB116_365
; %bb.362:
	v_add_u32_e32 v111, -16, v0
	s_movk_i32 s30, 0x120
	s_mov_b64 s[6:7], 0
.LBB116_363:                            ; =>This Inner Loop Header: Depth=1
	v_mov_b32_e32 v112, s29
	buffer_load_dword v112, v112, s[0:3], 0 offen
	v_mov_b32_e32 v113, s30
	ds_read_b32 v113, v113
	v_add_u32_e32 v111, -1, v111
	s_add_i32 s30, s30, 4
	s_add_i32 s29, s29, 4
	v_cmp_eq_u32_e32 vcc, 0, v111
	s_or_b64 s[6:7], vcc, s[6:7]
	s_waitcnt vmcnt(0) lgkmcnt(0)
	v_fmac_f32_e32 v110, v112, v113
	s_andn2_b64 exec, exec, s[6:7]
	s_cbranch_execnz .LBB116_363
; %bb.364:
	s_or_b64 exec, exec, s[6:7]
.LBB116_365:
	s_or_b64 exec, exec, s[12:13]
	v_mov_b32_e32 v111, 0
	ds_read_b32 v111, v111 offset:60
	s_waitcnt lgkmcnt(0)
	v_mul_f32_e32 v110, v110, v111
	buffer_store_dword v110, off, s[0:3], 0 offset:60
.LBB116_366:
	s_or_b64 exec, exec, s[8:9]
	buffer_load_dword v110, off, s[0:3], 0 offset:56
	v_cmp_lt_u32_e64 s[6:7], 14, v0
	s_waitcnt vmcnt(0)
	ds_write_b32 v108, v110
	s_waitcnt lgkmcnt(0)
	; wave barrier
	s_and_saveexec_b64 s[8:9], s[6:7]
	s_cbranch_execz .LBB116_376
; %bb.367:
	s_andn2_b64 vcc, exec, s[10:11]
	s_cbranch_vccnz .LBB116_369
; %bb.368:
	buffer_load_dword v110, v109, s[0:3], 0 offen
	ds_read_b32 v111, v108
	s_waitcnt vmcnt(0) lgkmcnt(0)
	v_mul_f32_e32 v110, v110, v111
	s_cbranch_execz .LBB116_370
	s_branch .LBB116_371
.LBB116_369:
                                        ; implicit-def: $vgpr110
.LBB116_370:
	ds_read_b32 v110, v108
.LBB116_371:
	s_and_saveexec_b64 s[12:13], s[4:5]
	s_cbranch_execz .LBB116_375
; %bb.372:
	v_add_u32_e32 v111, -15, v0
	s_movk_i32 s29, 0x11c
	s_mov_b64 s[4:5], 0
.LBB116_373:                            ; =>This Inner Loop Header: Depth=1
	v_mov_b32_e32 v112, s28
	buffer_load_dword v112, v112, s[0:3], 0 offen
	v_mov_b32_e32 v113, s29
	ds_read_b32 v113, v113
	v_add_u32_e32 v111, -1, v111
	s_add_i32 s29, s29, 4
	s_add_i32 s28, s28, 4
	v_cmp_eq_u32_e32 vcc, 0, v111
	s_or_b64 s[4:5], vcc, s[4:5]
	s_waitcnt vmcnt(0) lgkmcnt(0)
	v_fmac_f32_e32 v110, v112, v113
	s_andn2_b64 exec, exec, s[4:5]
	s_cbranch_execnz .LBB116_373
; %bb.374:
	s_or_b64 exec, exec, s[4:5]
.LBB116_375:
	s_or_b64 exec, exec, s[12:13]
	v_mov_b32_e32 v111, 0
	ds_read_b32 v111, v111 offset:56
	s_waitcnt lgkmcnt(0)
	v_mul_f32_e32 v110, v110, v111
	buffer_store_dword v110, off, s[0:3], 0 offset:56
.LBB116_376:
	s_or_b64 exec, exec, s[8:9]
	buffer_load_dword v110, off, s[0:3], 0 offset:52
	v_cmp_lt_u32_e64 s[4:5], 13, v0
	s_waitcnt vmcnt(0)
	ds_write_b32 v108, v110
	s_waitcnt lgkmcnt(0)
	; wave barrier
	s_and_saveexec_b64 s[8:9], s[4:5]
	s_cbranch_execz .LBB116_386
; %bb.377:
	s_andn2_b64 vcc, exec, s[10:11]
	s_cbranch_vccnz .LBB116_379
; %bb.378:
	buffer_load_dword v110, v109, s[0:3], 0 offen
	ds_read_b32 v111, v108
	s_waitcnt vmcnt(0) lgkmcnt(0)
	v_mul_f32_e32 v110, v110, v111
	s_cbranch_execz .LBB116_380
	s_branch .LBB116_381
.LBB116_379:
                                        ; implicit-def: $vgpr110
.LBB116_380:
	ds_read_b32 v110, v108
.LBB116_381:
	s_and_saveexec_b64 s[12:13], s[6:7]
	s_cbranch_execz .LBB116_385
; %bb.382:
	v_add_u32_e32 v111, -14, v0
	s_movk_i32 s28, 0x118
	s_mov_b64 s[6:7], 0
.LBB116_383:                            ; =>This Inner Loop Header: Depth=1
	v_mov_b32_e32 v112, s27
	buffer_load_dword v112, v112, s[0:3], 0 offen
	v_mov_b32_e32 v113, s28
	ds_read_b32 v113, v113
	v_add_u32_e32 v111, -1, v111
	s_add_i32 s28, s28, 4
	s_add_i32 s27, s27, 4
	v_cmp_eq_u32_e32 vcc, 0, v111
	s_or_b64 s[6:7], vcc, s[6:7]
	s_waitcnt vmcnt(0) lgkmcnt(0)
	v_fmac_f32_e32 v110, v112, v113
	s_andn2_b64 exec, exec, s[6:7]
	s_cbranch_execnz .LBB116_383
; %bb.384:
	s_or_b64 exec, exec, s[6:7]
.LBB116_385:
	s_or_b64 exec, exec, s[12:13]
	v_mov_b32_e32 v111, 0
	ds_read_b32 v111, v111 offset:52
	s_waitcnt lgkmcnt(0)
	v_mul_f32_e32 v110, v110, v111
	buffer_store_dword v110, off, s[0:3], 0 offset:52
.LBB116_386:
	s_or_b64 exec, exec, s[8:9]
	buffer_load_dword v110, off, s[0:3], 0 offset:48
	v_cmp_lt_u32_e64 s[6:7], 12, v0
	s_waitcnt vmcnt(0)
	ds_write_b32 v108, v110
	s_waitcnt lgkmcnt(0)
	; wave barrier
	s_and_saveexec_b64 s[8:9], s[6:7]
	s_cbranch_execz .LBB116_396
; %bb.387:
	s_andn2_b64 vcc, exec, s[10:11]
	s_cbranch_vccnz .LBB116_389
; %bb.388:
	buffer_load_dword v110, v109, s[0:3], 0 offen
	ds_read_b32 v111, v108
	s_waitcnt vmcnt(0) lgkmcnt(0)
	v_mul_f32_e32 v110, v110, v111
	s_cbranch_execz .LBB116_390
	s_branch .LBB116_391
.LBB116_389:
                                        ; implicit-def: $vgpr110
.LBB116_390:
	ds_read_b32 v110, v108
.LBB116_391:
	s_and_saveexec_b64 s[12:13], s[4:5]
	s_cbranch_execz .LBB116_395
; %bb.392:
	v_add_u32_e32 v111, -13, v0
	s_movk_i32 s27, 0x114
	s_mov_b64 s[4:5], 0
.LBB116_393:                            ; =>This Inner Loop Header: Depth=1
	v_mov_b32_e32 v112, s26
	buffer_load_dword v112, v112, s[0:3], 0 offen
	v_mov_b32_e32 v113, s27
	ds_read_b32 v113, v113
	v_add_u32_e32 v111, -1, v111
	s_add_i32 s27, s27, 4
	s_add_i32 s26, s26, 4
	v_cmp_eq_u32_e32 vcc, 0, v111
	s_or_b64 s[4:5], vcc, s[4:5]
	s_waitcnt vmcnt(0) lgkmcnt(0)
	v_fmac_f32_e32 v110, v112, v113
	s_andn2_b64 exec, exec, s[4:5]
	s_cbranch_execnz .LBB116_393
; %bb.394:
	s_or_b64 exec, exec, s[4:5]
.LBB116_395:
	s_or_b64 exec, exec, s[12:13]
	v_mov_b32_e32 v111, 0
	ds_read_b32 v111, v111 offset:48
	s_waitcnt lgkmcnt(0)
	v_mul_f32_e32 v110, v110, v111
	buffer_store_dword v110, off, s[0:3], 0 offset:48
.LBB116_396:
	s_or_b64 exec, exec, s[8:9]
	buffer_load_dword v110, off, s[0:3], 0 offset:44
	v_cmp_lt_u32_e64 s[4:5], 11, v0
	s_waitcnt vmcnt(0)
	ds_write_b32 v108, v110
	s_waitcnt lgkmcnt(0)
	; wave barrier
	s_and_saveexec_b64 s[8:9], s[4:5]
	s_cbranch_execz .LBB116_406
; %bb.397:
	s_andn2_b64 vcc, exec, s[10:11]
	s_cbranch_vccnz .LBB116_399
; %bb.398:
	buffer_load_dword v110, v109, s[0:3], 0 offen
	ds_read_b32 v111, v108
	s_waitcnt vmcnt(0) lgkmcnt(0)
	v_mul_f32_e32 v110, v110, v111
	s_cbranch_execz .LBB116_400
	s_branch .LBB116_401
.LBB116_399:
                                        ; implicit-def: $vgpr110
.LBB116_400:
	ds_read_b32 v110, v108
.LBB116_401:
	s_and_saveexec_b64 s[12:13], s[6:7]
	s_cbranch_execz .LBB116_405
; %bb.402:
	v_add_u32_e32 v111, -12, v0
	s_movk_i32 s26, 0x110
	s_mov_b64 s[6:7], 0
.LBB116_403:                            ; =>This Inner Loop Header: Depth=1
	v_mov_b32_e32 v112, s25
	buffer_load_dword v112, v112, s[0:3], 0 offen
	v_mov_b32_e32 v113, s26
	ds_read_b32 v113, v113
	v_add_u32_e32 v111, -1, v111
	s_add_i32 s26, s26, 4
	s_add_i32 s25, s25, 4
	v_cmp_eq_u32_e32 vcc, 0, v111
	s_or_b64 s[6:7], vcc, s[6:7]
	s_waitcnt vmcnt(0) lgkmcnt(0)
	v_fmac_f32_e32 v110, v112, v113
	s_andn2_b64 exec, exec, s[6:7]
	s_cbranch_execnz .LBB116_403
; %bb.404:
	s_or_b64 exec, exec, s[6:7]
.LBB116_405:
	s_or_b64 exec, exec, s[12:13]
	v_mov_b32_e32 v111, 0
	ds_read_b32 v111, v111 offset:44
	s_waitcnt lgkmcnt(0)
	v_mul_f32_e32 v110, v110, v111
	buffer_store_dword v110, off, s[0:3], 0 offset:44
.LBB116_406:
	s_or_b64 exec, exec, s[8:9]
	buffer_load_dword v110, off, s[0:3], 0 offset:40
	v_cmp_lt_u32_e64 s[6:7], 10, v0
	s_waitcnt vmcnt(0)
	ds_write_b32 v108, v110
	s_waitcnt lgkmcnt(0)
	; wave barrier
	s_and_saveexec_b64 s[8:9], s[6:7]
	s_cbranch_execz .LBB116_416
; %bb.407:
	s_andn2_b64 vcc, exec, s[10:11]
	s_cbranch_vccnz .LBB116_409
; %bb.408:
	buffer_load_dword v110, v109, s[0:3], 0 offen
	ds_read_b32 v111, v108
	s_waitcnt vmcnt(0) lgkmcnt(0)
	v_mul_f32_e32 v110, v110, v111
	s_cbranch_execz .LBB116_410
	s_branch .LBB116_411
.LBB116_409:
                                        ; implicit-def: $vgpr110
.LBB116_410:
	ds_read_b32 v110, v108
.LBB116_411:
	s_and_saveexec_b64 s[12:13], s[4:5]
	s_cbranch_execz .LBB116_415
; %bb.412:
	v_add_u32_e32 v111, -11, v0
	s_movk_i32 s25, 0x10c
	s_mov_b64 s[4:5], 0
.LBB116_413:                            ; =>This Inner Loop Header: Depth=1
	v_mov_b32_e32 v112, s24
	buffer_load_dword v112, v112, s[0:3], 0 offen
	v_mov_b32_e32 v113, s25
	ds_read_b32 v113, v113
	v_add_u32_e32 v111, -1, v111
	s_add_i32 s25, s25, 4
	s_add_i32 s24, s24, 4
	v_cmp_eq_u32_e32 vcc, 0, v111
	s_or_b64 s[4:5], vcc, s[4:5]
	s_waitcnt vmcnt(0) lgkmcnt(0)
	v_fmac_f32_e32 v110, v112, v113
	s_andn2_b64 exec, exec, s[4:5]
	s_cbranch_execnz .LBB116_413
; %bb.414:
	s_or_b64 exec, exec, s[4:5]
.LBB116_415:
	s_or_b64 exec, exec, s[12:13]
	v_mov_b32_e32 v111, 0
	ds_read_b32 v111, v111 offset:40
	s_waitcnt lgkmcnt(0)
	v_mul_f32_e32 v110, v110, v111
	buffer_store_dword v110, off, s[0:3], 0 offset:40
.LBB116_416:
	s_or_b64 exec, exec, s[8:9]
	buffer_load_dword v110, off, s[0:3], 0 offset:36
	v_cmp_lt_u32_e64 s[4:5], 9, v0
	s_waitcnt vmcnt(0)
	ds_write_b32 v108, v110
	s_waitcnt lgkmcnt(0)
	; wave barrier
	s_and_saveexec_b64 s[8:9], s[4:5]
	s_cbranch_execz .LBB116_426
; %bb.417:
	s_andn2_b64 vcc, exec, s[10:11]
	s_cbranch_vccnz .LBB116_419
; %bb.418:
	buffer_load_dword v110, v109, s[0:3], 0 offen
	ds_read_b32 v111, v108
	s_waitcnt vmcnt(0) lgkmcnt(0)
	v_mul_f32_e32 v110, v110, v111
	s_cbranch_execz .LBB116_420
	s_branch .LBB116_421
.LBB116_419:
                                        ; implicit-def: $vgpr110
.LBB116_420:
	ds_read_b32 v110, v108
.LBB116_421:
	s_and_saveexec_b64 s[12:13], s[6:7]
	s_cbranch_execz .LBB116_425
; %bb.422:
	v_add_u32_e32 v111, -10, v0
	s_movk_i32 s24, 0x108
	s_mov_b64 s[6:7], 0
.LBB116_423:                            ; =>This Inner Loop Header: Depth=1
	v_mov_b32_e32 v112, s23
	buffer_load_dword v112, v112, s[0:3], 0 offen
	v_mov_b32_e32 v113, s24
	ds_read_b32 v113, v113
	v_add_u32_e32 v111, -1, v111
	s_add_i32 s24, s24, 4
	s_add_i32 s23, s23, 4
	v_cmp_eq_u32_e32 vcc, 0, v111
	s_or_b64 s[6:7], vcc, s[6:7]
	s_waitcnt vmcnt(0) lgkmcnt(0)
	v_fmac_f32_e32 v110, v112, v113
	s_andn2_b64 exec, exec, s[6:7]
	s_cbranch_execnz .LBB116_423
; %bb.424:
	s_or_b64 exec, exec, s[6:7]
.LBB116_425:
	s_or_b64 exec, exec, s[12:13]
	v_mov_b32_e32 v111, 0
	ds_read_b32 v111, v111 offset:36
	s_waitcnt lgkmcnt(0)
	v_mul_f32_e32 v110, v110, v111
	buffer_store_dword v110, off, s[0:3], 0 offset:36
.LBB116_426:
	s_or_b64 exec, exec, s[8:9]
	buffer_load_dword v110, off, s[0:3], 0 offset:32
	v_cmp_lt_u32_e64 s[6:7], 8, v0
	s_waitcnt vmcnt(0)
	ds_write_b32 v108, v110
	s_waitcnt lgkmcnt(0)
	; wave barrier
	s_and_saveexec_b64 s[8:9], s[6:7]
	s_cbranch_execz .LBB116_436
; %bb.427:
	s_andn2_b64 vcc, exec, s[10:11]
	s_cbranch_vccnz .LBB116_429
; %bb.428:
	buffer_load_dword v110, v109, s[0:3], 0 offen
	ds_read_b32 v111, v108
	s_waitcnt vmcnt(0) lgkmcnt(0)
	v_mul_f32_e32 v110, v110, v111
	s_cbranch_execz .LBB116_430
	s_branch .LBB116_431
.LBB116_429:
                                        ; implicit-def: $vgpr110
.LBB116_430:
	ds_read_b32 v110, v108
.LBB116_431:
	s_and_saveexec_b64 s[12:13], s[4:5]
	s_cbranch_execz .LBB116_435
; %bb.432:
	v_add_u32_e32 v111, -9, v0
	s_movk_i32 s23, 0x104
	s_mov_b64 s[4:5], 0
.LBB116_433:                            ; =>This Inner Loop Header: Depth=1
	v_mov_b32_e32 v112, s22
	buffer_load_dword v112, v112, s[0:3], 0 offen
	v_mov_b32_e32 v113, s23
	ds_read_b32 v113, v113
	v_add_u32_e32 v111, -1, v111
	s_add_i32 s23, s23, 4
	s_add_i32 s22, s22, 4
	v_cmp_eq_u32_e32 vcc, 0, v111
	s_or_b64 s[4:5], vcc, s[4:5]
	s_waitcnt vmcnt(0) lgkmcnt(0)
	v_fmac_f32_e32 v110, v112, v113
	s_andn2_b64 exec, exec, s[4:5]
	s_cbranch_execnz .LBB116_433
; %bb.434:
	s_or_b64 exec, exec, s[4:5]
.LBB116_435:
	s_or_b64 exec, exec, s[12:13]
	v_mov_b32_e32 v111, 0
	ds_read_b32 v111, v111 offset:32
	s_waitcnt lgkmcnt(0)
	v_mul_f32_e32 v110, v110, v111
	buffer_store_dword v110, off, s[0:3], 0 offset:32
.LBB116_436:
	s_or_b64 exec, exec, s[8:9]
	buffer_load_dword v110, off, s[0:3], 0 offset:28
	v_cmp_lt_u32_e64 s[4:5], 7, v0
	s_waitcnt vmcnt(0)
	ds_write_b32 v108, v110
	s_waitcnt lgkmcnt(0)
	; wave barrier
	s_and_saveexec_b64 s[8:9], s[4:5]
	s_cbranch_execz .LBB116_446
; %bb.437:
	s_andn2_b64 vcc, exec, s[10:11]
	s_cbranch_vccnz .LBB116_439
; %bb.438:
	buffer_load_dword v110, v109, s[0:3], 0 offen
	ds_read_b32 v111, v108
	s_waitcnt vmcnt(0) lgkmcnt(0)
	v_mul_f32_e32 v110, v110, v111
	s_cbranch_execz .LBB116_440
	s_branch .LBB116_441
.LBB116_439:
                                        ; implicit-def: $vgpr110
.LBB116_440:
	ds_read_b32 v110, v108
.LBB116_441:
	s_and_saveexec_b64 s[12:13], s[6:7]
	s_cbranch_execz .LBB116_445
; %bb.442:
	v_add_u32_e32 v111, -8, v0
	s_movk_i32 s22, 0x100
	s_mov_b64 s[6:7], 0
.LBB116_443:                            ; =>This Inner Loop Header: Depth=1
	v_mov_b32_e32 v112, s21
	buffer_load_dword v112, v112, s[0:3], 0 offen
	v_mov_b32_e32 v113, s22
	ds_read_b32 v113, v113
	v_add_u32_e32 v111, -1, v111
	s_add_i32 s22, s22, 4
	s_add_i32 s21, s21, 4
	v_cmp_eq_u32_e32 vcc, 0, v111
	s_or_b64 s[6:7], vcc, s[6:7]
	s_waitcnt vmcnt(0) lgkmcnt(0)
	v_fmac_f32_e32 v110, v112, v113
	s_andn2_b64 exec, exec, s[6:7]
	s_cbranch_execnz .LBB116_443
; %bb.444:
	s_or_b64 exec, exec, s[6:7]
.LBB116_445:
	s_or_b64 exec, exec, s[12:13]
	v_mov_b32_e32 v111, 0
	ds_read_b32 v111, v111 offset:28
	s_waitcnt lgkmcnt(0)
	v_mul_f32_e32 v110, v110, v111
	buffer_store_dword v110, off, s[0:3], 0 offset:28
.LBB116_446:
	s_or_b64 exec, exec, s[8:9]
	buffer_load_dword v110, off, s[0:3], 0 offset:24
	v_cmp_lt_u32_e64 s[6:7], 6, v0
	s_waitcnt vmcnt(0)
	ds_write_b32 v108, v110
	s_waitcnt lgkmcnt(0)
	; wave barrier
	s_and_saveexec_b64 s[8:9], s[6:7]
	s_cbranch_execz .LBB116_456
; %bb.447:
	s_andn2_b64 vcc, exec, s[10:11]
	s_cbranch_vccnz .LBB116_449
; %bb.448:
	buffer_load_dword v110, v109, s[0:3], 0 offen
	ds_read_b32 v111, v108
	s_waitcnt vmcnt(0) lgkmcnt(0)
	v_mul_f32_e32 v110, v110, v111
	s_cbranch_execz .LBB116_450
	s_branch .LBB116_451
.LBB116_449:
                                        ; implicit-def: $vgpr110
.LBB116_450:
	ds_read_b32 v110, v108
.LBB116_451:
	s_and_saveexec_b64 s[12:13], s[4:5]
	s_cbranch_execz .LBB116_455
; %bb.452:
	v_add_u32_e32 v111, -7, v0
	s_movk_i32 s21, 0xfc
	s_mov_b64 s[4:5], 0
.LBB116_453:                            ; =>This Inner Loop Header: Depth=1
	v_mov_b32_e32 v112, s20
	buffer_load_dword v112, v112, s[0:3], 0 offen
	v_mov_b32_e32 v113, s21
	ds_read_b32 v113, v113
	v_add_u32_e32 v111, -1, v111
	s_add_i32 s21, s21, 4
	s_add_i32 s20, s20, 4
	v_cmp_eq_u32_e32 vcc, 0, v111
	s_or_b64 s[4:5], vcc, s[4:5]
	s_waitcnt vmcnt(0) lgkmcnt(0)
	v_fmac_f32_e32 v110, v112, v113
	s_andn2_b64 exec, exec, s[4:5]
	s_cbranch_execnz .LBB116_453
; %bb.454:
	s_or_b64 exec, exec, s[4:5]
.LBB116_455:
	s_or_b64 exec, exec, s[12:13]
	v_mov_b32_e32 v111, 0
	ds_read_b32 v111, v111 offset:24
	s_waitcnt lgkmcnt(0)
	v_mul_f32_e32 v110, v110, v111
	buffer_store_dword v110, off, s[0:3], 0 offset:24
.LBB116_456:
	s_or_b64 exec, exec, s[8:9]
	buffer_load_dword v110, off, s[0:3], 0 offset:20
	v_cmp_lt_u32_e64 s[4:5], 5, v0
	s_waitcnt vmcnt(0)
	ds_write_b32 v108, v110
	s_waitcnt lgkmcnt(0)
	; wave barrier
	s_and_saveexec_b64 s[8:9], s[4:5]
	s_cbranch_execz .LBB116_466
; %bb.457:
	s_andn2_b64 vcc, exec, s[10:11]
	s_cbranch_vccnz .LBB116_459
; %bb.458:
	buffer_load_dword v110, v109, s[0:3], 0 offen
	ds_read_b32 v111, v108
	s_waitcnt vmcnt(0) lgkmcnt(0)
	v_mul_f32_e32 v110, v110, v111
	s_cbranch_execz .LBB116_460
	s_branch .LBB116_461
.LBB116_459:
                                        ; implicit-def: $vgpr110
.LBB116_460:
	ds_read_b32 v110, v108
.LBB116_461:
	s_and_saveexec_b64 s[12:13], s[6:7]
	s_cbranch_execz .LBB116_465
; %bb.462:
	v_add_u32_e32 v111, -6, v0
	s_movk_i32 s20, 0xf8
	s_mov_b64 s[6:7], 0
.LBB116_463:                            ; =>This Inner Loop Header: Depth=1
	v_mov_b32_e32 v112, s19
	buffer_load_dword v112, v112, s[0:3], 0 offen
	v_mov_b32_e32 v113, s20
	ds_read_b32 v113, v113
	v_add_u32_e32 v111, -1, v111
	s_add_i32 s20, s20, 4
	s_add_i32 s19, s19, 4
	v_cmp_eq_u32_e32 vcc, 0, v111
	s_or_b64 s[6:7], vcc, s[6:7]
	s_waitcnt vmcnt(0) lgkmcnt(0)
	v_fmac_f32_e32 v110, v112, v113
	s_andn2_b64 exec, exec, s[6:7]
	s_cbranch_execnz .LBB116_463
; %bb.464:
	s_or_b64 exec, exec, s[6:7]
.LBB116_465:
	s_or_b64 exec, exec, s[12:13]
	v_mov_b32_e32 v111, 0
	ds_read_b32 v111, v111 offset:20
	s_waitcnt lgkmcnt(0)
	v_mul_f32_e32 v110, v110, v111
	buffer_store_dword v110, off, s[0:3], 0 offset:20
.LBB116_466:
	s_or_b64 exec, exec, s[8:9]
	buffer_load_dword v110, off, s[0:3], 0 offset:16
	v_cmp_lt_u32_e64 s[6:7], 4, v0
	s_waitcnt vmcnt(0)
	ds_write_b32 v108, v110
	s_waitcnt lgkmcnt(0)
	; wave barrier
	s_and_saveexec_b64 s[8:9], s[6:7]
	s_cbranch_execz .LBB116_476
; %bb.467:
	s_andn2_b64 vcc, exec, s[10:11]
	s_cbranch_vccnz .LBB116_469
; %bb.468:
	buffer_load_dword v110, v109, s[0:3], 0 offen
	ds_read_b32 v111, v108
	s_waitcnt vmcnt(0) lgkmcnt(0)
	v_mul_f32_e32 v110, v110, v111
	s_cbranch_execz .LBB116_470
	s_branch .LBB116_471
.LBB116_469:
                                        ; implicit-def: $vgpr110
.LBB116_470:
	ds_read_b32 v110, v108
.LBB116_471:
	s_and_saveexec_b64 s[12:13], s[4:5]
	s_cbranch_execz .LBB116_475
; %bb.472:
	v_add_u32_e32 v111, -5, v0
	s_movk_i32 s19, 0xf4
	s_mov_b64 s[4:5], 0
.LBB116_473:                            ; =>This Inner Loop Header: Depth=1
	v_mov_b32_e32 v112, s18
	buffer_load_dword v112, v112, s[0:3], 0 offen
	v_mov_b32_e32 v113, s19
	ds_read_b32 v113, v113
	v_add_u32_e32 v111, -1, v111
	s_add_i32 s19, s19, 4
	s_add_i32 s18, s18, 4
	v_cmp_eq_u32_e32 vcc, 0, v111
	s_or_b64 s[4:5], vcc, s[4:5]
	s_waitcnt vmcnt(0) lgkmcnt(0)
	v_fmac_f32_e32 v110, v112, v113
	s_andn2_b64 exec, exec, s[4:5]
	s_cbranch_execnz .LBB116_473
; %bb.474:
	s_or_b64 exec, exec, s[4:5]
.LBB116_475:
	s_or_b64 exec, exec, s[12:13]
	v_mov_b32_e32 v111, 0
	ds_read_b32 v111, v111 offset:16
	s_waitcnt lgkmcnt(0)
	v_mul_f32_e32 v110, v110, v111
	buffer_store_dword v110, off, s[0:3], 0 offset:16
.LBB116_476:
	s_or_b64 exec, exec, s[8:9]
	buffer_load_dword v110, off, s[0:3], 0 offset:12
	v_cmp_lt_u32_e64 s[4:5], 3, v0
	s_waitcnt vmcnt(0)
	ds_write_b32 v108, v110
	s_waitcnt lgkmcnt(0)
	; wave barrier
	s_and_saveexec_b64 s[8:9], s[4:5]
	s_cbranch_execz .LBB116_486
; %bb.477:
	s_andn2_b64 vcc, exec, s[10:11]
	s_cbranch_vccnz .LBB116_479
; %bb.478:
	buffer_load_dword v110, v109, s[0:3], 0 offen
	ds_read_b32 v111, v108
	s_waitcnt vmcnt(0) lgkmcnt(0)
	v_mul_f32_e32 v110, v110, v111
	s_cbranch_execz .LBB116_480
	s_branch .LBB116_481
.LBB116_479:
                                        ; implicit-def: $vgpr110
.LBB116_480:
	ds_read_b32 v110, v108
.LBB116_481:
	s_and_saveexec_b64 s[12:13], s[6:7]
	s_cbranch_execz .LBB116_485
; %bb.482:
	v_add_u32_e32 v111, -4, v0
	s_movk_i32 s18, 0xf0
	s_mov_b64 s[6:7], 0
.LBB116_483:                            ; =>This Inner Loop Header: Depth=1
	v_mov_b32_e32 v112, s17
	buffer_load_dword v112, v112, s[0:3], 0 offen
	v_mov_b32_e32 v113, s18
	ds_read_b32 v113, v113
	v_add_u32_e32 v111, -1, v111
	s_add_i32 s18, s18, 4
	s_add_i32 s17, s17, 4
	v_cmp_eq_u32_e32 vcc, 0, v111
	s_or_b64 s[6:7], vcc, s[6:7]
	s_waitcnt vmcnt(0) lgkmcnt(0)
	v_fmac_f32_e32 v110, v112, v113
	s_andn2_b64 exec, exec, s[6:7]
	s_cbranch_execnz .LBB116_483
; %bb.484:
	s_or_b64 exec, exec, s[6:7]
.LBB116_485:
	s_or_b64 exec, exec, s[12:13]
	v_mov_b32_e32 v111, 0
	ds_read_b32 v111, v111 offset:12
	s_waitcnt lgkmcnt(0)
	v_mul_f32_e32 v110, v110, v111
	buffer_store_dword v110, off, s[0:3], 0 offset:12
.LBB116_486:
	s_or_b64 exec, exec, s[8:9]
	buffer_load_dword v110, off, s[0:3], 0 offset:8
	v_cmp_lt_u32_e64 s[6:7], 2, v0
	s_waitcnt vmcnt(0)
	ds_write_b32 v108, v110
	s_waitcnt lgkmcnt(0)
	; wave barrier
	s_and_saveexec_b64 s[8:9], s[6:7]
	s_cbranch_execz .LBB116_496
; %bb.487:
	s_andn2_b64 vcc, exec, s[10:11]
	s_cbranch_vccnz .LBB116_489
; %bb.488:
	buffer_load_dword v110, v109, s[0:3], 0 offen
	ds_read_b32 v111, v108
	s_waitcnt vmcnt(0) lgkmcnt(0)
	v_mul_f32_e32 v110, v110, v111
	s_cbranch_execz .LBB116_490
	s_branch .LBB116_491
.LBB116_489:
                                        ; implicit-def: $vgpr110
.LBB116_490:
	ds_read_b32 v110, v108
.LBB116_491:
	s_and_saveexec_b64 s[12:13], s[4:5]
	s_cbranch_execz .LBB116_495
; %bb.492:
	v_add_u32_e32 v111, -3, v0
	s_movk_i32 s17, 0xec
	s_mov_b64 s[4:5], 0
.LBB116_493:                            ; =>This Inner Loop Header: Depth=1
	v_mov_b32_e32 v112, s16
	buffer_load_dword v112, v112, s[0:3], 0 offen
	v_mov_b32_e32 v113, s17
	ds_read_b32 v113, v113
	v_add_u32_e32 v111, -1, v111
	s_add_i32 s17, s17, 4
	s_add_i32 s16, s16, 4
	v_cmp_eq_u32_e32 vcc, 0, v111
	s_or_b64 s[4:5], vcc, s[4:5]
	s_waitcnt vmcnt(0) lgkmcnt(0)
	v_fmac_f32_e32 v110, v112, v113
	s_andn2_b64 exec, exec, s[4:5]
	s_cbranch_execnz .LBB116_493
; %bb.494:
	s_or_b64 exec, exec, s[4:5]
.LBB116_495:
	s_or_b64 exec, exec, s[12:13]
	v_mov_b32_e32 v111, 0
	ds_read_b32 v111, v111 offset:8
	s_waitcnt lgkmcnt(0)
	v_mul_f32_e32 v110, v110, v111
	buffer_store_dword v110, off, s[0:3], 0 offset:8
.LBB116_496:
	s_or_b64 exec, exec, s[8:9]
	buffer_load_dword v110, off, s[0:3], 0 offset:4
	v_cmp_lt_u32_e64 s[4:5], 1, v0
	s_waitcnt vmcnt(0)
	ds_write_b32 v108, v110
	s_waitcnt lgkmcnt(0)
	; wave barrier
	s_and_saveexec_b64 s[8:9], s[4:5]
	s_cbranch_execz .LBB116_506
; %bb.497:
	s_andn2_b64 vcc, exec, s[10:11]
	s_cbranch_vccnz .LBB116_499
; %bb.498:
	buffer_load_dword v110, v109, s[0:3], 0 offen
	ds_read_b32 v111, v108
	s_waitcnt vmcnt(0) lgkmcnt(0)
	v_mul_f32_e32 v110, v110, v111
	s_cbranch_execz .LBB116_500
	s_branch .LBB116_501
.LBB116_499:
                                        ; implicit-def: $vgpr110
.LBB116_500:
	ds_read_b32 v110, v108
.LBB116_501:
	s_and_saveexec_b64 s[12:13], s[6:7]
	s_cbranch_execz .LBB116_505
; %bb.502:
	v_add_u32_e32 v111, -2, v0
	s_movk_i32 s16, 0xe8
	s_mov_b64 s[6:7], 0
.LBB116_503:                            ; =>This Inner Loop Header: Depth=1
	v_mov_b32_e32 v112, s15
	buffer_load_dword v112, v112, s[0:3], 0 offen
	v_mov_b32_e32 v113, s16
	ds_read_b32 v113, v113
	v_add_u32_e32 v111, -1, v111
	s_add_i32 s16, s16, 4
	s_add_i32 s15, s15, 4
	v_cmp_eq_u32_e32 vcc, 0, v111
	s_or_b64 s[6:7], vcc, s[6:7]
	s_waitcnt vmcnt(0) lgkmcnt(0)
	v_fmac_f32_e32 v110, v112, v113
	s_andn2_b64 exec, exec, s[6:7]
	s_cbranch_execnz .LBB116_503
; %bb.504:
	s_or_b64 exec, exec, s[6:7]
.LBB116_505:
	s_or_b64 exec, exec, s[12:13]
	v_mov_b32_e32 v111, 0
	ds_read_b32 v111, v111 offset:4
	s_waitcnt lgkmcnt(0)
	v_mul_f32_e32 v110, v110, v111
	buffer_store_dword v110, off, s[0:3], 0 offset:4
.LBB116_506:
	s_or_b64 exec, exec, s[8:9]
	buffer_load_dword v110, off, s[0:3], 0
	v_cmp_ne_u32_e32 vcc, 0, v0
	s_waitcnt vmcnt(0)
	ds_write_b32 v108, v110
	s_waitcnt lgkmcnt(0)
	; wave barrier
	s_and_saveexec_b64 s[6:7], vcc
	s_cbranch_execz .LBB116_516
; %bb.507:
	s_andn2_b64 vcc, exec, s[10:11]
	s_cbranch_vccnz .LBB116_509
; %bb.508:
	buffer_load_dword v110, v109, s[0:3], 0 offen
	ds_read_b32 v111, v108
	s_waitcnt vmcnt(0) lgkmcnt(0)
	v_mul_f32_e32 v110, v110, v111
	s_cbranch_execz .LBB116_510
	s_branch .LBB116_511
.LBB116_509:
                                        ; implicit-def: $vgpr110
.LBB116_510:
	ds_read_b32 v110, v108
.LBB116_511:
	s_and_saveexec_b64 s[8:9], s[4:5]
	s_cbranch_execz .LBB116_515
; %bb.512:
	v_add_u32_e32 v111, -1, v0
	s_movk_i32 s12, 0xe4
	s_mov_b64 s[4:5], 0
.LBB116_513:                            ; =>This Inner Loop Header: Depth=1
	v_mov_b32_e32 v112, s14
	buffer_load_dword v112, v112, s[0:3], 0 offen
	v_mov_b32_e32 v113, s12
	ds_read_b32 v113, v113
	v_add_u32_e32 v111, -1, v111
	s_add_i32 s12, s12, 4
	s_add_i32 s14, s14, 4
	v_cmp_eq_u32_e32 vcc, 0, v111
	s_or_b64 s[4:5], vcc, s[4:5]
	s_waitcnt vmcnt(0) lgkmcnt(0)
	v_fmac_f32_e32 v110, v112, v113
	s_andn2_b64 exec, exec, s[4:5]
	s_cbranch_execnz .LBB116_513
; %bb.514:
	s_or_b64 exec, exec, s[4:5]
.LBB116_515:
	s_or_b64 exec, exec, s[8:9]
	v_mov_b32_e32 v111, 0
	ds_read_b32 v111, v111
	s_waitcnt lgkmcnt(0)
	v_mul_f32_e32 v110, v110, v111
	buffer_store_dword v110, off, s[0:3], 0
.LBB116_516:
	s_or_b64 exec, exec, s[6:7]
	s_mov_b64 s[4:5], 0
.LBB116_517:
	s_and_b64 vcc, exec, s[4:5]
	s_cbranch_vccz .LBB116_1029
; %bb.518:
	buffer_load_dword v110, off, s[0:3], 0 offset:4
	v_cmp_eq_u32_e64 s[6:7], 0, v0
	s_waitcnt vmcnt(0)
	ds_write_b32 v108, v110
	s_waitcnt lgkmcnt(0)
	; wave barrier
	s_and_saveexec_b64 s[4:5], s[6:7]
	s_cbranch_execz .LBB116_524
; %bb.519:
	s_and_b64 vcc, exec, s[10:11]
	s_cbranch_vccz .LBB116_521
; %bb.520:
	buffer_load_dword v110, v109, s[0:3], 0 offen
	ds_read_b32 v111, v108
	s_waitcnt vmcnt(0) lgkmcnt(0)
	v_mul_f32_e32 v110, v110, v111
	s_cbranch_execz .LBB116_522
	s_branch .LBB116_523
.LBB116_521:
                                        ; implicit-def: $vgpr110
.LBB116_522:
	ds_read_b32 v110, v108
.LBB116_523:
	v_mov_b32_e32 v111, 0
	ds_read_b32 v111, v111 offset:4
	s_waitcnt lgkmcnt(0)
	v_mul_f32_e32 v110, v110, v111
	buffer_store_dword v110, off, s[0:3], 0 offset:4
.LBB116_524:
	s_or_b64 exec, exec, s[4:5]
	buffer_load_dword v110, off, s[0:3], 0 offset:8
	v_cndmask_b32_e64 v111, 0, 1, s[10:11]
	v_cmp_gt_u32_e32 vcc, 2, v0
	v_cmp_ne_u32_e64 s[4:5], 1, v111
	s_waitcnt vmcnt(0)
	ds_write_b32 v108, v110
	s_waitcnt lgkmcnt(0)
	; wave barrier
	s_and_saveexec_b64 s[8:9], vcc
	s_cbranch_execz .LBB116_530
; %bb.525:
	s_and_b64 vcc, exec, s[4:5]
	s_cbranch_vccnz .LBB116_527
; %bb.526:
	buffer_load_dword v110, v109, s[0:3], 0 offen
	ds_read_b32 v111, v108
	s_waitcnt vmcnt(0) lgkmcnt(0)
	v_mul_f32_e32 v110, v110, v111
	s_cbranch_execz .LBB116_528
	s_branch .LBB116_529
.LBB116_527:
                                        ; implicit-def: $vgpr110
.LBB116_528:
	ds_read_b32 v110, v108
.LBB116_529:
	buffer_load_dword v113, off, s[0:3], 0 offset:4
	v_mov_b32_e32 v111, 0
	ds_read2_b32 v[111:112], v111 offset0:2 offset1:57
	s_waitcnt vmcnt(0) lgkmcnt(0)
	v_fma_f32 v112, v113, v112, v110
	v_cndmask_b32_e64 v110, v110, v112, s[6:7]
	v_mul_f32_e32 v110, v110, v111
	buffer_store_dword v110, off, s[0:3], 0 offset:8
.LBB116_530:
	s_or_b64 exec, exec, s[8:9]
	buffer_load_dword v110, off, s[0:3], 0 offset:12
	v_cmp_gt_u32_e32 vcc, 3, v0
	s_waitcnt vmcnt(0)
	ds_write_b32 v108, v110
	s_waitcnt lgkmcnt(0)
	; wave barrier
	s_and_saveexec_b64 s[8:9], vcc
	s_cbranch_execz .LBB116_538
; %bb.531:
	s_and_b64 vcc, exec, s[4:5]
	s_cbranch_vccnz .LBB116_533
; %bb.532:
	buffer_load_dword v110, v109, s[0:3], 0 offen
	ds_read_b32 v111, v108
	s_waitcnt vmcnt(0) lgkmcnt(0)
	v_mul_f32_e32 v110, v110, v111
	s_cbranch_execz .LBB116_534
	s_branch .LBB116_535
.LBB116_533:
                                        ; implicit-def: $vgpr110
.LBB116_534:
	ds_read_b32 v110, v108
.LBB116_535:
	v_cmp_ne_u32_e32 vcc, 2, v0
	s_and_saveexec_b64 s[10:11], vcc
	s_cbranch_execz .LBB116_537
; %bb.536:
	buffer_load_dword v111, v109, s[0:3], 0 offen offset:4
	buffer_load_dword v112, off, s[0:3], 0 offset:8
	v_mov_b32_e32 v113, 0
	ds_read_b32 v114, v108 offset:4
	ds_read_b32 v113, v113 offset:232
	s_waitcnt vmcnt(1) lgkmcnt(1)
	v_fmac_f32_e32 v110, v111, v114
	s_waitcnt vmcnt(0) lgkmcnt(0)
	v_fma_f32 v111, v112, v113, v110
	v_cndmask_b32_e64 v110, v110, v111, s[6:7]
.LBB116_537:
	s_or_b64 exec, exec, s[10:11]
	v_mov_b32_e32 v111, 0
	ds_read_b32 v111, v111 offset:12
	s_waitcnt lgkmcnt(0)
	v_mul_f32_e32 v110, v110, v111
	buffer_store_dword v110, off, s[0:3], 0 offset:12
.LBB116_538:
	s_or_b64 exec, exec, s[8:9]
	buffer_load_dword v110, off, s[0:3], 0 offset:16
	v_cmp_gt_u32_e32 vcc, 4, v0
	s_waitcnt vmcnt(0)
	ds_write_b32 v108, v110
	s_waitcnt lgkmcnt(0)
	; wave barrier
	s_and_saveexec_b64 s[6:7], vcc
	s_cbranch_execz .LBB116_548
; %bb.539:
	s_and_b64 vcc, exec, s[4:5]
	s_cbranch_vccnz .LBB116_541
; %bb.540:
	buffer_load_dword v110, v109, s[0:3], 0 offen
	ds_read_b32 v111, v108
	s_waitcnt vmcnt(0) lgkmcnt(0)
	v_mul_f32_e32 v110, v110, v111
	s_cbranch_execz .LBB116_542
	s_branch .LBB116_543
.LBB116_541:
                                        ; implicit-def: $vgpr110
.LBB116_542:
	ds_read_b32 v110, v108
.LBB116_543:
	v_cmp_ne_u32_e32 vcc, 3, v0
	s_and_saveexec_b64 s[8:9], vcc
	s_cbranch_execz .LBB116_547
; %bb.544:
	s_mov_b32 s10, 0
	v_add_u32_e32 v111, 0xe4, v107
	v_add3_u32 v112, v107, s10, 4
	s_mov_b64 s[10:11], 0
	v_mov_b32_e32 v113, v0
.LBB116_545:                            ; =>This Inner Loop Header: Depth=1
	buffer_load_dword v114, v112, s[0:3], 0 offen
	ds_read_b32 v115, v111
	v_add_u32_e32 v113, 1, v113
	v_cmp_lt_u32_e32 vcc, 2, v113
	v_add_u32_e32 v111, 4, v111
	v_add_u32_e32 v112, 4, v112
	s_or_b64 s[10:11], vcc, s[10:11]
	s_waitcnt vmcnt(0) lgkmcnt(0)
	v_fmac_f32_e32 v110, v114, v115
	s_andn2_b64 exec, exec, s[10:11]
	s_cbranch_execnz .LBB116_545
; %bb.546:
	s_or_b64 exec, exec, s[10:11]
.LBB116_547:
	s_or_b64 exec, exec, s[8:9]
	v_mov_b32_e32 v111, 0
	ds_read_b32 v111, v111 offset:16
	s_waitcnt lgkmcnt(0)
	v_mul_f32_e32 v110, v110, v111
	buffer_store_dword v110, off, s[0:3], 0 offset:16
.LBB116_548:
	s_or_b64 exec, exec, s[6:7]
	buffer_load_dword v110, off, s[0:3], 0 offset:20
	v_cmp_gt_u32_e32 vcc, 5, v0
	s_waitcnt vmcnt(0)
	ds_write_b32 v108, v110
	s_waitcnt lgkmcnt(0)
	; wave barrier
	s_and_saveexec_b64 s[6:7], vcc
	s_cbranch_execz .LBB116_558
; %bb.549:
	s_and_b64 vcc, exec, s[4:5]
	s_cbranch_vccnz .LBB116_551
; %bb.550:
	buffer_load_dword v110, v109, s[0:3], 0 offen
	ds_read_b32 v111, v108
	s_waitcnt vmcnt(0) lgkmcnt(0)
	v_mul_f32_e32 v110, v110, v111
	s_cbranch_execz .LBB116_552
	s_branch .LBB116_553
.LBB116_551:
                                        ; implicit-def: $vgpr110
.LBB116_552:
	ds_read_b32 v110, v108
.LBB116_553:
	v_cmp_ne_u32_e32 vcc, 4, v0
	s_and_saveexec_b64 s[8:9], vcc
	s_cbranch_execz .LBB116_557
; %bb.554:
	s_mov_b32 s10, 0
	v_add_u32_e32 v111, 0xe4, v107
	v_add3_u32 v112, v107, s10, 4
	s_mov_b64 s[10:11], 0
	v_mov_b32_e32 v113, v0
.LBB116_555:                            ; =>This Inner Loop Header: Depth=1
	buffer_load_dword v114, v112, s[0:3], 0 offen
	ds_read_b32 v115, v111
	v_add_u32_e32 v113, 1, v113
	v_cmp_lt_u32_e32 vcc, 3, v113
	v_add_u32_e32 v111, 4, v111
	v_add_u32_e32 v112, 4, v112
	s_or_b64 s[10:11], vcc, s[10:11]
	s_waitcnt vmcnt(0) lgkmcnt(0)
	v_fmac_f32_e32 v110, v114, v115
	s_andn2_b64 exec, exec, s[10:11]
	s_cbranch_execnz .LBB116_555
; %bb.556:
	s_or_b64 exec, exec, s[10:11]
.LBB116_557:
	s_or_b64 exec, exec, s[8:9]
	v_mov_b32_e32 v111, 0
	ds_read_b32 v111, v111 offset:20
	s_waitcnt lgkmcnt(0)
	v_mul_f32_e32 v110, v110, v111
	buffer_store_dword v110, off, s[0:3], 0 offset:20
.LBB116_558:
	;; [unrolled: 55-line block ×46, first 2 shown]
	s_or_b64 exec, exec, s[6:7]
	buffer_load_dword v110, off, s[0:3], 0 offset:200
	v_cmp_gt_u32_e32 vcc, 50, v0
	s_waitcnt vmcnt(0)
	ds_write_b32 v108, v110
	s_waitcnt lgkmcnt(0)
	; wave barrier
	s_and_saveexec_b64 s[6:7], vcc
	s_cbranch_execz .LBB116_1008
; %bb.999:
	s_and_b64 vcc, exec, s[4:5]
	s_cbranch_vccnz .LBB116_1001
; %bb.1000:
	buffer_load_dword v110, v109, s[0:3], 0 offen
	ds_read_b32 v111, v108
	s_waitcnt vmcnt(0) lgkmcnt(0)
	v_mul_f32_e32 v110, v110, v111
	s_cbranch_execz .LBB116_1002
	s_branch .LBB116_1003
.LBB116_1001:
                                        ; implicit-def: $vgpr110
.LBB116_1002:
	ds_read_b32 v110, v108
.LBB116_1003:
	v_cmp_ne_u32_e32 vcc, 49, v0
	s_and_saveexec_b64 s[8:9], vcc
	s_cbranch_execz .LBB116_1007
; %bb.1004:
	s_mov_b32 s10, 0
	v_add_u32_e32 v111, 0xe4, v107
	v_add3_u32 v112, v107, s10, 4
	s_mov_b64 s[10:11], 0
	v_mov_b32_e32 v113, v0
.LBB116_1005:                           ; =>This Inner Loop Header: Depth=1
	buffer_load_dword v114, v112, s[0:3], 0 offen
	ds_read_b32 v115, v111
	v_add_u32_e32 v113, 1, v113
	v_cmp_lt_u32_e32 vcc, 48, v113
	v_add_u32_e32 v111, 4, v111
	v_add_u32_e32 v112, 4, v112
	s_or_b64 s[10:11], vcc, s[10:11]
	s_waitcnt vmcnt(0) lgkmcnt(0)
	v_fmac_f32_e32 v110, v114, v115
	s_andn2_b64 exec, exec, s[10:11]
	s_cbranch_execnz .LBB116_1005
; %bb.1006:
	s_or_b64 exec, exec, s[10:11]
.LBB116_1007:
	s_or_b64 exec, exec, s[8:9]
	v_mov_b32_e32 v111, 0
	ds_read_b32 v111, v111 offset:200
	s_waitcnt lgkmcnt(0)
	v_mul_f32_e32 v110, v110, v111
	buffer_store_dword v110, off, s[0:3], 0 offset:200
.LBB116_1008:
	s_or_b64 exec, exec, s[6:7]
	buffer_load_dword v110, off, s[0:3], 0 offset:204
	v_cmp_gt_u32_e64 s[6:7], 51, v0
	s_waitcnt vmcnt(0)
	ds_write_b32 v108, v110
	s_waitcnt lgkmcnt(0)
	; wave barrier
	s_and_saveexec_b64 s[8:9], s[6:7]
	s_cbranch_execz .LBB116_1018
; %bb.1009:
	s_and_b64 vcc, exec, s[4:5]
	s_cbranch_vccnz .LBB116_1011
; %bb.1010:
	buffer_load_dword v110, v109, s[0:3], 0 offen
	ds_read_b32 v111, v108
	s_waitcnt vmcnt(0) lgkmcnt(0)
	v_mul_f32_e32 v110, v110, v111
	s_cbranch_execz .LBB116_1012
	s_branch .LBB116_1013
.LBB116_1011:
                                        ; implicit-def: $vgpr110
.LBB116_1012:
	ds_read_b32 v110, v108
.LBB116_1013:
	v_cmp_ne_u32_e32 vcc, 50, v0
	s_and_saveexec_b64 s[10:11], vcc
	s_cbranch_execz .LBB116_1017
; %bb.1014:
	s_mov_b32 s12, 0
	v_add_u32_e32 v111, 0xe4, v107
	v_add3_u32 v112, v107, s12, 4
	s_mov_b64 s[12:13], 0
	v_mov_b32_e32 v113, v0
.LBB116_1015:                           ; =>This Inner Loop Header: Depth=1
	buffer_load_dword v114, v112, s[0:3], 0 offen
	ds_read_b32 v115, v111
	v_add_u32_e32 v113, 1, v113
	v_cmp_lt_u32_e32 vcc, 49, v113
	v_add_u32_e32 v111, 4, v111
	v_add_u32_e32 v112, 4, v112
	s_or_b64 s[12:13], vcc, s[12:13]
	s_waitcnt vmcnt(0) lgkmcnt(0)
	v_fmac_f32_e32 v110, v114, v115
	s_andn2_b64 exec, exec, s[12:13]
	s_cbranch_execnz .LBB116_1015
; %bb.1016:
	s_or_b64 exec, exec, s[12:13]
.LBB116_1017:
	s_or_b64 exec, exec, s[10:11]
	v_mov_b32_e32 v111, 0
	ds_read_b32 v111, v111 offset:204
	s_waitcnt lgkmcnt(0)
	v_mul_f32_e32 v110, v110, v111
	buffer_store_dword v110, off, s[0:3], 0 offset:204
.LBB116_1018:
	s_or_b64 exec, exec, s[8:9]
	buffer_load_dword v110, off, s[0:3], 0 offset:208
	v_cmp_ne_u32_e32 vcc, 52, v0
	s_waitcnt vmcnt(0)
	ds_write_b32 v108, v110
	s_waitcnt lgkmcnt(0)
	; wave barrier
	s_and_saveexec_b64 s[8:9], vcc
	s_cbranch_execz .LBB116_1028
; %bb.1019:
	s_and_b64 vcc, exec, s[4:5]
	s_cbranch_vccnz .LBB116_1021
; %bb.1020:
	buffer_load_dword v109, v109, s[0:3], 0 offen
	ds_read_b32 v110, v108
	s_waitcnt vmcnt(0) lgkmcnt(0)
	v_mul_f32_e32 v109, v109, v110
	s_cbranch_execz .LBB116_1022
	s_branch .LBB116_1023
.LBB116_1021:
                                        ; implicit-def: $vgpr109
.LBB116_1022:
	ds_read_b32 v109, v108
.LBB116_1023:
	s_and_saveexec_b64 s[4:5], s[6:7]
	s_cbranch_execz .LBB116_1027
; %bb.1024:
	s_mov_b32 s6, 0
	v_add_u32_e32 v108, 0xe4, v107
	v_add3_u32 v107, v107, s6, 4
	s_mov_b64 s[6:7], 0
.LBB116_1025:                           ; =>This Inner Loop Header: Depth=1
	buffer_load_dword v110, v107, s[0:3], 0 offen
	ds_read_b32 v111, v108
	v_add_u32_e32 v0, 1, v0
	v_cmp_lt_u32_e32 vcc, 50, v0
	v_add_u32_e32 v108, 4, v108
	v_add_u32_e32 v107, 4, v107
	s_or_b64 s[6:7], vcc, s[6:7]
	s_waitcnt vmcnt(0) lgkmcnt(0)
	v_fmac_f32_e32 v109, v110, v111
	s_andn2_b64 exec, exec, s[6:7]
	s_cbranch_execnz .LBB116_1025
; %bb.1026:
	s_or_b64 exec, exec, s[6:7]
.LBB116_1027:
	s_or_b64 exec, exec, s[4:5]
	v_mov_b32_e32 v0, 0
	ds_read_b32 v0, v0 offset:208
	s_waitcnt lgkmcnt(0)
	v_mul_f32_e32 v0, v109, v0
	buffer_store_dword v0, off, s[0:3], 0 offset:208
.LBB116_1028:
	s_or_b64 exec, exec, s[8:9]
.LBB116_1029:
	buffer_load_dword v0, off, s[0:3], 0
	s_waitcnt vmcnt(0)
	flat_store_dword v[1:2], v0
	buffer_load_dword v0, off, s[0:3], 0 offset:4
	s_waitcnt vmcnt(0)
	flat_store_dword v[3:4], v0
	buffer_load_dword v0, off, s[0:3], 0 offset:8
	;; [unrolled: 3-line block ×52, first 2 shown]
	s_waitcnt vmcnt(0)
	flat_store_dword v[105:106], v0
.LBB116_1030:
	s_endpgm
	.section	.rodata,"a",@progbits
	.p2align	6, 0x0
	.amdhsa_kernel _ZN9rocsolver6v33100L18trti2_kernel_smallILi53EfPKPfEEv13rocblas_fill_17rocblas_diagonal_T1_iil
		.amdhsa_group_segment_fixed_size 436
		.amdhsa_private_segment_fixed_size 224
		.amdhsa_kernarg_size 32
		.amdhsa_user_sgpr_count 6
		.amdhsa_user_sgpr_private_segment_buffer 1
		.amdhsa_user_sgpr_dispatch_ptr 0
		.amdhsa_user_sgpr_queue_ptr 0
		.amdhsa_user_sgpr_kernarg_segment_ptr 1
		.amdhsa_user_sgpr_dispatch_id 0
		.amdhsa_user_sgpr_flat_scratch_init 0
		.amdhsa_user_sgpr_private_segment_size 0
		.amdhsa_uses_dynamic_stack 0
		.amdhsa_system_sgpr_private_segment_wavefront_offset 1
		.amdhsa_system_sgpr_workgroup_id_x 1
		.amdhsa_system_sgpr_workgroup_id_y 0
		.amdhsa_system_sgpr_workgroup_id_z 0
		.amdhsa_system_sgpr_workgroup_info 0
		.amdhsa_system_vgpr_workitem_id 0
		.amdhsa_next_free_vgpr 116
		.amdhsa_next_free_sgpr 66
		.amdhsa_reserve_vcc 1
		.amdhsa_reserve_flat_scratch 0
		.amdhsa_float_round_mode_32 0
		.amdhsa_float_round_mode_16_64 0
		.amdhsa_float_denorm_mode_32 3
		.amdhsa_float_denorm_mode_16_64 3
		.amdhsa_dx10_clamp 1
		.amdhsa_ieee_mode 1
		.amdhsa_fp16_overflow 0
		.amdhsa_exception_fp_ieee_invalid_op 0
		.amdhsa_exception_fp_denorm_src 0
		.amdhsa_exception_fp_ieee_div_zero 0
		.amdhsa_exception_fp_ieee_overflow 0
		.amdhsa_exception_fp_ieee_underflow 0
		.amdhsa_exception_fp_ieee_inexact 0
		.amdhsa_exception_int_div_zero 0
	.end_amdhsa_kernel
	.section	.text._ZN9rocsolver6v33100L18trti2_kernel_smallILi53EfPKPfEEv13rocblas_fill_17rocblas_diagonal_T1_iil,"axG",@progbits,_ZN9rocsolver6v33100L18trti2_kernel_smallILi53EfPKPfEEv13rocblas_fill_17rocblas_diagonal_T1_iil,comdat
.Lfunc_end116:
	.size	_ZN9rocsolver6v33100L18trti2_kernel_smallILi53EfPKPfEEv13rocblas_fill_17rocblas_diagonal_T1_iil, .Lfunc_end116-_ZN9rocsolver6v33100L18trti2_kernel_smallILi53EfPKPfEEv13rocblas_fill_17rocblas_diagonal_T1_iil
                                        ; -- End function
	.set _ZN9rocsolver6v33100L18trti2_kernel_smallILi53EfPKPfEEv13rocblas_fill_17rocblas_diagonal_T1_iil.num_vgpr, 116
	.set _ZN9rocsolver6v33100L18trti2_kernel_smallILi53EfPKPfEEv13rocblas_fill_17rocblas_diagonal_T1_iil.num_agpr, 0
	.set _ZN9rocsolver6v33100L18trti2_kernel_smallILi53EfPKPfEEv13rocblas_fill_17rocblas_diagonal_T1_iil.numbered_sgpr, 66
	.set _ZN9rocsolver6v33100L18trti2_kernel_smallILi53EfPKPfEEv13rocblas_fill_17rocblas_diagonal_T1_iil.num_named_barrier, 0
	.set _ZN9rocsolver6v33100L18trti2_kernel_smallILi53EfPKPfEEv13rocblas_fill_17rocblas_diagonal_T1_iil.private_seg_size, 224
	.set _ZN9rocsolver6v33100L18trti2_kernel_smallILi53EfPKPfEEv13rocblas_fill_17rocblas_diagonal_T1_iil.uses_vcc, 1
	.set _ZN9rocsolver6v33100L18trti2_kernel_smallILi53EfPKPfEEv13rocblas_fill_17rocblas_diagonal_T1_iil.uses_flat_scratch, 0
	.set _ZN9rocsolver6v33100L18trti2_kernel_smallILi53EfPKPfEEv13rocblas_fill_17rocblas_diagonal_T1_iil.has_dyn_sized_stack, 0
	.set _ZN9rocsolver6v33100L18trti2_kernel_smallILi53EfPKPfEEv13rocblas_fill_17rocblas_diagonal_T1_iil.has_recursion, 0
	.set _ZN9rocsolver6v33100L18trti2_kernel_smallILi53EfPKPfEEv13rocblas_fill_17rocblas_diagonal_T1_iil.has_indirect_call, 0
	.section	.AMDGPU.csdata,"",@progbits
; Kernel info:
; codeLenInByte = 25776
; TotalNumSgprs: 70
; NumVgprs: 116
; ScratchSize: 224
; MemoryBound: 0
; FloatMode: 240
; IeeeMode: 1
; LDSByteSize: 436 bytes/workgroup (compile time only)
; SGPRBlocks: 8
; VGPRBlocks: 28
; NumSGPRsForWavesPerEU: 70
; NumVGPRsForWavesPerEU: 116
; Occupancy: 2
; WaveLimiterHint : 1
; COMPUTE_PGM_RSRC2:SCRATCH_EN: 1
; COMPUTE_PGM_RSRC2:USER_SGPR: 6
; COMPUTE_PGM_RSRC2:TRAP_HANDLER: 0
; COMPUTE_PGM_RSRC2:TGID_X_EN: 1
; COMPUTE_PGM_RSRC2:TGID_Y_EN: 0
; COMPUTE_PGM_RSRC2:TGID_Z_EN: 0
; COMPUTE_PGM_RSRC2:TIDIG_COMP_CNT: 0
	.section	.text._ZN9rocsolver6v33100L18trti2_kernel_smallILi54EfPKPfEEv13rocblas_fill_17rocblas_diagonal_T1_iil,"axG",@progbits,_ZN9rocsolver6v33100L18trti2_kernel_smallILi54EfPKPfEEv13rocblas_fill_17rocblas_diagonal_T1_iil,comdat
	.globl	_ZN9rocsolver6v33100L18trti2_kernel_smallILi54EfPKPfEEv13rocblas_fill_17rocblas_diagonal_T1_iil ; -- Begin function _ZN9rocsolver6v33100L18trti2_kernel_smallILi54EfPKPfEEv13rocblas_fill_17rocblas_diagonal_T1_iil
	.p2align	8
	.type	_ZN9rocsolver6v33100L18trti2_kernel_smallILi54EfPKPfEEv13rocblas_fill_17rocblas_diagonal_T1_iil,@function
_ZN9rocsolver6v33100L18trti2_kernel_smallILi54EfPKPfEEv13rocblas_fill_17rocblas_diagonal_T1_iil: ; @_ZN9rocsolver6v33100L18trti2_kernel_smallILi54EfPKPfEEv13rocblas_fill_17rocblas_diagonal_T1_iil
; %bb.0:
	s_add_u32 s0, s0, s7
	s_addc_u32 s1, s1, 0
	v_cmp_gt_u32_e32 vcc, 54, v0
	s_and_saveexec_b64 s[8:9], vcc
	s_cbranch_execz .LBB117_1050
; %bb.1:
	s_load_dwordx2 s[12:13], s[4:5], 0x10
	s_load_dwordx4 s[8:11], s[4:5], 0x0
	s_ashr_i32 s7, s6, 31
	s_lshl_b64 s[6:7], s[6:7], 3
	v_lshlrev_b32_e32 v109, 2, v0
	s_waitcnt lgkmcnt(0)
	s_ashr_i32 s5, s12, 31
	s_add_u32 s6, s10, s6
	s_addc_u32 s7, s11, s7
	s_load_dwordx2 s[6:7], s[6:7], 0x0
	s_mov_b32 s4, s12
	s_lshl_b64 s[4:5], s[4:5], 2
	s_movk_i32 s12, 0x84
	s_waitcnt lgkmcnt(0)
	s_add_u32 s4, s6, s4
	s_addc_u32 s5, s7, s5
	v_mov_b32_e32 v2, s5
	v_add_co_u32_e32 v1, vcc, s4, v109
	v_addc_co_u32_e32 v2, vcc, 0, v2, vcc
	flat_load_dword v5, v[1:2]
	s_mov_b32 s6, s13
	s_ashr_i32 s7, s13, 31
	s_lshl_b64 s[6:7], s[6:7], 2
	v_mov_b32_e32 v4, s7
	v_add_co_u32_e32 v3, vcc, s6, v1
	v_addc_co_u32_e32 v4, vcc, v2, v4, vcc
	s_add_i32 s6, s13, s13
	v_add_u32_e32 v7, s6, v0
	v_ashrrev_i32_e32 v8, 31, v7
	v_mov_b32_e32 v10, s5
	v_mov_b32_e32 v12, s5
	;; [unrolled: 1-line block ×51, first 2 shown]
	s_cmpk_lg_i32 s9, 0x84
	s_cselect_b64 s[10:11], -1, 0
	s_cmpk_eq_i32 s9, 0x84
	s_waitcnt vmcnt(0) lgkmcnt(0)
	buffer_store_dword v5, off, s[0:3], 0
	flat_load_dword v9, v[3:4]
	v_lshlrev_b64 v[5:6], 2, v[7:8]
	v_add_co_u32_e32 v5, vcc, s4, v5
	v_addc_co_u32_e32 v6, vcc, v10, v6, vcc
	s_waitcnt vmcnt(0) lgkmcnt(0)
	buffer_store_dword v9, off, s[0:3], 0 offset:4
	flat_load_dword v11, v[5:6]
	v_add_u32_e32 v9, s13, v7
	v_ashrrev_i32_e32 v10, 31, v9
	v_lshlrev_b64 v[7:8], 2, v[9:10]
	v_add_co_u32_e32 v7, vcc, s4, v7
	v_addc_co_u32_e32 v8, vcc, v12, v8, vcc
	s_waitcnt vmcnt(0) lgkmcnt(0)
	buffer_store_dword v11, off, s[0:3], 0 offset:8
	flat_load_dword v13, v[7:8]
	v_add_u32_e32 v11, s13, v9
	v_ashrrev_i32_e32 v12, 31, v11
	;; [unrolled: 8-line block ×50, first 2 shown]
	v_lshlrev_b64 v[105:106], 2, v[107:108]
	v_add_u32_e32 v107, s13, v107
	v_add_co_u32_e32 v105, vcc, s4, v105
	v_addc_co_u32_e32 v106, vcc, v111, v106, vcc
	v_ashrrev_i32_e32 v108, 31, v107
	v_lshlrev_b64 v[107:108], 2, v[107:108]
	v_add_co_u32_e32 v107, vcc, s4, v107
	v_addc_co_u32_e32 v108, vcc, v111, v108, vcc
	s_waitcnt vmcnt(0) lgkmcnt(0)
	buffer_store_dword v110, off, s[0:3], 0 offset:204
	flat_load_dword v110, v[105:106]
	s_waitcnt vmcnt(0) lgkmcnt(0)
	buffer_store_dword v110, off, s[0:3], 0 offset:208
	flat_load_dword v110, v[107:108]
	s_waitcnt vmcnt(0) lgkmcnt(0)
	buffer_store_dword v110, off, s[0:3], 0 offset:212
	v_mov_b32_e32 v110, -1.0
	s_cbranch_scc1 .LBB117_3
; %bb.2:
	v_mov_b32_e32 v110, 0
	v_lshl_add_u32 v110, v0, 2, v110
	buffer_load_dword v111, v110, s[0:3], 0 offen
	s_waitcnt vmcnt(0)
	v_div_scale_f32 v112, s[4:5], v111, v111, 1.0
	v_div_scale_f32 v113, vcc, 1.0, v111, 1.0
	v_rcp_f32_e32 v114, v112
	v_fma_f32 v115, -v112, v114, 1.0
	v_fmac_f32_e32 v114, v115, v114
	v_mul_f32_e32 v115, v113, v114
	v_fma_f32 v116, -v112, v115, v113
	v_fmac_f32_e32 v115, v116, v114
	v_fma_f32 v112, -v112, v115, v113
	v_div_fmas_f32 v112, v112, v114, v115
	v_div_fixup_f32 v111, v112, v111, 1.0
	buffer_store_dword v111, v110, s[0:3], 0 offen
	v_xor_b32_e32 v110, 0x80000000, v111
.LBB117_3:
	ds_write_b32 v109, v110
	s_cmpk_eq_i32 s8, 0x79
	v_add_u32_e32 v110, 0xe0, v109
	v_mov_b32_e32 v111, v109
	s_mov_b64 s[4:5], -1
	s_cbranch_scc1 .LBB117_527
; %bb.4:
	buffer_load_dword v112, off, s[0:3], 0 offset:208
	s_movk_i32 s30, 0x44
	s_movk_i32 s31, 0x48
	;; [unrolled: 1-line block ×34, first 2 shown]
	v_cmp_eq_u32_e64 s[4:5], 53, v0
	s_waitcnt vmcnt(0)
	ds_write_b32 v110, v112
	s_waitcnt lgkmcnt(0)
	; wave barrier
	s_and_saveexec_b64 s[6:7], s[4:5]
	s_cbranch_execz .LBB117_10
; %bb.5:
	s_and_b64 vcc, exec, s[10:11]
	s_cbranch_vccz .LBB117_7
; %bb.6:
	buffer_load_dword v112, v111, s[0:3], 0 offen
	ds_read_b32 v113, v110
	s_waitcnt vmcnt(0) lgkmcnt(0)
	v_mul_f32_e32 v112, v112, v113
	s_cbranch_execz .LBB117_8
	s_branch .LBB117_9
.LBB117_7:
                                        ; implicit-def: $vgpr112
.LBB117_8:
	ds_read_b32 v112, v110
.LBB117_9:
	v_mov_b32_e32 v113, 0
	ds_read_b32 v113, v113 offset:208
	s_waitcnt lgkmcnt(0)
	v_mul_f32_e32 v112, v112, v113
	buffer_store_dword v112, off, s[0:3], 0 offset:208
.LBB117_10:
	s_or_b64 exec, exec, s[6:7]
	buffer_load_dword v112, off, s[0:3], 0 offset:204
	s_or_b32 s14, 0, 4
	s_or_b32 s15, 0, 8
	;; [unrolled: 1-line block ×3, first 2 shown]
	s_mov_b32 s17, 16
	s_mov_b32 s18, 20
	;; [unrolled: 1-line block ×15, first 2 shown]
	v_cmp_lt_u32_e64 s[6:7], 51, v0
	s_waitcnt vmcnt(0)
	ds_write_b32 v110, v112
	s_waitcnt lgkmcnt(0)
	; wave barrier
	s_and_saveexec_b64 s[8:9], s[6:7]
	s_cbranch_execz .LBB117_16
; %bb.11:
	s_andn2_b64 vcc, exec, s[10:11]
	s_cbranch_vccnz .LBB117_13
; %bb.12:
	buffer_load_dword v112, v111, s[0:3], 0 offen
	ds_read_b32 v113, v110
	s_waitcnt vmcnt(0) lgkmcnt(0)
	v_mul_f32_e32 v112, v112, v113
	s_cbranch_execz .LBB117_14
	s_branch .LBB117_15
.LBB117_13:
                                        ; implicit-def: $vgpr112
.LBB117_14:
	ds_read_b32 v112, v110
.LBB117_15:
	buffer_load_dword v115, off, s[0:3], 0 offset:208
	v_mov_b32_e32 v113, 0
	ds_read2_b32 v[113:114], v113 offset0:51 offset1:108
	s_waitcnt vmcnt(0) lgkmcnt(0)
	v_fma_f32 v114, v115, v114, v112
	v_cndmask_b32_e64 v112, v112, v114, s[4:5]
	v_mul_f32_e32 v112, v112, v113
	buffer_store_dword v112, off, s[0:3], 0 offset:204
.LBB117_16:
	s_or_b64 exec, exec, s[8:9]
	buffer_load_dword v112, off, s[0:3], 0 offset:200
	v_cmp_lt_u32_e64 s[4:5], 50, v0
	s_waitcnt vmcnt(0)
	ds_write_b32 v110, v112
	s_waitcnt lgkmcnt(0)
	; wave barrier
	s_and_saveexec_b64 s[8:9], s[4:5]
	s_cbranch_execz .LBB117_26
; %bb.17:
	s_andn2_b64 vcc, exec, s[10:11]
	s_cbranch_vccnz .LBB117_19
; %bb.18:
	buffer_load_dword v112, v111, s[0:3], 0 offen
	ds_read_b32 v113, v110
	s_waitcnt vmcnt(0) lgkmcnt(0)
	v_mul_f32_e32 v112, v112, v113
	s_cbranch_execz .LBB117_20
	s_branch .LBB117_21
.LBB117_19:
                                        ; implicit-def: $vgpr112
.LBB117_20:
	ds_read_b32 v112, v110
.LBB117_21:
	s_and_saveexec_b64 s[12:13], s[6:7]
	s_cbranch_execz .LBB117_25
; %bb.22:
	v_subrev_u32_e32 v113, 51, v0
	s_movk_i32 s66, 0x1ac
	s_mov_b64 s[6:7], 0
.LBB117_23:                             ; =>This Inner Loop Header: Depth=1
	v_mov_b32_e32 v114, s65
	buffer_load_dword v114, v114, s[0:3], 0 offen
	v_mov_b32_e32 v115, s66
	ds_read_b32 v115, v115
	v_add_u32_e32 v113, -1, v113
	s_add_i32 s66, s66, 4
	s_add_i32 s65, s65, 4
	v_cmp_eq_u32_e32 vcc, 0, v113
	s_or_b64 s[6:7], vcc, s[6:7]
	s_waitcnt vmcnt(0) lgkmcnt(0)
	v_fmac_f32_e32 v112, v114, v115
	s_andn2_b64 exec, exec, s[6:7]
	s_cbranch_execnz .LBB117_23
; %bb.24:
	s_or_b64 exec, exec, s[6:7]
.LBB117_25:
	s_or_b64 exec, exec, s[12:13]
	v_mov_b32_e32 v113, 0
	ds_read_b32 v113, v113 offset:200
	s_waitcnt lgkmcnt(0)
	v_mul_f32_e32 v112, v112, v113
	buffer_store_dword v112, off, s[0:3], 0 offset:200
.LBB117_26:
	s_or_b64 exec, exec, s[8:9]
	buffer_load_dword v112, off, s[0:3], 0 offset:196
	v_cmp_lt_u32_e64 s[6:7], 49, v0
	s_waitcnt vmcnt(0)
	ds_write_b32 v110, v112
	s_waitcnt lgkmcnt(0)
	; wave barrier
	s_and_saveexec_b64 s[8:9], s[6:7]
	s_cbranch_execz .LBB117_36
; %bb.27:
	s_andn2_b64 vcc, exec, s[10:11]
	s_cbranch_vccnz .LBB117_29
; %bb.28:
	buffer_load_dword v112, v111, s[0:3], 0 offen
	ds_read_b32 v113, v110
	s_waitcnt vmcnt(0) lgkmcnt(0)
	v_mul_f32_e32 v112, v112, v113
	s_cbranch_execz .LBB117_30
	s_branch .LBB117_31
.LBB117_29:
                                        ; implicit-def: $vgpr112
.LBB117_30:
	ds_read_b32 v112, v110
.LBB117_31:
	s_and_saveexec_b64 s[12:13], s[4:5]
	s_cbranch_execz .LBB117_35
; %bb.32:
	v_subrev_u32_e32 v113, 50, v0
	s_movk_i32 s65, 0x1a8
	s_mov_b64 s[4:5], 0
.LBB117_33:                             ; =>This Inner Loop Header: Depth=1
	v_mov_b32_e32 v114, s64
	buffer_load_dword v114, v114, s[0:3], 0 offen
	v_mov_b32_e32 v115, s65
	ds_read_b32 v115, v115
	v_add_u32_e32 v113, -1, v113
	s_add_i32 s65, s65, 4
	s_add_i32 s64, s64, 4
	v_cmp_eq_u32_e32 vcc, 0, v113
	s_or_b64 s[4:5], vcc, s[4:5]
	s_waitcnt vmcnt(0) lgkmcnt(0)
	v_fmac_f32_e32 v112, v114, v115
	s_andn2_b64 exec, exec, s[4:5]
	s_cbranch_execnz .LBB117_33
; %bb.34:
	s_or_b64 exec, exec, s[4:5]
.LBB117_35:
	s_or_b64 exec, exec, s[12:13]
	v_mov_b32_e32 v113, 0
	ds_read_b32 v113, v113 offset:196
	s_waitcnt lgkmcnt(0)
	v_mul_f32_e32 v112, v112, v113
	buffer_store_dword v112, off, s[0:3], 0 offset:196
.LBB117_36:
	;; [unrolled: 54-line block ×8, first 2 shown]
	s_or_b64 exec, exec, s[8:9]
	buffer_load_dword v112, off, s[0:3], 0 offset:168
	v_cmp_lt_u32_e64 s[4:5], 42, v0
	s_waitcnt vmcnt(0)
	ds_write_b32 v110, v112
	s_waitcnt lgkmcnt(0)
	; wave barrier
	s_and_saveexec_b64 s[8:9], s[4:5]
	s_cbranch_execz .LBB117_106
; %bb.97:
	s_andn2_b64 vcc, exec, s[10:11]
	s_cbranch_vccnz .LBB117_99
; %bb.98:
	buffer_load_dword v112, v111, s[0:3], 0 offen
	ds_read_b32 v113, v110
	s_waitcnt vmcnt(0) lgkmcnt(0)
	v_mul_f32_e32 v112, v112, v113
	s_cbranch_execz .LBB117_100
	s_branch .LBB117_101
.LBB117_99:
                                        ; implicit-def: $vgpr112
.LBB117_100:
	ds_read_b32 v112, v110
.LBB117_101:
	s_and_saveexec_b64 s[12:13], s[6:7]
	s_cbranch_execz .LBB117_105
; %bb.102:
	v_subrev_u32_e32 v113, 43, v0
	s_movk_i32 s58, 0x18c
	s_mov_b64 s[6:7], 0
.LBB117_103:                            ; =>This Inner Loop Header: Depth=1
	v_mov_b32_e32 v114, s57
	buffer_load_dword v114, v114, s[0:3], 0 offen
	v_mov_b32_e32 v115, s58
	ds_read_b32 v115, v115
	v_add_u32_e32 v113, -1, v113
	s_add_i32 s58, s58, 4
	s_add_i32 s57, s57, 4
	v_cmp_eq_u32_e32 vcc, 0, v113
	s_or_b64 s[6:7], vcc, s[6:7]
	s_waitcnt vmcnt(0) lgkmcnt(0)
	v_fmac_f32_e32 v112, v114, v115
	s_andn2_b64 exec, exec, s[6:7]
	s_cbranch_execnz .LBB117_103
; %bb.104:
	s_or_b64 exec, exec, s[6:7]
.LBB117_105:
	s_or_b64 exec, exec, s[12:13]
	v_mov_b32_e32 v113, 0
	ds_read_b32 v113, v113 offset:168
	s_waitcnt lgkmcnt(0)
	v_mul_f32_e32 v112, v112, v113
	buffer_store_dword v112, off, s[0:3], 0 offset:168
.LBB117_106:
	s_or_b64 exec, exec, s[8:9]
	buffer_load_dword v112, off, s[0:3], 0 offset:164
	v_cmp_lt_u32_e64 s[6:7], 41, v0
	s_waitcnt vmcnt(0)
	ds_write_b32 v110, v112
	s_waitcnt lgkmcnt(0)
	; wave barrier
	s_and_saveexec_b64 s[8:9], s[6:7]
	s_cbranch_execz .LBB117_116
; %bb.107:
	s_andn2_b64 vcc, exec, s[10:11]
	s_cbranch_vccnz .LBB117_109
; %bb.108:
	buffer_load_dword v112, v111, s[0:3], 0 offen
	ds_read_b32 v113, v110
	s_waitcnt vmcnt(0) lgkmcnt(0)
	v_mul_f32_e32 v112, v112, v113
	s_cbranch_execz .LBB117_110
	s_branch .LBB117_111
.LBB117_109:
                                        ; implicit-def: $vgpr112
.LBB117_110:
	ds_read_b32 v112, v110
.LBB117_111:
	s_and_saveexec_b64 s[12:13], s[4:5]
	s_cbranch_execz .LBB117_115
; %bb.112:
	v_subrev_u32_e32 v113, 42, v0
	s_movk_i32 s57, 0x188
	s_mov_b64 s[4:5], 0
.LBB117_113:                            ; =>This Inner Loop Header: Depth=1
	v_mov_b32_e32 v114, s56
	buffer_load_dword v114, v114, s[0:3], 0 offen
	v_mov_b32_e32 v115, s57
	ds_read_b32 v115, v115
	v_add_u32_e32 v113, -1, v113
	s_add_i32 s57, s57, 4
	s_add_i32 s56, s56, 4
	v_cmp_eq_u32_e32 vcc, 0, v113
	s_or_b64 s[4:5], vcc, s[4:5]
	s_waitcnt vmcnt(0) lgkmcnt(0)
	v_fmac_f32_e32 v112, v114, v115
	s_andn2_b64 exec, exec, s[4:5]
	s_cbranch_execnz .LBB117_113
; %bb.114:
	s_or_b64 exec, exec, s[4:5]
.LBB117_115:
	s_or_b64 exec, exec, s[12:13]
	v_mov_b32_e32 v113, 0
	ds_read_b32 v113, v113 offset:164
	s_waitcnt lgkmcnt(0)
	v_mul_f32_e32 v112, v112, v113
	buffer_store_dword v112, off, s[0:3], 0 offset:164
.LBB117_116:
	;; [unrolled: 54-line block ×27, first 2 shown]
	s_or_b64 exec, exec, s[8:9]
	buffer_load_dword v112, off, s[0:3], 0 offset:60
	v_cmp_lt_u32_e64 s[6:7], 15, v0
	s_waitcnt vmcnt(0)
	ds_write_b32 v110, v112
	s_waitcnt lgkmcnt(0)
	; wave barrier
	s_and_saveexec_b64 s[8:9], s[6:7]
	s_cbranch_execz .LBB117_376
; %bb.367:
	s_andn2_b64 vcc, exec, s[10:11]
	s_cbranch_vccnz .LBB117_369
; %bb.368:
	buffer_load_dword v112, v111, s[0:3], 0 offen
	ds_read_b32 v113, v110
	s_waitcnt vmcnt(0) lgkmcnt(0)
	v_mul_f32_e32 v112, v112, v113
	s_cbranch_execz .LBB117_370
	s_branch .LBB117_371
.LBB117_369:
                                        ; implicit-def: $vgpr112
.LBB117_370:
	ds_read_b32 v112, v110
.LBB117_371:
	s_and_saveexec_b64 s[12:13], s[4:5]
	s_cbranch_execz .LBB117_375
; %bb.372:
	v_add_u32_e32 v113, -16, v0
	s_movk_i32 s30, 0x120
	s_mov_b64 s[4:5], 0
.LBB117_373:                            ; =>This Inner Loop Header: Depth=1
	v_mov_b32_e32 v114, s29
	buffer_load_dword v114, v114, s[0:3], 0 offen
	v_mov_b32_e32 v115, s30
	ds_read_b32 v115, v115
	v_add_u32_e32 v113, -1, v113
	s_add_i32 s30, s30, 4
	s_add_i32 s29, s29, 4
	v_cmp_eq_u32_e32 vcc, 0, v113
	s_or_b64 s[4:5], vcc, s[4:5]
	s_waitcnt vmcnt(0) lgkmcnt(0)
	v_fmac_f32_e32 v112, v114, v115
	s_andn2_b64 exec, exec, s[4:5]
	s_cbranch_execnz .LBB117_373
; %bb.374:
	s_or_b64 exec, exec, s[4:5]
.LBB117_375:
	s_or_b64 exec, exec, s[12:13]
	v_mov_b32_e32 v113, 0
	ds_read_b32 v113, v113 offset:60
	s_waitcnt lgkmcnt(0)
	v_mul_f32_e32 v112, v112, v113
	buffer_store_dword v112, off, s[0:3], 0 offset:60
.LBB117_376:
	s_or_b64 exec, exec, s[8:9]
	buffer_load_dword v112, off, s[0:3], 0 offset:56
	v_cmp_lt_u32_e64 s[4:5], 14, v0
	s_waitcnt vmcnt(0)
	ds_write_b32 v110, v112
	s_waitcnt lgkmcnt(0)
	; wave barrier
	s_and_saveexec_b64 s[8:9], s[4:5]
	s_cbranch_execz .LBB117_386
; %bb.377:
	s_andn2_b64 vcc, exec, s[10:11]
	s_cbranch_vccnz .LBB117_379
; %bb.378:
	buffer_load_dword v112, v111, s[0:3], 0 offen
	ds_read_b32 v113, v110
	s_waitcnt vmcnt(0) lgkmcnt(0)
	v_mul_f32_e32 v112, v112, v113
	s_cbranch_execz .LBB117_380
	s_branch .LBB117_381
.LBB117_379:
                                        ; implicit-def: $vgpr112
.LBB117_380:
	ds_read_b32 v112, v110
.LBB117_381:
	s_and_saveexec_b64 s[12:13], s[6:7]
	s_cbranch_execz .LBB117_385
; %bb.382:
	v_add_u32_e32 v113, -15, v0
	s_movk_i32 s29, 0x11c
	s_mov_b64 s[6:7], 0
.LBB117_383:                            ; =>This Inner Loop Header: Depth=1
	v_mov_b32_e32 v114, s28
	buffer_load_dword v114, v114, s[0:3], 0 offen
	v_mov_b32_e32 v115, s29
	ds_read_b32 v115, v115
	v_add_u32_e32 v113, -1, v113
	s_add_i32 s29, s29, 4
	s_add_i32 s28, s28, 4
	v_cmp_eq_u32_e32 vcc, 0, v113
	s_or_b64 s[6:7], vcc, s[6:7]
	s_waitcnt vmcnt(0) lgkmcnt(0)
	v_fmac_f32_e32 v112, v114, v115
	s_andn2_b64 exec, exec, s[6:7]
	s_cbranch_execnz .LBB117_383
; %bb.384:
	s_or_b64 exec, exec, s[6:7]
.LBB117_385:
	s_or_b64 exec, exec, s[12:13]
	v_mov_b32_e32 v113, 0
	ds_read_b32 v113, v113 offset:56
	s_waitcnt lgkmcnt(0)
	v_mul_f32_e32 v112, v112, v113
	buffer_store_dword v112, off, s[0:3], 0 offset:56
.LBB117_386:
	;; [unrolled: 54-line block ×15, first 2 shown]
	s_or_b64 exec, exec, s[8:9]
	buffer_load_dword v112, off, s[0:3], 0
	v_cmp_ne_u32_e32 vcc, 0, v0
	s_waitcnt vmcnt(0)
	ds_write_b32 v110, v112
	s_waitcnt lgkmcnt(0)
	; wave barrier
	s_and_saveexec_b64 s[4:5], vcc
	s_cbranch_execz .LBB117_526
; %bb.517:
	s_andn2_b64 vcc, exec, s[10:11]
	s_cbranch_vccnz .LBB117_519
; %bb.518:
	buffer_load_dword v112, v111, s[0:3], 0 offen
	ds_read_b32 v113, v110
	s_waitcnt vmcnt(0) lgkmcnt(0)
	v_mul_f32_e32 v112, v112, v113
	s_cbranch_execz .LBB117_520
	s_branch .LBB117_521
.LBB117_519:
                                        ; implicit-def: $vgpr112
.LBB117_520:
	ds_read_b32 v112, v110
.LBB117_521:
	s_and_saveexec_b64 s[8:9], s[6:7]
	s_cbranch_execz .LBB117_525
; %bb.522:
	v_add_u32_e32 v113, -1, v0
	s_movk_i32 s12, 0xe4
	s_mov_b64 s[6:7], 0
.LBB117_523:                            ; =>This Inner Loop Header: Depth=1
	v_mov_b32_e32 v114, s14
	buffer_load_dword v114, v114, s[0:3], 0 offen
	v_mov_b32_e32 v115, s12
	ds_read_b32 v115, v115
	v_add_u32_e32 v113, -1, v113
	s_add_i32 s12, s12, 4
	s_add_i32 s14, s14, 4
	v_cmp_eq_u32_e32 vcc, 0, v113
	s_or_b64 s[6:7], vcc, s[6:7]
	s_waitcnt vmcnt(0) lgkmcnt(0)
	v_fmac_f32_e32 v112, v114, v115
	s_andn2_b64 exec, exec, s[6:7]
	s_cbranch_execnz .LBB117_523
; %bb.524:
	s_or_b64 exec, exec, s[6:7]
.LBB117_525:
	s_or_b64 exec, exec, s[8:9]
	v_mov_b32_e32 v113, 0
	ds_read_b32 v113, v113
	s_waitcnt lgkmcnt(0)
	v_mul_f32_e32 v112, v112, v113
	buffer_store_dword v112, off, s[0:3], 0
.LBB117_526:
	s_or_b64 exec, exec, s[4:5]
	s_mov_b64 s[4:5], 0
.LBB117_527:
	s_and_b64 vcc, exec, s[4:5]
	s_cbranch_vccz .LBB117_1049
; %bb.528:
	buffer_load_dword v112, off, s[0:3], 0 offset:4
	v_cmp_eq_u32_e64 s[6:7], 0, v0
	s_waitcnt vmcnt(0)
	ds_write_b32 v110, v112
	s_waitcnt lgkmcnt(0)
	; wave barrier
	s_and_saveexec_b64 s[4:5], s[6:7]
	s_cbranch_execz .LBB117_534
; %bb.529:
	s_and_b64 vcc, exec, s[10:11]
	s_cbranch_vccz .LBB117_531
; %bb.530:
	buffer_load_dword v112, v111, s[0:3], 0 offen
	ds_read_b32 v113, v110
	s_waitcnt vmcnt(0) lgkmcnt(0)
	v_mul_f32_e32 v112, v112, v113
	s_cbranch_execz .LBB117_532
	s_branch .LBB117_533
.LBB117_531:
                                        ; implicit-def: $vgpr112
.LBB117_532:
	ds_read_b32 v112, v110
.LBB117_533:
	v_mov_b32_e32 v113, 0
	ds_read_b32 v113, v113 offset:4
	s_waitcnt lgkmcnt(0)
	v_mul_f32_e32 v112, v112, v113
	buffer_store_dword v112, off, s[0:3], 0 offset:4
.LBB117_534:
	s_or_b64 exec, exec, s[4:5]
	buffer_load_dword v112, off, s[0:3], 0 offset:8
	v_cndmask_b32_e64 v113, 0, 1, s[10:11]
	v_cmp_gt_u32_e32 vcc, 2, v0
	v_cmp_ne_u32_e64 s[4:5], 1, v113
	s_waitcnt vmcnt(0)
	ds_write_b32 v110, v112
	s_waitcnt lgkmcnt(0)
	; wave barrier
	s_and_saveexec_b64 s[8:9], vcc
	s_cbranch_execz .LBB117_540
; %bb.535:
	s_and_b64 vcc, exec, s[4:5]
	s_cbranch_vccnz .LBB117_537
; %bb.536:
	buffer_load_dword v112, v111, s[0:3], 0 offen
	ds_read_b32 v113, v110
	s_waitcnt vmcnt(0) lgkmcnt(0)
	v_mul_f32_e32 v112, v112, v113
	s_cbranch_execz .LBB117_538
	s_branch .LBB117_539
.LBB117_537:
                                        ; implicit-def: $vgpr112
.LBB117_538:
	ds_read_b32 v112, v110
.LBB117_539:
	buffer_load_dword v115, off, s[0:3], 0 offset:4
	v_mov_b32_e32 v113, 0
	ds_read2_b32 v[113:114], v113 offset0:2 offset1:57
	s_waitcnt vmcnt(0) lgkmcnt(0)
	v_fma_f32 v114, v115, v114, v112
	v_cndmask_b32_e64 v112, v112, v114, s[6:7]
	v_mul_f32_e32 v112, v112, v113
	buffer_store_dword v112, off, s[0:3], 0 offset:8
.LBB117_540:
	s_or_b64 exec, exec, s[8:9]
	buffer_load_dword v112, off, s[0:3], 0 offset:12
	v_cmp_gt_u32_e32 vcc, 3, v0
	s_waitcnt vmcnt(0)
	ds_write_b32 v110, v112
	s_waitcnt lgkmcnt(0)
	; wave barrier
	s_and_saveexec_b64 s[8:9], vcc
	s_cbranch_execz .LBB117_548
; %bb.541:
	s_and_b64 vcc, exec, s[4:5]
	s_cbranch_vccnz .LBB117_543
; %bb.542:
	buffer_load_dword v112, v111, s[0:3], 0 offen
	ds_read_b32 v113, v110
	s_waitcnt vmcnt(0) lgkmcnt(0)
	v_mul_f32_e32 v112, v112, v113
	s_cbranch_execz .LBB117_544
	s_branch .LBB117_545
.LBB117_543:
                                        ; implicit-def: $vgpr112
.LBB117_544:
	ds_read_b32 v112, v110
.LBB117_545:
	v_cmp_ne_u32_e32 vcc, 2, v0
	s_and_saveexec_b64 s[10:11], vcc
	s_cbranch_execz .LBB117_547
; %bb.546:
	buffer_load_dword v113, v111, s[0:3], 0 offen offset:4
	buffer_load_dword v114, off, s[0:3], 0 offset:8
	v_mov_b32_e32 v115, 0
	ds_read_b32 v116, v110 offset:4
	ds_read_b32 v115, v115 offset:232
	s_waitcnt vmcnt(1) lgkmcnt(1)
	v_fmac_f32_e32 v112, v113, v116
	s_waitcnt vmcnt(0) lgkmcnt(0)
	v_fma_f32 v113, v114, v115, v112
	v_cndmask_b32_e64 v112, v112, v113, s[6:7]
.LBB117_547:
	s_or_b64 exec, exec, s[10:11]
	v_mov_b32_e32 v113, 0
	ds_read_b32 v113, v113 offset:12
	s_waitcnt lgkmcnt(0)
	v_mul_f32_e32 v112, v112, v113
	buffer_store_dword v112, off, s[0:3], 0 offset:12
.LBB117_548:
	s_or_b64 exec, exec, s[8:9]
	buffer_load_dword v112, off, s[0:3], 0 offset:16
	v_cmp_gt_u32_e32 vcc, 4, v0
	s_waitcnt vmcnt(0)
	ds_write_b32 v110, v112
	s_waitcnt lgkmcnt(0)
	; wave barrier
	s_and_saveexec_b64 s[6:7], vcc
	s_cbranch_execz .LBB117_558
; %bb.549:
	s_and_b64 vcc, exec, s[4:5]
	s_cbranch_vccnz .LBB117_551
; %bb.550:
	buffer_load_dword v112, v111, s[0:3], 0 offen
	ds_read_b32 v113, v110
	s_waitcnt vmcnt(0) lgkmcnt(0)
	v_mul_f32_e32 v112, v112, v113
	s_cbranch_execz .LBB117_552
	s_branch .LBB117_553
.LBB117_551:
                                        ; implicit-def: $vgpr112
.LBB117_552:
	ds_read_b32 v112, v110
.LBB117_553:
	v_cmp_ne_u32_e32 vcc, 3, v0
	s_and_saveexec_b64 s[8:9], vcc
	s_cbranch_execz .LBB117_557
; %bb.554:
	s_mov_b32 s10, 0
	v_add_u32_e32 v113, 0xe4, v109
	v_add3_u32 v114, v109, s10, 4
	s_mov_b64 s[10:11], 0
	v_mov_b32_e32 v115, v0
.LBB117_555:                            ; =>This Inner Loop Header: Depth=1
	buffer_load_dword v116, v114, s[0:3], 0 offen
	ds_read_b32 v117, v113
	v_add_u32_e32 v115, 1, v115
	v_cmp_lt_u32_e32 vcc, 2, v115
	v_add_u32_e32 v113, 4, v113
	v_add_u32_e32 v114, 4, v114
	s_or_b64 s[10:11], vcc, s[10:11]
	s_waitcnt vmcnt(0) lgkmcnt(0)
	v_fmac_f32_e32 v112, v116, v117
	s_andn2_b64 exec, exec, s[10:11]
	s_cbranch_execnz .LBB117_555
; %bb.556:
	s_or_b64 exec, exec, s[10:11]
.LBB117_557:
	s_or_b64 exec, exec, s[8:9]
	v_mov_b32_e32 v113, 0
	ds_read_b32 v113, v113 offset:16
	s_waitcnt lgkmcnt(0)
	v_mul_f32_e32 v112, v112, v113
	buffer_store_dword v112, off, s[0:3], 0 offset:16
.LBB117_558:
	s_or_b64 exec, exec, s[6:7]
	buffer_load_dword v112, off, s[0:3], 0 offset:20
	v_cmp_gt_u32_e32 vcc, 5, v0
	s_waitcnt vmcnt(0)
	ds_write_b32 v110, v112
	s_waitcnt lgkmcnt(0)
	; wave barrier
	s_and_saveexec_b64 s[6:7], vcc
	s_cbranch_execz .LBB117_568
; %bb.559:
	s_and_b64 vcc, exec, s[4:5]
	s_cbranch_vccnz .LBB117_561
; %bb.560:
	buffer_load_dword v112, v111, s[0:3], 0 offen
	ds_read_b32 v113, v110
	s_waitcnt vmcnt(0) lgkmcnt(0)
	v_mul_f32_e32 v112, v112, v113
	s_cbranch_execz .LBB117_562
	s_branch .LBB117_563
.LBB117_561:
                                        ; implicit-def: $vgpr112
.LBB117_562:
	ds_read_b32 v112, v110
.LBB117_563:
	v_cmp_ne_u32_e32 vcc, 4, v0
	s_and_saveexec_b64 s[8:9], vcc
	s_cbranch_execz .LBB117_567
; %bb.564:
	s_mov_b32 s10, 0
	v_add_u32_e32 v113, 0xe4, v109
	v_add3_u32 v114, v109, s10, 4
	s_mov_b64 s[10:11], 0
	v_mov_b32_e32 v115, v0
.LBB117_565:                            ; =>This Inner Loop Header: Depth=1
	buffer_load_dword v116, v114, s[0:3], 0 offen
	ds_read_b32 v117, v113
	v_add_u32_e32 v115, 1, v115
	v_cmp_lt_u32_e32 vcc, 3, v115
	v_add_u32_e32 v113, 4, v113
	v_add_u32_e32 v114, 4, v114
	s_or_b64 s[10:11], vcc, s[10:11]
	s_waitcnt vmcnt(0) lgkmcnt(0)
	v_fmac_f32_e32 v112, v116, v117
	s_andn2_b64 exec, exec, s[10:11]
	s_cbranch_execnz .LBB117_565
; %bb.566:
	s_or_b64 exec, exec, s[10:11]
.LBB117_567:
	s_or_b64 exec, exec, s[8:9]
	v_mov_b32_e32 v113, 0
	ds_read_b32 v113, v113 offset:20
	s_waitcnt lgkmcnt(0)
	v_mul_f32_e32 v112, v112, v113
	buffer_store_dword v112, off, s[0:3], 0 offset:20
.LBB117_568:
	;; [unrolled: 55-line block ×45, first 2 shown]
	s_or_b64 exec, exec, s[6:7]
	buffer_load_dword v112, off, s[0:3], 0 offset:196
	v_cmp_gt_u32_e32 vcc, 49, v0
	s_waitcnt vmcnt(0)
	ds_write_b32 v110, v112
	s_waitcnt lgkmcnt(0)
	; wave barrier
	s_and_saveexec_b64 s[6:7], vcc
	s_cbranch_execz .LBB117_1008
; %bb.999:
	s_and_b64 vcc, exec, s[4:5]
	s_cbranch_vccnz .LBB117_1001
; %bb.1000:
	buffer_load_dword v112, v111, s[0:3], 0 offen
	ds_read_b32 v113, v110
	s_waitcnt vmcnt(0) lgkmcnt(0)
	v_mul_f32_e32 v112, v112, v113
	s_cbranch_execz .LBB117_1002
	s_branch .LBB117_1003
.LBB117_1001:
                                        ; implicit-def: $vgpr112
.LBB117_1002:
	ds_read_b32 v112, v110
.LBB117_1003:
	v_cmp_ne_u32_e32 vcc, 48, v0
	s_and_saveexec_b64 s[8:9], vcc
	s_cbranch_execz .LBB117_1007
; %bb.1004:
	s_mov_b32 s10, 0
	v_add_u32_e32 v113, 0xe4, v109
	v_add3_u32 v114, v109, s10, 4
	s_mov_b64 s[10:11], 0
	v_mov_b32_e32 v115, v0
.LBB117_1005:                           ; =>This Inner Loop Header: Depth=1
	buffer_load_dword v116, v114, s[0:3], 0 offen
	ds_read_b32 v117, v113
	v_add_u32_e32 v115, 1, v115
	v_cmp_lt_u32_e32 vcc, 47, v115
	v_add_u32_e32 v113, 4, v113
	v_add_u32_e32 v114, 4, v114
	s_or_b64 s[10:11], vcc, s[10:11]
	s_waitcnt vmcnt(0) lgkmcnt(0)
	v_fmac_f32_e32 v112, v116, v117
	s_andn2_b64 exec, exec, s[10:11]
	s_cbranch_execnz .LBB117_1005
; %bb.1006:
	s_or_b64 exec, exec, s[10:11]
.LBB117_1007:
	s_or_b64 exec, exec, s[8:9]
	v_mov_b32_e32 v113, 0
	ds_read_b32 v113, v113 offset:196
	s_waitcnt lgkmcnt(0)
	v_mul_f32_e32 v112, v112, v113
	buffer_store_dword v112, off, s[0:3], 0 offset:196
.LBB117_1008:
	s_or_b64 exec, exec, s[6:7]
	buffer_load_dword v112, off, s[0:3], 0 offset:200
	v_cmp_gt_u32_e32 vcc, 50, v0
	s_waitcnt vmcnt(0)
	ds_write_b32 v110, v112
	s_waitcnt lgkmcnt(0)
	; wave barrier
	s_and_saveexec_b64 s[6:7], vcc
	s_cbranch_execz .LBB117_1018
; %bb.1009:
	s_and_b64 vcc, exec, s[4:5]
	s_cbranch_vccnz .LBB117_1011
; %bb.1010:
	buffer_load_dword v112, v111, s[0:3], 0 offen
	ds_read_b32 v113, v110
	s_waitcnt vmcnt(0) lgkmcnt(0)
	v_mul_f32_e32 v112, v112, v113
	s_cbranch_execz .LBB117_1012
	s_branch .LBB117_1013
.LBB117_1011:
                                        ; implicit-def: $vgpr112
.LBB117_1012:
	ds_read_b32 v112, v110
.LBB117_1013:
	v_cmp_ne_u32_e32 vcc, 49, v0
	s_and_saveexec_b64 s[8:9], vcc
	s_cbranch_execz .LBB117_1017
; %bb.1014:
	s_mov_b32 s10, 0
	v_add_u32_e32 v113, 0xe4, v109
	v_add3_u32 v114, v109, s10, 4
	s_mov_b64 s[10:11], 0
	v_mov_b32_e32 v115, v0
.LBB117_1015:                           ; =>This Inner Loop Header: Depth=1
	buffer_load_dword v116, v114, s[0:3], 0 offen
	ds_read_b32 v117, v113
	v_add_u32_e32 v115, 1, v115
	v_cmp_lt_u32_e32 vcc, 48, v115
	v_add_u32_e32 v113, 4, v113
	v_add_u32_e32 v114, 4, v114
	s_or_b64 s[10:11], vcc, s[10:11]
	s_waitcnt vmcnt(0) lgkmcnt(0)
	v_fmac_f32_e32 v112, v116, v117
	s_andn2_b64 exec, exec, s[10:11]
	s_cbranch_execnz .LBB117_1015
; %bb.1016:
	s_or_b64 exec, exec, s[10:11]
.LBB117_1017:
	s_or_b64 exec, exec, s[8:9]
	v_mov_b32_e32 v113, 0
	ds_read_b32 v113, v113 offset:200
	s_waitcnt lgkmcnt(0)
	v_mul_f32_e32 v112, v112, v113
	buffer_store_dword v112, off, s[0:3], 0 offset:200
.LBB117_1018:
	;; [unrolled: 55-line block ×3, first 2 shown]
	s_or_b64 exec, exec, s[6:7]
	buffer_load_dword v112, off, s[0:3], 0 offset:208
	v_cmp_gt_u32_e64 s[6:7], 52, v0
	s_waitcnt vmcnt(0)
	ds_write_b32 v110, v112
	s_waitcnt lgkmcnt(0)
	; wave barrier
	s_and_saveexec_b64 s[8:9], s[6:7]
	s_cbranch_execz .LBB117_1038
; %bb.1029:
	s_and_b64 vcc, exec, s[4:5]
	s_cbranch_vccnz .LBB117_1031
; %bb.1030:
	buffer_load_dword v112, v111, s[0:3], 0 offen
	ds_read_b32 v113, v110
	s_waitcnt vmcnt(0) lgkmcnt(0)
	v_mul_f32_e32 v112, v112, v113
	s_cbranch_execz .LBB117_1032
	s_branch .LBB117_1033
.LBB117_1031:
                                        ; implicit-def: $vgpr112
.LBB117_1032:
	ds_read_b32 v112, v110
.LBB117_1033:
	v_cmp_ne_u32_e32 vcc, 51, v0
	s_and_saveexec_b64 s[10:11], vcc
	s_cbranch_execz .LBB117_1037
; %bb.1034:
	s_mov_b32 s12, 0
	v_add_u32_e32 v113, 0xe4, v109
	v_add3_u32 v114, v109, s12, 4
	s_mov_b64 s[12:13], 0
	v_mov_b32_e32 v115, v0
.LBB117_1035:                           ; =>This Inner Loop Header: Depth=1
	buffer_load_dword v116, v114, s[0:3], 0 offen
	ds_read_b32 v117, v113
	v_add_u32_e32 v115, 1, v115
	v_cmp_lt_u32_e32 vcc, 50, v115
	v_add_u32_e32 v113, 4, v113
	v_add_u32_e32 v114, 4, v114
	s_or_b64 s[12:13], vcc, s[12:13]
	s_waitcnt vmcnt(0) lgkmcnt(0)
	v_fmac_f32_e32 v112, v116, v117
	s_andn2_b64 exec, exec, s[12:13]
	s_cbranch_execnz .LBB117_1035
; %bb.1036:
	s_or_b64 exec, exec, s[12:13]
.LBB117_1037:
	s_or_b64 exec, exec, s[10:11]
	v_mov_b32_e32 v113, 0
	ds_read_b32 v113, v113 offset:208
	s_waitcnt lgkmcnt(0)
	v_mul_f32_e32 v112, v112, v113
	buffer_store_dword v112, off, s[0:3], 0 offset:208
.LBB117_1038:
	s_or_b64 exec, exec, s[8:9]
	buffer_load_dword v112, off, s[0:3], 0 offset:212
	v_cmp_ne_u32_e32 vcc, 53, v0
	s_waitcnt vmcnt(0)
	ds_write_b32 v110, v112
	s_waitcnt lgkmcnt(0)
	; wave barrier
	s_and_saveexec_b64 s[8:9], vcc
	s_cbranch_execz .LBB117_1048
; %bb.1039:
	s_and_b64 vcc, exec, s[4:5]
	s_cbranch_vccnz .LBB117_1041
; %bb.1040:
	buffer_load_dword v111, v111, s[0:3], 0 offen
	ds_read_b32 v112, v110
	s_waitcnt vmcnt(0) lgkmcnt(0)
	v_mul_f32_e32 v111, v111, v112
	s_cbranch_execz .LBB117_1042
	s_branch .LBB117_1043
.LBB117_1041:
                                        ; implicit-def: $vgpr111
.LBB117_1042:
	ds_read_b32 v111, v110
.LBB117_1043:
	s_and_saveexec_b64 s[4:5], s[6:7]
	s_cbranch_execz .LBB117_1047
; %bb.1044:
	s_mov_b32 s6, 0
	v_add_u32_e32 v110, 0xe4, v109
	v_add3_u32 v109, v109, s6, 4
	s_mov_b64 s[6:7], 0
.LBB117_1045:                           ; =>This Inner Loop Header: Depth=1
	buffer_load_dword v112, v109, s[0:3], 0 offen
	ds_read_b32 v113, v110
	v_add_u32_e32 v0, 1, v0
	v_cmp_lt_u32_e32 vcc, 51, v0
	v_add_u32_e32 v110, 4, v110
	v_add_u32_e32 v109, 4, v109
	s_or_b64 s[6:7], vcc, s[6:7]
	s_waitcnt vmcnt(0) lgkmcnt(0)
	v_fmac_f32_e32 v111, v112, v113
	s_andn2_b64 exec, exec, s[6:7]
	s_cbranch_execnz .LBB117_1045
; %bb.1046:
	s_or_b64 exec, exec, s[6:7]
.LBB117_1047:
	s_or_b64 exec, exec, s[4:5]
	v_mov_b32_e32 v0, 0
	ds_read_b32 v0, v0 offset:212
	s_waitcnt lgkmcnt(0)
	v_mul_f32_e32 v0, v111, v0
	buffer_store_dword v0, off, s[0:3], 0 offset:212
.LBB117_1048:
	s_or_b64 exec, exec, s[8:9]
.LBB117_1049:
	buffer_load_dword v0, off, s[0:3], 0
	s_waitcnt vmcnt(0)
	flat_store_dword v[1:2], v0
	buffer_load_dword v0, off, s[0:3], 0 offset:4
	s_waitcnt vmcnt(0)
	flat_store_dword v[3:4], v0
	buffer_load_dword v0, off, s[0:3], 0 offset:8
	;; [unrolled: 3-line block ×53, first 2 shown]
	s_waitcnt vmcnt(0)
	flat_store_dword v[107:108], v0
.LBB117_1050:
	s_endpgm
	.section	.rodata,"a",@progbits
	.p2align	6, 0x0
	.amdhsa_kernel _ZN9rocsolver6v33100L18trti2_kernel_smallILi54EfPKPfEEv13rocblas_fill_17rocblas_diagonal_T1_iil
		.amdhsa_group_segment_fixed_size 440
		.amdhsa_private_segment_fixed_size 224
		.amdhsa_kernarg_size 32
		.amdhsa_user_sgpr_count 6
		.amdhsa_user_sgpr_private_segment_buffer 1
		.amdhsa_user_sgpr_dispatch_ptr 0
		.amdhsa_user_sgpr_queue_ptr 0
		.amdhsa_user_sgpr_kernarg_segment_ptr 1
		.amdhsa_user_sgpr_dispatch_id 0
		.amdhsa_user_sgpr_flat_scratch_init 0
		.amdhsa_user_sgpr_private_segment_size 0
		.amdhsa_uses_dynamic_stack 0
		.amdhsa_system_sgpr_private_segment_wavefront_offset 1
		.amdhsa_system_sgpr_workgroup_id_x 1
		.amdhsa_system_sgpr_workgroup_id_y 0
		.amdhsa_system_sgpr_workgroup_id_z 0
		.amdhsa_system_sgpr_workgroup_info 0
		.amdhsa_system_vgpr_workitem_id 0
		.amdhsa_next_free_vgpr 118
		.amdhsa_next_free_sgpr 67
		.amdhsa_reserve_vcc 1
		.amdhsa_reserve_flat_scratch 0
		.amdhsa_float_round_mode_32 0
		.amdhsa_float_round_mode_16_64 0
		.amdhsa_float_denorm_mode_32 3
		.amdhsa_float_denorm_mode_16_64 3
		.amdhsa_dx10_clamp 1
		.amdhsa_ieee_mode 1
		.amdhsa_fp16_overflow 0
		.amdhsa_exception_fp_ieee_invalid_op 0
		.amdhsa_exception_fp_denorm_src 0
		.amdhsa_exception_fp_ieee_div_zero 0
		.amdhsa_exception_fp_ieee_overflow 0
		.amdhsa_exception_fp_ieee_underflow 0
		.amdhsa_exception_fp_ieee_inexact 0
		.amdhsa_exception_int_div_zero 0
	.end_amdhsa_kernel
	.section	.text._ZN9rocsolver6v33100L18trti2_kernel_smallILi54EfPKPfEEv13rocblas_fill_17rocblas_diagonal_T1_iil,"axG",@progbits,_ZN9rocsolver6v33100L18trti2_kernel_smallILi54EfPKPfEEv13rocblas_fill_17rocblas_diagonal_T1_iil,comdat
.Lfunc_end117:
	.size	_ZN9rocsolver6v33100L18trti2_kernel_smallILi54EfPKPfEEv13rocblas_fill_17rocblas_diagonal_T1_iil, .Lfunc_end117-_ZN9rocsolver6v33100L18trti2_kernel_smallILi54EfPKPfEEv13rocblas_fill_17rocblas_diagonal_T1_iil
                                        ; -- End function
	.set _ZN9rocsolver6v33100L18trti2_kernel_smallILi54EfPKPfEEv13rocblas_fill_17rocblas_diagonal_T1_iil.num_vgpr, 118
	.set _ZN9rocsolver6v33100L18trti2_kernel_smallILi54EfPKPfEEv13rocblas_fill_17rocblas_diagonal_T1_iil.num_agpr, 0
	.set _ZN9rocsolver6v33100L18trti2_kernel_smallILi54EfPKPfEEv13rocblas_fill_17rocblas_diagonal_T1_iil.numbered_sgpr, 67
	.set _ZN9rocsolver6v33100L18trti2_kernel_smallILi54EfPKPfEEv13rocblas_fill_17rocblas_diagonal_T1_iil.num_named_barrier, 0
	.set _ZN9rocsolver6v33100L18trti2_kernel_smallILi54EfPKPfEEv13rocblas_fill_17rocblas_diagonal_T1_iil.private_seg_size, 224
	.set _ZN9rocsolver6v33100L18trti2_kernel_smallILi54EfPKPfEEv13rocblas_fill_17rocblas_diagonal_T1_iil.uses_vcc, 1
	.set _ZN9rocsolver6v33100L18trti2_kernel_smallILi54EfPKPfEEv13rocblas_fill_17rocblas_diagonal_T1_iil.uses_flat_scratch, 0
	.set _ZN9rocsolver6v33100L18trti2_kernel_smallILi54EfPKPfEEv13rocblas_fill_17rocblas_diagonal_T1_iil.has_dyn_sized_stack, 0
	.set _ZN9rocsolver6v33100L18trti2_kernel_smallILi54EfPKPfEEv13rocblas_fill_17rocblas_diagonal_T1_iil.has_recursion, 0
	.set _ZN9rocsolver6v33100L18trti2_kernel_smallILi54EfPKPfEEv13rocblas_fill_17rocblas_diagonal_T1_iil.has_indirect_call, 0
	.section	.AMDGPU.csdata,"",@progbits
; Kernel info:
; codeLenInByte = 26272
; TotalNumSgprs: 71
; NumVgprs: 118
; ScratchSize: 224
; MemoryBound: 0
; FloatMode: 240
; IeeeMode: 1
; LDSByteSize: 440 bytes/workgroup (compile time only)
; SGPRBlocks: 8
; VGPRBlocks: 29
; NumSGPRsForWavesPerEU: 71
; NumVGPRsForWavesPerEU: 118
; Occupancy: 2
; WaveLimiterHint : 1
; COMPUTE_PGM_RSRC2:SCRATCH_EN: 1
; COMPUTE_PGM_RSRC2:USER_SGPR: 6
; COMPUTE_PGM_RSRC2:TRAP_HANDLER: 0
; COMPUTE_PGM_RSRC2:TGID_X_EN: 1
; COMPUTE_PGM_RSRC2:TGID_Y_EN: 0
; COMPUTE_PGM_RSRC2:TGID_Z_EN: 0
; COMPUTE_PGM_RSRC2:TIDIG_COMP_CNT: 0
	.section	.text._ZN9rocsolver6v33100L18trti2_kernel_smallILi55EfPKPfEEv13rocblas_fill_17rocblas_diagonal_T1_iil,"axG",@progbits,_ZN9rocsolver6v33100L18trti2_kernel_smallILi55EfPKPfEEv13rocblas_fill_17rocblas_diagonal_T1_iil,comdat
	.globl	_ZN9rocsolver6v33100L18trti2_kernel_smallILi55EfPKPfEEv13rocblas_fill_17rocblas_diagonal_T1_iil ; -- Begin function _ZN9rocsolver6v33100L18trti2_kernel_smallILi55EfPKPfEEv13rocblas_fill_17rocblas_diagonal_T1_iil
	.p2align	8
	.type	_ZN9rocsolver6v33100L18trti2_kernel_smallILi55EfPKPfEEv13rocblas_fill_17rocblas_diagonal_T1_iil,@function
_ZN9rocsolver6v33100L18trti2_kernel_smallILi55EfPKPfEEv13rocblas_fill_17rocblas_diagonal_T1_iil: ; @_ZN9rocsolver6v33100L18trti2_kernel_smallILi55EfPKPfEEv13rocblas_fill_17rocblas_diagonal_T1_iil
; %bb.0:
	s_add_u32 s0, s0, s7
	s_addc_u32 s1, s1, 0
	v_cmp_gt_u32_e32 vcc, 55, v0
	s_and_saveexec_b64 s[8:9], vcc
	s_cbranch_execz .LBB118_1070
; %bb.1:
	s_load_dwordx2 s[12:13], s[4:5], 0x10
	s_load_dwordx4 s[8:11], s[4:5], 0x0
	s_ashr_i32 s7, s6, 31
	s_lshl_b64 s[6:7], s[6:7], 3
	v_lshlrev_b32_e32 v111, 2, v0
	s_waitcnt lgkmcnt(0)
	s_ashr_i32 s5, s12, 31
	s_add_u32 s6, s10, s6
	s_addc_u32 s7, s11, s7
	s_load_dwordx2 s[6:7], s[6:7], 0x0
	s_mov_b32 s4, s12
	s_lshl_b64 s[4:5], s[4:5], 2
	s_movk_i32 s12, 0x84
	s_waitcnt lgkmcnt(0)
	s_add_u32 s4, s6, s4
	s_addc_u32 s5, s7, s5
	v_mov_b32_e32 v2, s5
	v_add_co_u32_e32 v1, vcc, s4, v111
	v_addc_co_u32_e32 v2, vcc, 0, v2, vcc
	flat_load_dword v5, v[1:2]
	s_mov_b32 s6, s13
	s_ashr_i32 s7, s13, 31
	s_lshl_b64 s[6:7], s[6:7], 2
	v_mov_b32_e32 v4, s7
	v_add_co_u32_e32 v3, vcc, s6, v1
	v_addc_co_u32_e32 v4, vcc, v2, v4, vcc
	s_add_i32 s6, s13, s13
	v_add_u32_e32 v7, s6, v0
	v_ashrrev_i32_e32 v8, 31, v7
	v_mov_b32_e32 v10, s5
	v_mov_b32_e32 v12, s5
	;; [unrolled: 1-line block ×52, first 2 shown]
	s_cmpk_lg_i32 s9, 0x84
	s_cselect_b64 s[10:11], -1, 0
	s_cmpk_eq_i32 s9, 0x84
	s_waitcnt vmcnt(0) lgkmcnt(0)
	buffer_store_dword v5, off, s[0:3], 0
	flat_load_dword v9, v[3:4]
	v_lshlrev_b64 v[5:6], 2, v[7:8]
	v_add_co_u32_e32 v5, vcc, s4, v5
	v_addc_co_u32_e32 v6, vcc, v10, v6, vcc
	s_waitcnt vmcnt(0) lgkmcnt(0)
	buffer_store_dword v9, off, s[0:3], 0 offset:4
	flat_load_dword v11, v[5:6]
	v_add_u32_e32 v9, s13, v7
	v_ashrrev_i32_e32 v10, 31, v9
	v_lshlrev_b64 v[7:8], 2, v[9:10]
	v_add_co_u32_e32 v7, vcc, s4, v7
	v_addc_co_u32_e32 v8, vcc, v12, v8, vcc
	s_waitcnt vmcnt(0) lgkmcnt(0)
	buffer_store_dword v11, off, s[0:3], 0 offset:8
	flat_load_dword v13, v[7:8]
	v_add_u32_e32 v11, s13, v9
	v_ashrrev_i32_e32 v12, 31, v11
	;; [unrolled: 8-line block ×51, first 2 shown]
	v_lshlrev_b64 v[107:108], 2, v[109:110]
	v_add_u32_e32 v109, s13, v109
	v_add_co_u32_e32 v107, vcc, s4, v107
	v_addc_co_u32_e32 v108, vcc, v113, v108, vcc
	v_ashrrev_i32_e32 v110, 31, v109
	v_lshlrev_b64 v[109:110], 2, v[109:110]
	v_add_co_u32_e32 v109, vcc, s4, v109
	v_addc_co_u32_e32 v110, vcc, v113, v110, vcc
	s_waitcnt vmcnt(0) lgkmcnt(0)
	buffer_store_dword v112, off, s[0:3], 0 offset:208
	flat_load_dword v112, v[107:108]
	s_waitcnt vmcnt(0) lgkmcnt(0)
	buffer_store_dword v112, off, s[0:3], 0 offset:212
	flat_load_dword v112, v[109:110]
	s_waitcnt vmcnt(0) lgkmcnt(0)
	buffer_store_dword v112, off, s[0:3], 0 offset:216
	v_mov_b32_e32 v112, -1.0
	s_cbranch_scc1 .LBB118_3
; %bb.2:
	v_mov_b32_e32 v112, 0
	v_lshl_add_u32 v112, v0, 2, v112
	buffer_load_dword v113, v112, s[0:3], 0 offen
	s_waitcnt vmcnt(0)
	v_div_scale_f32 v114, s[4:5], v113, v113, 1.0
	v_div_scale_f32 v115, vcc, 1.0, v113, 1.0
	v_rcp_f32_e32 v116, v114
	v_fma_f32 v117, -v114, v116, 1.0
	v_fmac_f32_e32 v116, v117, v116
	v_mul_f32_e32 v117, v115, v116
	v_fma_f32 v118, -v114, v117, v115
	v_fmac_f32_e32 v117, v118, v116
	v_fma_f32 v114, -v114, v117, v115
	v_div_fmas_f32 v114, v114, v116, v117
	v_div_fixup_f32 v113, v114, v113, 1.0
	buffer_store_dword v113, v112, s[0:3], 0 offen
	v_xor_b32_e32 v112, 0x80000000, v113
.LBB118_3:
	ds_write_b32 v111, v112
	s_cmpk_eq_i32 s8, 0x79
	v_add_u32_e32 v112, 0xe0, v111
	v_mov_b32_e32 v113, v111
	s_mov_b64 s[4:5], -1
	s_cbranch_scc1 .LBB118_537
; %bb.4:
	buffer_load_dword v114, off, s[0:3], 0 offset:212
	s_movk_i32 s30, 0x44
	s_movk_i32 s31, 0x48
	;; [unrolled: 1-line block ×35, first 2 shown]
	v_cmp_eq_u32_e64 s[4:5], 54, v0
	s_waitcnt vmcnt(0)
	ds_write_b32 v112, v114
	s_waitcnt lgkmcnt(0)
	; wave barrier
	s_and_saveexec_b64 s[6:7], s[4:5]
	s_cbranch_execz .LBB118_10
; %bb.5:
	s_and_b64 vcc, exec, s[10:11]
	s_cbranch_vccz .LBB118_7
; %bb.6:
	buffer_load_dword v114, v113, s[0:3], 0 offen
	ds_read_b32 v115, v112
	s_waitcnt vmcnt(0) lgkmcnt(0)
	v_mul_f32_e32 v114, v114, v115
	s_cbranch_execz .LBB118_8
	s_branch .LBB118_9
.LBB118_7:
                                        ; implicit-def: $vgpr114
.LBB118_8:
	ds_read_b32 v114, v112
.LBB118_9:
	v_mov_b32_e32 v115, 0
	ds_read_b32 v115, v115 offset:212
	s_waitcnt lgkmcnt(0)
	v_mul_f32_e32 v114, v114, v115
	buffer_store_dword v114, off, s[0:3], 0 offset:212
.LBB118_10:
	s_or_b64 exec, exec, s[6:7]
	buffer_load_dword v114, off, s[0:3], 0 offset:208
	s_or_b32 s14, 0, 4
	s_or_b32 s15, 0, 8
	;; [unrolled: 1-line block ×3, first 2 shown]
	s_mov_b32 s17, 16
	s_mov_b32 s18, 20
	;; [unrolled: 1-line block ×15, first 2 shown]
	v_cmp_lt_u32_e64 s[6:7], 52, v0
	s_waitcnt vmcnt(0)
	ds_write_b32 v112, v114
	s_waitcnt lgkmcnt(0)
	; wave barrier
	s_and_saveexec_b64 s[8:9], s[6:7]
	s_cbranch_execz .LBB118_16
; %bb.11:
	s_andn2_b64 vcc, exec, s[10:11]
	s_cbranch_vccnz .LBB118_13
; %bb.12:
	buffer_load_dword v114, v113, s[0:3], 0 offen
	ds_read_b32 v115, v112
	s_waitcnt vmcnt(0) lgkmcnt(0)
	v_mul_f32_e32 v114, v114, v115
	s_cbranch_execz .LBB118_14
	s_branch .LBB118_15
.LBB118_13:
                                        ; implicit-def: $vgpr114
.LBB118_14:
	ds_read_b32 v114, v112
.LBB118_15:
	buffer_load_dword v117, off, s[0:3], 0 offset:212
	v_mov_b32_e32 v115, 0
	ds_read2_b32 v[115:116], v115 offset0:52 offset1:109
	s_waitcnt vmcnt(0) lgkmcnt(0)
	v_fma_f32 v116, v117, v116, v114
	v_cndmask_b32_e64 v114, v114, v116, s[4:5]
	v_mul_f32_e32 v114, v114, v115
	buffer_store_dword v114, off, s[0:3], 0 offset:208
.LBB118_16:
	s_or_b64 exec, exec, s[8:9]
	buffer_load_dword v114, off, s[0:3], 0 offset:204
	v_cmp_lt_u32_e64 s[4:5], 51, v0
	s_waitcnt vmcnt(0)
	ds_write_b32 v112, v114
	s_waitcnt lgkmcnt(0)
	; wave barrier
	s_and_saveexec_b64 s[8:9], s[4:5]
	s_cbranch_execz .LBB118_26
; %bb.17:
	s_andn2_b64 vcc, exec, s[10:11]
	s_cbranch_vccnz .LBB118_19
; %bb.18:
	buffer_load_dword v114, v113, s[0:3], 0 offen
	ds_read_b32 v115, v112
	s_waitcnt vmcnt(0) lgkmcnt(0)
	v_mul_f32_e32 v114, v114, v115
	s_cbranch_execz .LBB118_20
	s_branch .LBB118_21
.LBB118_19:
                                        ; implicit-def: $vgpr114
.LBB118_20:
	ds_read_b32 v114, v112
.LBB118_21:
	s_and_saveexec_b64 s[12:13], s[6:7]
	s_cbranch_execz .LBB118_25
; %bb.22:
	v_subrev_u32_e32 v115, 52, v0
	s_movk_i32 s67, 0x1b0
	s_mov_b64 s[6:7], 0
.LBB118_23:                             ; =>This Inner Loop Header: Depth=1
	v_mov_b32_e32 v116, s66
	buffer_load_dword v116, v116, s[0:3], 0 offen
	v_mov_b32_e32 v117, s67
	ds_read_b32 v117, v117
	v_add_u32_e32 v115, -1, v115
	s_add_i32 s67, s67, 4
	s_add_i32 s66, s66, 4
	v_cmp_eq_u32_e32 vcc, 0, v115
	s_or_b64 s[6:7], vcc, s[6:7]
	s_waitcnt vmcnt(0) lgkmcnt(0)
	v_fmac_f32_e32 v114, v116, v117
	s_andn2_b64 exec, exec, s[6:7]
	s_cbranch_execnz .LBB118_23
; %bb.24:
	s_or_b64 exec, exec, s[6:7]
.LBB118_25:
	s_or_b64 exec, exec, s[12:13]
	v_mov_b32_e32 v115, 0
	ds_read_b32 v115, v115 offset:204
	s_waitcnt lgkmcnt(0)
	v_mul_f32_e32 v114, v114, v115
	buffer_store_dword v114, off, s[0:3], 0 offset:204
.LBB118_26:
	s_or_b64 exec, exec, s[8:9]
	buffer_load_dword v114, off, s[0:3], 0 offset:200
	v_cmp_lt_u32_e64 s[6:7], 50, v0
	s_waitcnt vmcnt(0)
	ds_write_b32 v112, v114
	s_waitcnt lgkmcnt(0)
	; wave barrier
	s_and_saveexec_b64 s[8:9], s[6:7]
	s_cbranch_execz .LBB118_36
; %bb.27:
	s_andn2_b64 vcc, exec, s[10:11]
	s_cbranch_vccnz .LBB118_29
; %bb.28:
	buffer_load_dword v114, v113, s[0:3], 0 offen
	ds_read_b32 v115, v112
	s_waitcnt vmcnt(0) lgkmcnt(0)
	v_mul_f32_e32 v114, v114, v115
	s_cbranch_execz .LBB118_30
	s_branch .LBB118_31
.LBB118_29:
                                        ; implicit-def: $vgpr114
.LBB118_30:
	ds_read_b32 v114, v112
.LBB118_31:
	s_and_saveexec_b64 s[12:13], s[4:5]
	s_cbranch_execz .LBB118_35
; %bb.32:
	v_subrev_u32_e32 v115, 51, v0
	s_movk_i32 s66, 0x1ac
	s_mov_b64 s[4:5], 0
.LBB118_33:                             ; =>This Inner Loop Header: Depth=1
	v_mov_b32_e32 v116, s65
	buffer_load_dword v116, v116, s[0:3], 0 offen
	v_mov_b32_e32 v117, s66
	ds_read_b32 v117, v117
	v_add_u32_e32 v115, -1, v115
	s_add_i32 s66, s66, 4
	s_add_i32 s65, s65, 4
	v_cmp_eq_u32_e32 vcc, 0, v115
	s_or_b64 s[4:5], vcc, s[4:5]
	s_waitcnt vmcnt(0) lgkmcnt(0)
	v_fmac_f32_e32 v114, v116, v117
	s_andn2_b64 exec, exec, s[4:5]
	s_cbranch_execnz .LBB118_33
; %bb.34:
	s_or_b64 exec, exec, s[4:5]
.LBB118_35:
	s_or_b64 exec, exec, s[12:13]
	v_mov_b32_e32 v115, 0
	ds_read_b32 v115, v115 offset:200
	s_waitcnt lgkmcnt(0)
	v_mul_f32_e32 v114, v114, v115
	buffer_store_dword v114, off, s[0:3], 0 offset:200
.LBB118_36:
	;; [unrolled: 54-line block ×8, first 2 shown]
	s_or_b64 exec, exec, s[8:9]
	buffer_load_dword v114, off, s[0:3], 0 offset:172
	v_cmp_lt_u32_e64 s[4:5], 43, v0
	s_waitcnt vmcnt(0)
	ds_write_b32 v112, v114
	s_waitcnt lgkmcnt(0)
	; wave barrier
	s_and_saveexec_b64 s[8:9], s[4:5]
	s_cbranch_execz .LBB118_106
; %bb.97:
	s_andn2_b64 vcc, exec, s[10:11]
	s_cbranch_vccnz .LBB118_99
; %bb.98:
	buffer_load_dword v114, v113, s[0:3], 0 offen
	ds_read_b32 v115, v112
	s_waitcnt vmcnt(0) lgkmcnt(0)
	v_mul_f32_e32 v114, v114, v115
	s_cbranch_execz .LBB118_100
	s_branch .LBB118_101
.LBB118_99:
                                        ; implicit-def: $vgpr114
.LBB118_100:
	ds_read_b32 v114, v112
.LBB118_101:
	s_and_saveexec_b64 s[12:13], s[6:7]
	s_cbranch_execz .LBB118_105
; %bb.102:
	v_subrev_u32_e32 v115, 44, v0
	s_movk_i32 s59, 0x190
	s_mov_b64 s[6:7], 0
.LBB118_103:                            ; =>This Inner Loop Header: Depth=1
	v_mov_b32_e32 v116, s58
	buffer_load_dword v116, v116, s[0:3], 0 offen
	v_mov_b32_e32 v117, s59
	ds_read_b32 v117, v117
	v_add_u32_e32 v115, -1, v115
	s_add_i32 s59, s59, 4
	s_add_i32 s58, s58, 4
	v_cmp_eq_u32_e32 vcc, 0, v115
	s_or_b64 s[6:7], vcc, s[6:7]
	s_waitcnt vmcnt(0) lgkmcnt(0)
	v_fmac_f32_e32 v114, v116, v117
	s_andn2_b64 exec, exec, s[6:7]
	s_cbranch_execnz .LBB118_103
; %bb.104:
	s_or_b64 exec, exec, s[6:7]
.LBB118_105:
	s_or_b64 exec, exec, s[12:13]
	v_mov_b32_e32 v115, 0
	ds_read_b32 v115, v115 offset:172
	s_waitcnt lgkmcnt(0)
	v_mul_f32_e32 v114, v114, v115
	buffer_store_dword v114, off, s[0:3], 0 offset:172
.LBB118_106:
	s_or_b64 exec, exec, s[8:9]
	buffer_load_dword v114, off, s[0:3], 0 offset:168
	v_cmp_lt_u32_e64 s[6:7], 42, v0
	s_waitcnt vmcnt(0)
	ds_write_b32 v112, v114
	s_waitcnt lgkmcnt(0)
	; wave barrier
	s_and_saveexec_b64 s[8:9], s[6:7]
	s_cbranch_execz .LBB118_116
; %bb.107:
	s_andn2_b64 vcc, exec, s[10:11]
	s_cbranch_vccnz .LBB118_109
; %bb.108:
	buffer_load_dword v114, v113, s[0:3], 0 offen
	ds_read_b32 v115, v112
	s_waitcnt vmcnt(0) lgkmcnt(0)
	v_mul_f32_e32 v114, v114, v115
	s_cbranch_execz .LBB118_110
	s_branch .LBB118_111
.LBB118_109:
                                        ; implicit-def: $vgpr114
.LBB118_110:
	ds_read_b32 v114, v112
.LBB118_111:
	s_and_saveexec_b64 s[12:13], s[4:5]
	s_cbranch_execz .LBB118_115
; %bb.112:
	v_subrev_u32_e32 v115, 43, v0
	s_movk_i32 s58, 0x18c
	s_mov_b64 s[4:5], 0
.LBB118_113:                            ; =>This Inner Loop Header: Depth=1
	v_mov_b32_e32 v116, s57
	buffer_load_dword v116, v116, s[0:3], 0 offen
	v_mov_b32_e32 v117, s58
	ds_read_b32 v117, v117
	v_add_u32_e32 v115, -1, v115
	s_add_i32 s58, s58, 4
	s_add_i32 s57, s57, 4
	v_cmp_eq_u32_e32 vcc, 0, v115
	s_or_b64 s[4:5], vcc, s[4:5]
	s_waitcnt vmcnt(0) lgkmcnt(0)
	v_fmac_f32_e32 v114, v116, v117
	s_andn2_b64 exec, exec, s[4:5]
	s_cbranch_execnz .LBB118_113
; %bb.114:
	s_or_b64 exec, exec, s[4:5]
.LBB118_115:
	s_or_b64 exec, exec, s[12:13]
	v_mov_b32_e32 v115, 0
	ds_read_b32 v115, v115 offset:168
	s_waitcnt lgkmcnt(0)
	v_mul_f32_e32 v114, v114, v115
	buffer_store_dword v114, off, s[0:3], 0 offset:168
.LBB118_116:
	s_or_b64 exec, exec, s[8:9]
	buffer_load_dword v114, off, s[0:3], 0 offset:164
	v_cmp_lt_u32_e64 s[4:5], 41, v0
	s_waitcnt vmcnt(0)
	ds_write_b32 v112, v114
	s_waitcnt lgkmcnt(0)
	; wave barrier
	s_and_saveexec_b64 s[8:9], s[4:5]
	s_cbranch_execz .LBB118_126
; %bb.117:
	s_andn2_b64 vcc, exec, s[10:11]
	s_cbranch_vccnz .LBB118_119
; %bb.118:
	buffer_load_dword v114, v113, s[0:3], 0 offen
	ds_read_b32 v115, v112
	s_waitcnt vmcnt(0) lgkmcnt(0)
	v_mul_f32_e32 v114, v114, v115
	s_cbranch_execz .LBB118_120
	s_branch .LBB118_121
.LBB118_119:
                                        ; implicit-def: $vgpr114
.LBB118_120:
	ds_read_b32 v114, v112
.LBB118_121:
	s_and_saveexec_b64 s[12:13], s[6:7]
	s_cbranch_execz .LBB118_125
; %bb.122:
	v_subrev_u32_e32 v115, 42, v0
	s_movk_i32 s57, 0x188
	s_mov_b64 s[6:7], 0
.LBB118_123:                            ; =>This Inner Loop Header: Depth=1
	v_mov_b32_e32 v116, s56
	buffer_load_dword v116, v116, s[0:3], 0 offen
	v_mov_b32_e32 v117, s57
	ds_read_b32 v117, v117
	v_add_u32_e32 v115, -1, v115
	s_add_i32 s57, s57, 4
	s_add_i32 s56, s56, 4
	v_cmp_eq_u32_e32 vcc, 0, v115
	s_or_b64 s[6:7], vcc, s[6:7]
	s_waitcnt vmcnt(0) lgkmcnt(0)
	v_fmac_f32_e32 v114, v116, v117
	s_andn2_b64 exec, exec, s[6:7]
	s_cbranch_execnz .LBB118_123
; %bb.124:
	s_or_b64 exec, exec, s[6:7]
.LBB118_125:
	s_or_b64 exec, exec, s[12:13]
	v_mov_b32_e32 v115, 0
	ds_read_b32 v115, v115 offset:164
	s_waitcnt lgkmcnt(0)
	v_mul_f32_e32 v114, v114, v115
	buffer_store_dword v114, off, s[0:3], 0 offset:164
.LBB118_126:
	s_or_b64 exec, exec, s[8:9]
	buffer_load_dword v114, off, s[0:3], 0 offset:160
	v_cmp_lt_u32_e64 s[6:7], 40, v0
	s_waitcnt vmcnt(0)
	ds_write_b32 v112, v114
	s_waitcnt lgkmcnt(0)
	; wave barrier
	s_and_saveexec_b64 s[8:9], s[6:7]
	s_cbranch_execz .LBB118_136
; %bb.127:
	s_andn2_b64 vcc, exec, s[10:11]
	s_cbranch_vccnz .LBB118_129
; %bb.128:
	buffer_load_dword v114, v113, s[0:3], 0 offen
	ds_read_b32 v115, v112
	s_waitcnt vmcnt(0) lgkmcnt(0)
	v_mul_f32_e32 v114, v114, v115
	s_cbranch_execz .LBB118_130
	s_branch .LBB118_131
.LBB118_129:
                                        ; implicit-def: $vgpr114
.LBB118_130:
	ds_read_b32 v114, v112
.LBB118_131:
	s_and_saveexec_b64 s[12:13], s[4:5]
	s_cbranch_execz .LBB118_135
; %bb.132:
	v_subrev_u32_e32 v115, 41, v0
	s_movk_i32 s56, 0x184
	s_mov_b64 s[4:5], 0
.LBB118_133:                            ; =>This Inner Loop Header: Depth=1
	v_mov_b32_e32 v116, s55
	buffer_load_dword v116, v116, s[0:3], 0 offen
	v_mov_b32_e32 v117, s56
	ds_read_b32 v117, v117
	v_add_u32_e32 v115, -1, v115
	s_add_i32 s56, s56, 4
	s_add_i32 s55, s55, 4
	v_cmp_eq_u32_e32 vcc, 0, v115
	s_or_b64 s[4:5], vcc, s[4:5]
	s_waitcnt vmcnt(0) lgkmcnt(0)
	v_fmac_f32_e32 v114, v116, v117
	s_andn2_b64 exec, exec, s[4:5]
	s_cbranch_execnz .LBB118_133
; %bb.134:
	s_or_b64 exec, exec, s[4:5]
.LBB118_135:
	s_or_b64 exec, exec, s[12:13]
	v_mov_b32_e32 v115, 0
	ds_read_b32 v115, v115 offset:160
	s_waitcnt lgkmcnt(0)
	v_mul_f32_e32 v114, v114, v115
	buffer_store_dword v114, off, s[0:3], 0 offset:160
.LBB118_136:
	s_or_b64 exec, exec, s[8:9]
	buffer_load_dword v114, off, s[0:3], 0 offset:156
	v_cmp_lt_u32_e64 s[4:5], 39, v0
	s_waitcnt vmcnt(0)
	ds_write_b32 v112, v114
	s_waitcnt lgkmcnt(0)
	; wave barrier
	s_and_saveexec_b64 s[8:9], s[4:5]
	s_cbranch_execz .LBB118_146
; %bb.137:
	s_andn2_b64 vcc, exec, s[10:11]
	s_cbranch_vccnz .LBB118_139
; %bb.138:
	buffer_load_dword v114, v113, s[0:3], 0 offen
	ds_read_b32 v115, v112
	s_waitcnt vmcnt(0) lgkmcnt(0)
	v_mul_f32_e32 v114, v114, v115
	s_cbranch_execz .LBB118_140
	s_branch .LBB118_141
.LBB118_139:
                                        ; implicit-def: $vgpr114
.LBB118_140:
	ds_read_b32 v114, v112
.LBB118_141:
	s_and_saveexec_b64 s[12:13], s[6:7]
	s_cbranch_execz .LBB118_145
; %bb.142:
	v_subrev_u32_e32 v115, 40, v0
	s_movk_i32 s55, 0x180
	s_mov_b64 s[6:7], 0
.LBB118_143:                            ; =>This Inner Loop Header: Depth=1
	v_mov_b32_e32 v116, s54
	buffer_load_dword v116, v116, s[0:3], 0 offen
	v_mov_b32_e32 v117, s55
	ds_read_b32 v117, v117
	v_add_u32_e32 v115, -1, v115
	s_add_i32 s55, s55, 4
	s_add_i32 s54, s54, 4
	v_cmp_eq_u32_e32 vcc, 0, v115
	s_or_b64 s[6:7], vcc, s[6:7]
	s_waitcnt vmcnt(0) lgkmcnt(0)
	v_fmac_f32_e32 v114, v116, v117
	s_andn2_b64 exec, exec, s[6:7]
	s_cbranch_execnz .LBB118_143
; %bb.144:
	s_or_b64 exec, exec, s[6:7]
.LBB118_145:
	s_or_b64 exec, exec, s[12:13]
	v_mov_b32_e32 v115, 0
	ds_read_b32 v115, v115 offset:156
	s_waitcnt lgkmcnt(0)
	v_mul_f32_e32 v114, v114, v115
	buffer_store_dword v114, off, s[0:3], 0 offset:156
.LBB118_146:
	s_or_b64 exec, exec, s[8:9]
	buffer_load_dword v114, off, s[0:3], 0 offset:152
	v_cmp_lt_u32_e64 s[6:7], 38, v0
	s_waitcnt vmcnt(0)
	ds_write_b32 v112, v114
	s_waitcnt lgkmcnt(0)
	; wave barrier
	s_and_saveexec_b64 s[8:9], s[6:7]
	s_cbranch_execz .LBB118_156
; %bb.147:
	s_andn2_b64 vcc, exec, s[10:11]
	s_cbranch_vccnz .LBB118_149
; %bb.148:
	buffer_load_dword v114, v113, s[0:3], 0 offen
	ds_read_b32 v115, v112
	s_waitcnt vmcnt(0) lgkmcnt(0)
	v_mul_f32_e32 v114, v114, v115
	s_cbranch_execz .LBB118_150
	s_branch .LBB118_151
.LBB118_149:
                                        ; implicit-def: $vgpr114
.LBB118_150:
	ds_read_b32 v114, v112
.LBB118_151:
	s_and_saveexec_b64 s[12:13], s[4:5]
	s_cbranch_execz .LBB118_155
; %bb.152:
	v_subrev_u32_e32 v115, 39, v0
	s_movk_i32 s54, 0x17c
	s_mov_b64 s[4:5], 0
.LBB118_153:                            ; =>This Inner Loop Header: Depth=1
	v_mov_b32_e32 v116, s53
	buffer_load_dword v116, v116, s[0:3], 0 offen
	v_mov_b32_e32 v117, s54
	ds_read_b32 v117, v117
	v_add_u32_e32 v115, -1, v115
	s_add_i32 s54, s54, 4
	s_add_i32 s53, s53, 4
	v_cmp_eq_u32_e32 vcc, 0, v115
	s_or_b64 s[4:5], vcc, s[4:5]
	s_waitcnt vmcnt(0) lgkmcnt(0)
	v_fmac_f32_e32 v114, v116, v117
	s_andn2_b64 exec, exec, s[4:5]
	s_cbranch_execnz .LBB118_153
; %bb.154:
	s_or_b64 exec, exec, s[4:5]
.LBB118_155:
	s_or_b64 exec, exec, s[12:13]
	v_mov_b32_e32 v115, 0
	ds_read_b32 v115, v115 offset:152
	s_waitcnt lgkmcnt(0)
	v_mul_f32_e32 v114, v114, v115
	buffer_store_dword v114, off, s[0:3], 0 offset:152
.LBB118_156:
	s_or_b64 exec, exec, s[8:9]
	buffer_load_dword v114, off, s[0:3], 0 offset:148
	v_cmp_lt_u32_e64 s[4:5], 37, v0
	s_waitcnt vmcnt(0)
	ds_write_b32 v112, v114
	s_waitcnt lgkmcnt(0)
	; wave barrier
	s_and_saveexec_b64 s[8:9], s[4:5]
	s_cbranch_execz .LBB118_166
; %bb.157:
	s_andn2_b64 vcc, exec, s[10:11]
	s_cbranch_vccnz .LBB118_159
; %bb.158:
	buffer_load_dword v114, v113, s[0:3], 0 offen
	ds_read_b32 v115, v112
	s_waitcnt vmcnt(0) lgkmcnt(0)
	v_mul_f32_e32 v114, v114, v115
	s_cbranch_execz .LBB118_160
	s_branch .LBB118_161
.LBB118_159:
                                        ; implicit-def: $vgpr114
.LBB118_160:
	ds_read_b32 v114, v112
.LBB118_161:
	s_and_saveexec_b64 s[12:13], s[6:7]
	s_cbranch_execz .LBB118_165
; %bb.162:
	v_subrev_u32_e32 v115, 38, v0
	s_movk_i32 s53, 0x178
	s_mov_b64 s[6:7], 0
.LBB118_163:                            ; =>This Inner Loop Header: Depth=1
	v_mov_b32_e32 v116, s52
	buffer_load_dword v116, v116, s[0:3], 0 offen
	v_mov_b32_e32 v117, s53
	ds_read_b32 v117, v117
	v_add_u32_e32 v115, -1, v115
	s_add_i32 s53, s53, 4
	s_add_i32 s52, s52, 4
	v_cmp_eq_u32_e32 vcc, 0, v115
	s_or_b64 s[6:7], vcc, s[6:7]
	s_waitcnt vmcnt(0) lgkmcnt(0)
	v_fmac_f32_e32 v114, v116, v117
	s_andn2_b64 exec, exec, s[6:7]
	s_cbranch_execnz .LBB118_163
; %bb.164:
	s_or_b64 exec, exec, s[6:7]
.LBB118_165:
	s_or_b64 exec, exec, s[12:13]
	v_mov_b32_e32 v115, 0
	ds_read_b32 v115, v115 offset:148
	s_waitcnt lgkmcnt(0)
	v_mul_f32_e32 v114, v114, v115
	buffer_store_dword v114, off, s[0:3], 0 offset:148
.LBB118_166:
	s_or_b64 exec, exec, s[8:9]
	buffer_load_dword v114, off, s[0:3], 0 offset:144
	v_cmp_lt_u32_e64 s[6:7], 36, v0
	s_waitcnt vmcnt(0)
	ds_write_b32 v112, v114
	s_waitcnt lgkmcnt(0)
	; wave barrier
	s_and_saveexec_b64 s[8:9], s[6:7]
	s_cbranch_execz .LBB118_176
; %bb.167:
	s_andn2_b64 vcc, exec, s[10:11]
	s_cbranch_vccnz .LBB118_169
; %bb.168:
	buffer_load_dword v114, v113, s[0:3], 0 offen
	ds_read_b32 v115, v112
	s_waitcnt vmcnt(0) lgkmcnt(0)
	v_mul_f32_e32 v114, v114, v115
	s_cbranch_execz .LBB118_170
	s_branch .LBB118_171
.LBB118_169:
                                        ; implicit-def: $vgpr114
.LBB118_170:
	ds_read_b32 v114, v112
.LBB118_171:
	s_and_saveexec_b64 s[12:13], s[4:5]
	s_cbranch_execz .LBB118_175
; %bb.172:
	v_subrev_u32_e32 v115, 37, v0
	s_movk_i32 s52, 0x174
	s_mov_b64 s[4:5], 0
.LBB118_173:                            ; =>This Inner Loop Header: Depth=1
	v_mov_b32_e32 v116, s51
	buffer_load_dword v116, v116, s[0:3], 0 offen
	v_mov_b32_e32 v117, s52
	ds_read_b32 v117, v117
	v_add_u32_e32 v115, -1, v115
	s_add_i32 s52, s52, 4
	s_add_i32 s51, s51, 4
	v_cmp_eq_u32_e32 vcc, 0, v115
	s_or_b64 s[4:5], vcc, s[4:5]
	s_waitcnt vmcnt(0) lgkmcnt(0)
	v_fmac_f32_e32 v114, v116, v117
	s_andn2_b64 exec, exec, s[4:5]
	s_cbranch_execnz .LBB118_173
; %bb.174:
	s_or_b64 exec, exec, s[4:5]
.LBB118_175:
	s_or_b64 exec, exec, s[12:13]
	v_mov_b32_e32 v115, 0
	ds_read_b32 v115, v115 offset:144
	s_waitcnt lgkmcnt(0)
	v_mul_f32_e32 v114, v114, v115
	buffer_store_dword v114, off, s[0:3], 0 offset:144
.LBB118_176:
	s_or_b64 exec, exec, s[8:9]
	buffer_load_dword v114, off, s[0:3], 0 offset:140
	v_cmp_lt_u32_e64 s[4:5], 35, v0
	s_waitcnt vmcnt(0)
	ds_write_b32 v112, v114
	s_waitcnt lgkmcnt(0)
	; wave barrier
	s_and_saveexec_b64 s[8:9], s[4:5]
	s_cbranch_execz .LBB118_186
; %bb.177:
	s_andn2_b64 vcc, exec, s[10:11]
	s_cbranch_vccnz .LBB118_179
; %bb.178:
	buffer_load_dword v114, v113, s[0:3], 0 offen
	ds_read_b32 v115, v112
	s_waitcnt vmcnt(0) lgkmcnt(0)
	v_mul_f32_e32 v114, v114, v115
	s_cbranch_execz .LBB118_180
	s_branch .LBB118_181
.LBB118_179:
                                        ; implicit-def: $vgpr114
.LBB118_180:
	ds_read_b32 v114, v112
.LBB118_181:
	s_and_saveexec_b64 s[12:13], s[6:7]
	s_cbranch_execz .LBB118_185
; %bb.182:
	v_subrev_u32_e32 v115, 36, v0
	s_movk_i32 s51, 0x170
	s_mov_b64 s[6:7], 0
.LBB118_183:                            ; =>This Inner Loop Header: Depth=1
	v_mov_b32_e32 v116, s50
	buffer_load_dword v116, v116, s[0:3], 0 offen
	v_mov_b32_e32 v117, s51
	ds_read_b32 v117, v117
	v_add_u32_e32 v115, -1, v115
	s_add_i32 s51, s51, 4
	s_add_i32 s50, s50, 4
	v_cmp_eq_u32_e32 vcc, 0, v115
	s_or_b64 s[6:7], vcc, s[6:7]
	s_waitcnt vmcnt(0) lgkmcnt(0)
	v_fmac_f32_e32 v114, v116, v117
	s_andn2_b64 exec, exec, s[6:7]
	s_cbranch_execnz .LBB118_183
; %bb.184:
	s_or_b64 exec, exec, s[6:7]
.LBB118_185:
	s_or_b64 exec, exec, s[12:13]
	v_mov_b32_e32 v115, 0
	ds_read_b32 v115, v115 offset:140
	s_waitcnt lgkmcnt(0)
	v_mul_f32_e32 v114, v114, v115
	buffer_store_dword v114, off, s[0:3], 0 offset:140
.LBB118_186:
	s_or_b64 exec, exec, s[8:9]
	buffer_load_dword v114, off, s[0:3], 0 offset:136
	v_cmp_lt_u32_e64 s[6:7], 34, v0
	s_waitcnt vmcnt(0)
	ds_write_b32 v112, v114
	s_waitcnt lgkmcnt(0)
	; wave barrier
	s_and_saveexec_b64 s[8:9], s[6:7]
	s_cbranch_execz .LBB118_196
; %bb.187:
	s_andn2_b64 vcc, exec, s[10:11]
	s_cbranch_vccnz .LBB118_189
; %bb.188:
	buffer_load_dword v114, v113, s[0:3], 0 offen
	ds_read_b32 v115, v112
	s_waitcnt vmcnt(0) lgkmcnt(0)
	v_mul_f32_e32 v114, v114, v115
	s_cbranch_execz .LBB118_190
	s_branch .LBB118_191
.LBB118_189:
                                        ; implicit-def: $vgpr114
.LBB118_190:
	ds_read_b32 v114, v112
.LBB118_191:
	s_and_saveexec_b64 s[12:13], s[4:5]
	s_cbranch_execz .LBB118_195
; %bb.192:
	v_subrev_u32_e32 v115, 35, v0
	s_movk_i32 s50, 0x16c
	s_mov_b64 s[4:5], 0
.LBB118_193:                            ; =>This Inner Loop Header: Depth=1
	v_mov_b32_e32 v116, s49
	buffer_load_dword v116, v116, s[0:3], 0 offen
	v_mov_b32_e32 v117, s50
	ds_read_b32 v117, v117
	v_add_u32_e32 v115, -1, v115
	s_add_i32 s50, s50, 4
	s_add_i32 s49, s49, 4
	v_cmp_eq_u32_e32 vcc, 0, v115
	s_or_b64 s[4:5], vcc, s[4:5]
	s_waitcnt vmcnt(0) lgkmcnt(0)
	v_fmac_f32_e32 v114, v116, v117
	s_andn2_b64 exec, exec, s[4:5]
	s_cbranch_execnz .LBB118_193
; %bb.194:
	s_or_b64 exec, exec, s[4:5]
.LBB118_195:
	s_or_b64 exec, exec, s[12:13]
	v_mov_b32_e32 v115, 0
	ds_read_b32 v115, v115 offset:136
	s_waitcnt lgkmcnt(0)
	v_mul_f32_e32 v114, v114, v115
	buffer_store_dword v114, off, s[0:3], 0 offset:136
.LBB118_196:
	s_or_b64 exec, exec, s[8:9]
	buffer_load_dword v114, off, s[0:3], 0 offset:132
	v_cmp_lt_u32_e64 s[4:5], 33, v0
	s_waitcnt vmcnt(0)
	ds_write_b32 v112, v114
	s_waitcnt lgkmcnt(0)
	; wave barrier
	s_and_saveexec_b64 s[8:9], s[4:5]
	s_cbranch_execz .LBB118_206
; %bb.197:
	s_andn2_b64 vcc, exec, s[10:11]
	s_cbranch_vccnz .LBB118_199
; %bb.198:
	buffer_load_dword v114, v113, s[0:3], 0 offen
	ds_read_b32 v115, v112
	s_waitcnt vmcnt(0) lgkmcnt(0)
	v_mul_f32_e32 v114, v114, v115
	s_cbranch_execz .LBB118_200
	s_branch .LBB118_201
.LBB118_199:
                                        ; implicit-def: $vgpr114
.LBB118_200:
	ds_read_b32 v114, v112
.LBB118_201:
	s_and_saveexec_b64 s[12:13], s[6:7]
	s_cbranch_execz .LBB118_205
; %bb.202:
	v_subrev_u32_e32 v115, 34, v0
	s_movk_i32 s49, 0x168
	s_mov_b64 s[6:7], 0
.LBB118_203:                            ; =>This Inner Loop Header: Depth=1
	v_mov_b32_e32 v116, s48
	buffer_load_dword v116, v116, s[0:3], 0 offen
	v_mov_b32_e32 v117, s49
	ds_read_b32 v117, v117
	v_add_u32_e32 v115, -1, v115
	s_add_i32 s49, s49, 4
	s_add_i32 s48, s48, 4
	v_cmp_eq_u32_e32 vcc, 0, v115
	s_or_b64 s[6:7], vcc, s[6:7]
	s_waitcnt vmcnt(0) lgkmcnt(0)
	v_fmac_f32_e32 v114, v116, v117
	s_andn2_b64 exec, exec, s[6:7]
	s_cbranch_execnz .LBB118_203
; %bb.204:
	s_or_b64 exec, exec, s[6:7]
.LBB118_205:
	s_or_b64 exec, exec, s[12:13]
	v_mov_b32_e32 v115, 0
	ds_read_b32 v115, v115 offset:132
	s_waitcnt lgkmcnt(0)
	v_mul_f32_e32 v114, v114, v115
	buffer_store_dword v114, off, s[0:3], 0 offset:132
.LBB118_206:
	s_or_b64 exec, exec, s[8:9]
	buffer_load_dword v114, off, s[0:3], 0 offset:128
	v_cmp_lt_u32_e64 s[6:7], 32, v0
	s_waitcnt vmcnt(0)
	ds_write_b32 v112, v114
	s_waitcnt lgkmcnt(0)
	; wave barrier
	s_and_saveexec_b64 s[8:9], s[6:7]
	s_cbranch_execz .LBB118_216
; %bb.207:
	s_andn2_b64 vcc, exec, s[10:11]
	s_cbranch_vccnz .LBB118_209
; %bb.208:
	buffer_load_dword v114, v113, s[0:3], 0 offen
	ds_read_b32 v115, v112
	s_waitcnt vmcnt(0) lgkmcnt(0)
	v_mul_f32_e32 v114, v114, v115
	s_cbranch_execz .LBB118_210
	s_branch .LBB118_211
.LBB118_209:
                                        ; implicit-def: $vgpr114
.LBB118_210:
	ds_read_b32 v114, v112
.LBB118_211:
	s_and_saveexec_b64 s[12:13], s[4:5]
	s_cbranch_execz .LBB118_215
; %bb.212:
	v_subrev_u32_e32 v115, 33, v0
	s_movk_i32 s48, 0x164
	s_mov_b64 s[4:5], 0
.LBB118_213:                            ; =>This Inner Loop Header: Depth=1
	v_mov_b32_e32 v116, s47
	buffer_load_dword v116, v116, s[0:3], 0 offen
	v_mov_b32_e32 v117, s48
	ds_read_b32 v117, v117
	v_add_u32_e32 v115, -1, v115
	s_add_i32 s48, s48, 4
	s_add_i32 s47, s47, 4
	v_cmp_eq_u32_e32 vcc, 0, v115
	s_or_b64 s[4:5], vcc, s[4:5]
	s_waitcnt vmcnt(0) lgkmcnt(0)
	v_fmac_f32_e32 v114, v116, v117
	s_andn2_b64 exec, exec, s[4:5]
	s_cbranch_execnz .LBB118_213
; %bb.214:
	s_or_b64 exec, exec, s[4:5]
.LBB118_215:
	s_or_b64 exec, exec, s[12:13]
	v_mov_b32_e32 v115, 0
	ds_read_b32 v115, v115 offset:128
	s_waitcnt lgkmcnt(0)
	v_mul_f32_e32 v114, v114, v115
	buffer_store_dword v114, off, s[0:3], 0 offset:128
.LBB118_216:
	s_or_b64 exec, exec, s[8:9]
	buffer_load_dword v114, off, s[0:3], 0 offset:124
	v_cmp_lt_u32_e64 s[4:5], 31, v0
	s_waitcnt vmcnt(0)
	ds_write_b32 v112, v114
	s_waitcnt lgkmcnt(0)
	; wave barrier
	s_and_saveexec_b64 s[8:9], s[4:5]
	s_cbranch_execz .LBB118_226
; %bb.217:
	s_andn2_b64 vcc, exec, s[10:11]
	s_cbranch_vccnz .LBB118_219
; %bb.218:
	buffer_load_dword v114, v113, s[0:3], 0 offen
	ds_read_b32 v115, v112
	s_waitcnt vmcnt(0) lgkmcnt(0)
	v_mul_f32_e32 v114, v114, v115
	s_cbranch_execz .LBB118_220
	s_branch .LBB118_221
.LBB118_219:
                                        ; implicit-def: $vgpr114
.LBB118_220:
	ds_read_b32 v114, v112
.LBB118_221:
	s_and_saveexec_b64 s[12:13], s[6:7]
	s_cbranch_execz .LBB118_225
; %bb.222:
	v_subrev_u32_e32 v115, 32, v0
	s_movk_i32 s47, 0x160
	s_mov_b64 s[6:7], 0
.LBB118_223:                            ; =>This Inner Loop Header: Depth=1
	v_mov_b32_e32 v116, s46
	buffer_load_dword v116, v116, s[0:3], 0 offen
	v_mov_b32_e32 v117, s47
	ds_read_b32 v117, v117
	v_add_u32_e32 v115, -1, v115
	s_add_i32 s47, s47, 4
	s_add_i32 s46, s46, 4
	v_cmp_eq_u32_e32 vcc, 0, v115
	s_or_b64 s[6:7], vcc, s[6:7]
	s_waitcnt vmcnt(0) lgkmcnt(0)
	v_fmac_f32_e32 v114, v116, v117
	s_andn2_b64 exec, exec, s[6:7]
	s_cbranch_execnz .LBB118_223
; %bb.224:
	s_or_b64 exec, exec, s[6:7]
.LBB118_225:
	s_or_b64 exec, exec, s[12:13]
	v_mov_b32_e32 v115, 0
	ds_read_b32 v115, v115 offset:124
	s_waitcnt lgkmcnt(0)
	v_mul_f32_e32 v114, v114, v115
	buffer_store_dword v114, off, s[0:3], 0 offset:124
.LBB118_226:
	s_or_b64 exec, exec, s[8:9]
	buffer_load_dword v114, off, s[0:3], 0 offset:120
	v_cmp_lt_u32_e64 s[6:7], 30, v0
	s_waitcnt vmcnt(0)
	ds_write_b32 v112, v114
	s_waitcnt lgkmcnt(0)
	; wave barrier
	s_and_saveexec_b64 s[8:9], s[6:7]
	s_cbranch_execz .LBB118_236
; %bb.227:
	s_andn2_b64 vcc, exec, s[10:11]
	s_cbranch_vccnz .LBB118_229
; %bb.228:
	buffer_load_dword v114, v113, s[0:3], 0 offen
	ds_read_b32 v115, v112
	s_waitcnt vmcnt(0) lgkmcnt(0)
	v_mul_f32_e32 v114, v114, v115
	s_cbranch_execz .LBB118_230
	s_branch .LBB118_231
.LBB118_229:
                                        ; implicit-def: $vgpr114
.LBB118_230:
	ds_read_b32 v114, v112
.LBB118_231:
	s_and_saveexec_b64 s[12:13], s[4:5]
	s_cbranch_execz .LBB118_235
; %bb.232:
	v_subrev_u32_e32 v115, 31, v0
	s_movk_i32 s46, 0x15c
	s_mov_b64 s[4:5], 0
.LBB118_233:                            ; =>This Inner Loop Header: Depth=1
	v_mov_b32_e32 v116, s45
	buffer_load_dword v116, v116, s[0:3], 0 offen
	v_mov_b32_e32 v117, s46
	ds_read_b32 v117, v117
	v_add_u32_e32 v115, -1, v115
	s_add_i32 s46, s46, 4
	s_add_i32 s45, s45, 4
	v_cmp_eq_u32_e32 vcc, 0, v115
	s_or_b64 s[4:5], vcc, s[4:5]
	s_waitcnt vmcnt(0) lgkmcnt(0)
	v_fmac_f32_e32 v114, v116, v117
	s_andn2_b64 exec, exec, s[4:5]
	s_cbranch_execnz .LBB118_233
; %bb.234:
	s_or_b64 exec, exec, s[4:5]
.LBB118_235:
	s_or_b64 exec, exec, s[12:13]
	v_mov_b32_e32 v115, 0
	ds_read_b32 v115, v115 offset:120
	s_waitcnt lgkmcnt(0)
	v_mul_f32_e32 v114, v114, v115
	buffer_store_dword v114, off, s[0:3], 0 offset:120
.LBB118_236:
	s_or_b64 exec, exec, s[8:9]
	buffer_load_dword v114, off, s[0:3], 0 offset:116
	v_cmp_lt_u32_e64 s[4:5], 29, v0
	s_waitcnt vmcnt(0)
	ds_write_b32 v112, v114
	s_waitcnt lgkmcnt(0)
	; wave barrier
	s_and_saveexec_b64 s[8:9], s[4:5]
	s_cbranch_execz .LBB118_246
; %bb.237:
	s_andn2_b64 vcc, exec, s[10:11]
	s_cbranch_vccnz .LBB118_239
; %bb.238:
	buffer_load_dword v114, v113, s[0:3], 0 offen
	ds_read_b32 v115, v112
	s_waitcnt vmcnt(0) lgkmcnt(0)
	v_mul_f32_e32 v114, v114, v115
	s_cbranch_execz .LBB118_240
	s_branch .LBB118_241
.LBB118_239:
                                        ; implicit-def: $vgpr114
.LBB118_240:
	ds_read_b32 v114, v112
.LBB118_241:
	s_and_saveexec_b64 s[12:13], s[6:7]
	s_cbranch_execz .LBB118_245
; %bb.242:
	v_subrev_u32_e32 v115, 30, v0
	s_movk_i32 s45, 0x158
	s_mov_b64 s[6:7], 0
.LBB118_243:                            ; =>This Inner Loop Header: Depth=1
	v_mov_b32_e32 v116, s44
	buffer_load_dword v116, v116, s[0:3], 0 offen
	v_mov_b32_e32 v117, s45
	ds_read_b32 v117, v117
	v_add_u32_e32 v115, -1, v115
	s_add_i32 s45, s45, 4
	s_add_i32 s44, s44, 4
	v_cmp_eq_u32_e32 vcc, 0, v115
	s_or_b64 s[6:7], vcc, s[6:7]
	s_waitcnt vmcnt(0) lgkmcnt(0)
	v_fmac_f32_e32 v114, v116, v117
	s_andn2_b64 exec, exec, s[6:7]
	s_cbranch_execnz .LBB118_243
; %bb.244:
	s_or_b64 exec, exec, s[6:7]
.LBB118_245:
	s_or_b64 exec, exec, s[12:13]
	v_mov_b32_e32 v115, 0
	ds_read_b32 v115, v115 offset:116
	s_waitcnt lgkmcnt(0)
	v_mul_f32_e32 v114, v114, v115
	buffer_store_dword v114, off, s[0:3], 0 offset:116
.LBB118_246:
	s_or_b64 exec, exec, s[8:9]
	buffer_load_dword v114, off, s[0:3], 0 offset:112
	v_cmp_lt_u32_e64 s[6:7], 28, v0
	s_waitcnt vmcnt(0)
	ds_write_b32 v112, v114
	s_waitcnt lgkmcnt(0)
	; wave barrier
	s_and_saveexec_b64 s[8:9], s[6:7]
	s_cbranch_execz .LBB118_256
; %bb.247:
	s_andn2_b64 vcc, exec, s[10:11]
	s_cbranch_vccnz .LBB118_249
; %bb.248:
	buffer_load_dword v114, v113, s[0:3], 0 offen
	ds_read_b32 v115, v112
	s_waitcnt vmcnt(0) lgkmcnt(0)
	v_mul_f32_e32 v114, v114, v115
	s_cbranch_execz .LBB118_250
	s_branch .LBB118_251
.LBB118_249:
                                        ; implicit-def: $vgpr114
.LBB118_250:
	ds_read_b32 v114, v112
.LBB118_251:
	s_and_saveexec_b64 s[12:13], s[4:5]
	s_cbranch_execz .LBB118_255
; %bb.252:
	v_subrev_u32_e32 v115, 29, v0
	s_movk_i32 s44, 0x154
	s_mov_b64 s[4:5], 0
.LBB118_253:                            ; =>This Inner Loop Header: Depth=1
	v_mov_b32_e32 v116, s43
	buffer_load_dword v116, v116, s[0:3], 0 offen
	v_mov_b32_e32 v117, s44
	ds_read_b32 v117, v117
	v_add_u32_e32 v115, -1, v115
	s_add_i32 s44, s44, 4
	s_add_i32 s43, s43, 4
	v_cmp_eq_u32_e32 vcc, 0, v115
	s_or_b64 s[4:5], vcc, s[4:5]
	s_waitcnt vmcnt(0) lgkmcnt(0)
	v_fmac_f32_e32 v114, v116, v117
	s_andn2_b64 exec, exec, s[4:5]
	s_cbranch_execnz .LBB118_253
; %bb.254:
	s_or_b64 exec, exec, s[4:5]
.LBB118_255:
	s_or_b64 exec, exec, s[12:13]
	v_mov_b32_e32 v115, 0
	ds_read_b32 v115, v115 offset:112
	s_waitcnt lgkmcnt(0)
	v_mul_f32_e32 v114, v114, v115
	buffer_store_dword v114, off, s[0:3], 0 offset:112
.LBB118_256:
	s_or_b64 exec, exec, s[8:9]
	buffer_load_dword v114, off, s[0:3], 0 offset:108
	v_cmp_lt_u32_e64 s[4:5], 27, v0
	s_waitcnt vmcnt(0)
	ds_write_b32 v112, v114
	s_waitcnt lgkmcnt(0)
	; wave barrier
	s_and_saveexec_b64 s[8:9], s[4:5]
	s_cbranch_execz .LBB118_266
; %bb.257:
	s_andn2_b64 vcc, exec, s[10:11]
	s_cbranch_vccnz .LBB118_259
; %bb.258:
	buffer_load_dword v114, v113, s[0:3], 0 offen
	ds_read_b32 v115, v112
	s_waitcnt vmcnt(0) lgkmcnt(0)
	v_mul_f32_e32 v114, v114, v115
	s_cbranch_execz .LBB118_260
	s_branch .LBB118_261
.LBB118_259:
                                        ; implicit-def: $vgpr114
.LBB118_260:
	ds_read_b32 v114, v112
.LBB118_261:
	s_and_saveexec_b64 s[12:13], s[6:7]
	s_cbranch_execz .LBB118_265
; %bb.262:
	v_subrev_u32_e32 v115, 28, v0
	s_movk_i32 s43, 0x150
	s_mov_b64 s[6:7], 0
.LBB118_263:                            ; =>This Inner Loop Header: Depth=1
	v_mov_b32_e32 v116, s42
	buffer_load_dword v116, v116, s[0:3], 0 offen
	v_mov_b32_e32 v117, s43
	ds_read_b32 v117, v117
	v_add_u32_e32 v115, -1, v115
	s_add_i32 s43, s43, 4
	s_add_i32 s42, s42, 4
	v_cmp_eq_u32_e32 vcc, 0, v115
	s_or_b64 s[6:7], vcc, s[6:7]
	s_waitcnt vmcnt(0) lgkmcnt(0)
	v_fmac_f32_e32 v114, v116, v117
	s_andn2_b64 exec, exec, s[6:7]
	s_cbranch_execnz .LBB118_263
; %bb.264:
	s_or_b64 exec, exec, s[6:7]
.LBB118_265:
	s_or_b64 exec, exec, s[12:13]
	v_mov_b32_e32 v115, 0
	ds_read_b32 v115, v115 offset:108
	s_waitcnt lgkmcnt(0)
	v_mul_f32_e32 v114, v114, v115
	buffer_store_dword v114, off, s[0:3], 0 offset:108
.LBB118_266:
	s_or_b64 exec, exec, s[8:9]
	buffer_load_dword v114, off, s[0:3], 0 offset:104
	v_cmp_lt_u32_e64 s[6:7], 26, v0
	s_waitcnt vmcnt(0)
	ds_write_b32 v112, v114
	s_waitcnt lgkmcnt(0)
	; wave barrier
	s_and_saveexec_b64 s[8:9], s[6:7]
	s_cbranch_execz .LBB118_276
; %bb.267:
	s_andn2_b64 vcc, exec, s[10:11]
	s_cbranch_vccnz .LBB118_269
; %bb.268:
	buffer_load_dword v114, v113, s[0:3], 0 offen
	ds_read_b32 v115, v112
	s_waitcnt vmcnt(0) lgkmcnt(0)
	v_mul_f32_e32 v114, v114, v115
	s_cbranch_execz .LBB118_270
	s_branch .LBB118_271
.LBB118_269:
                                        ; implicit-def: $vgpr114
.LBB118_270:
	ds_read_b32 v114, v112
.LBB118_271:
	s_and_saveexec_b64 s[12:13], s[4:5]
	s_cbranch_execz .LBB118_275
; %bb.272:
	v_subrev_u32_e32 v115, 27, v0
	s_movk_i32 s42, 0x14c
	s_mov_b64 s[4:5], 0
.LBB118_273:                            ; =>This Inner Loop Header: Depth=1
	v_mov_b32_e32 v116, s41
	buffer_load_dword v116, v116, s[0:3], 0 offen
	v_mov_b32_e32 v117, s42
	ds_read_b32 v117, v117
	v_add_u32_e32 v115, -1, v115
	s_add_i32 s42, s42, 4
	s_add_i32 s41, s41, 4
	v_cmp_eq_u32_e32 vcc, 0, v115
	s_or_b64 s[4:5], vcc, s[4:5]
	s_waitcnt vmcnt(0) lgkmcnt(0)
	v_fmac_f32_e32 v114, v116, v117
	s_andn2_b64 exec, exec, s[4:5]
	s_cbranch_execnz .LBB118_273
; %bb.274:
	s_or_b64 exec, exec, s[4:5]
.LBB118_275:
	s_or_b64 exec, exec, s[12:13]
	v_mov_b32_e32 v115, 0
	ds_read_b32 v115, v115 offset:104
	s_waitcnt lgkmcnt(0)
	v_mul_f32_e32 v114, v114, v115
	buffer_store_dword v114, off, s[0:3], 0 offset:104
.LBB118_276:
	s_or_b64 exec, exec, s[8:9]
	buffer_load_dword v114, off, s[0:3], 0 offset:100
	v_cmp_lt_u32_e64 s[4:5], 25, v0
	s_waitcnt vmcnt(0)
	ds_write_b32 v112, v114
	s_waitcnt lgkmcnt(0)
	; wave barrier
	s_and_saveexec_b64 s[8:9], s[4:5]
	s_cbranch_execz .LBB118_286
; %bb.277:
	s_andn2_b64 vcc, exec, s[10:11]
	s_cbranch_vccnz .LBB118_279
; %bb.278:
	buffer_load_dword v114, v113, s[0:3], 0 offen
	ds_read_b32 v115, v112
	s_waitcnt vmcnt(0) lgkmcnt(0)
	v_mul_f32_e32 v114, v114, v115
	s_cbranch_execz .LBB118_280
	s_branch .LBB118_281
.LBB118_279:
                                        ; implicit-def: $vgpr114
.LBB118_280:
	ds_read_b32 v114, v112
.LBB118_281:
	s_and_saveexec_b64 s[12:13], s[6:7]
	s_cbranch_execz .LBB118_285
; %bb.282:
	v_subrev_u32_e32 v115, 26, v0
	s_movk_i32 s41, 0x148
	s_mov_b64 s[6:7], 0
.LBB118_283:                            ; =>This Inner Loop Header: Depth=1
	v_mov_b32_e32 v116, s40
	buffer_load_dword v116, v116, s[0:3], 0 offen
	v_mov_b32_e32 v117, s41
	ds_read_b32 v117, v117
	v_add_u32_e32 v115, -1, v115
	s_add_i32 s41, s41, 4
	s_add_i32 s40, s40, 4
	v_cmp_eq_u32_e32 vcc, 0, v115
	s_or_b64 s[6:7], vcc, s[6:7]
	s_waitcnt vmcnt(0) lgkmcnt(0)
	v_fmac_f32_e32 v114, v116, v117
	s_andn2_b64 exec, exec, s[6:7]
	s_cbranch_execnz .LBB118_283
; %bb.284:
	s_or_b64 exec, exec, s[6:7]
.LBB118_285:
	s_or_b64 exec, exec, s[12:13]
	v_mov_b32_e32 v115, 0
	ds_read_b32 v115, v115 offset:100
	s_waitcnt lgkmcnt(0)
	v_mul_f32_e32 v114, v114, v115
	buffer_store_dword v114, off, s[0:3], 0 offset:100
.LBB118_286:
	s_or_b64 exec, exec, s[8:9]
	buffer_load_dword v114, off, s[0:3], 0 offset:96
	v_cmp_lt_u32_e64 s[6:7], 24, v0
	s_waitcnt vmcnt(0)
	ds_write_b32 v112, v114
	s_waitcnt lgkmcnt(0)
	; wave barrier
	s_and_saveexec_b64 s[8:9], s[6:7]
	s_cbranch_execz .LBB118_296
; %bb.287:
	s_andn2_b64 vcc, exec, s[10:11]
	s_cbranch_vccnz .LBB118_289
; %bb.288:
	buffer_load_dword v114, v113, s[0:3], 0 offen
	ds_read_b32 v115, v112
	s_waitcnt vmcnt(0) lgkmcnt(0)
	v_mul_f32_e32 v114, v114, v115
	s_cbranch_execz .LBB118_290
	s_branch .LBB118_291
.LBB118_289:
                                        ; implicit-def: $vgpr114
.LBB118_290:
	ds_read_b32 v114, v112
.LBB118_291:
	s_and_saveexec_b64 s[12:13], s[4:5]
	s_cbranch_execz .LBB118_295
; %bb.292:
	v_subrev_u32_e32 v115, 25, v0
	s_movk_i32 s40, 0x144
	s_mov_b64 s[4:5], 0
.LBB118_293:                            ; =>This Inner Loop Header: Depth=1
	v_mov_b32_e32 v116, s39
	buffer_load_dword v116, v116, s[0:3], 0 offen
	v_mov_b32_e32 v117, s40
	ds_read_b32 v117, v117
	v_add_u32_e32 v115, -1, v115
	s_add_i32 s40, s40, 4
	s_add_i32 s39, s39, 4
	v_cmp_eq_u32_e32 vcc, 0, v115
	s_or_b64 s[4:5], vcc, s[4:5]
	s_waitcnt vmcnt(0) lgkmcnt(0)
	v_fmac_f32_e32 v114, v116, v117
	s_andn2_b64 exec, exec, s[4:5]
	s_cbranch_execnz .LBB118_293
; %bb.294:
	s_or_b64 exec, exec, s[4:5]
.LBB118_295:
	s_or_b64 exec, exec, s[12:13]
	v_mov_b32_e32 v115, 0
	ds_read_b32 v115, v115 offset:96
	s_waitcnt lgkmcnt(0)
	v_mul_f32_e32 v114, v114, v115
	buffer_store_dword v114, off, s[0:3], 0 offset:96
.LBB118_296:
	s_or_b64 exec, exec, s[8:9]
	buffer_load_dword v114, off, s[0:3], 0 offset:92
	v_cmp_lt_u32_e64 s[4:5], 23, v0
	s_waitcnt vmcnt(0)
	ds_write_b32 v112, v114
	s_waitcnt lgkmcnt(0)
	; wave barrier
	s_and_saveexec_b64 s[8:9], s[4:5]
	s_cbranch_execz .LBB118_306
; %bb.297:
	s_andn2_b64 vcc, exec, s[10:11]
	s_cbranch_vccnz .LBB118_299
; %bb.298:
	buffer_load_dword v114, v113, s[0:3], 0 offen
	ds_read_b32 v115, v112
	s_waitcnt vmcnt(0) lgkmcnt(0)
	v_mul_f32_e32 v114, v114, v115
	s_cbranch_execz .LBB118_300
	s_branch .LBB118_301
.LBB118_299:
                                        ; implicit-def: $vgpr114
.LBB118_300:
	ds_read_b32 v114, v112
.LBB118_301:
	s_and_saveexec_b64 s[12:13], s[6:7]
	s_cbranch_execz .LBB118_305
; %bb.302:
	v_subrev_u32_e32 v115, 24, v0
	s_movk_i32 s39, 0x140
	s_mov_b64 s[6:7], 0
.LBB118_303:                            ; =>This Inner Loop Header: Depth=1
	v_mov_b32_e32 v116, s38
	buffer_load_dword v116, v116, s[0:3], 0 offen
	v_mov_b32_e32 v117, s39
	ds_read_b32 v117, v117
	v_add_u32_e32 v115, -1, v115
	s_add_i32 s39, s39, 4
	s_add_i32 s38, s38, 4
	v_cmp_eq_u32_e32 vcc, 0, v115
	s_or_b64 s[6:7], vcc, s[6:7]
	s_waitcnt vmcnt(0) lgkmcnt(0)
	v_fmac_f32_e32 v114, v116, v117
	s_andn2_b64 exec, exec, s[6:7]
	s_cbranch_execnz .LBB118_303
; %bb.304:
	s_or_b64 exec, exec, s[6:7]
.LBB118_305:
	s_or_b64 exec, exec, s[12:13]
	v_mov_b32_e32 v115, 0
	ds_read_b32 v115, v115 offset:92
	s_waitcnt lgkmcnt(0)
	v_mul_f32_e32 v114, v114, v115
	buffer_store_dword v114, off, s[0:3], 0 offset:92
.LBB118_306:
	s_or_b64 exec, exec, s[8:9]
	buffer_load_dword v114, off, s[0:3], 0 offset:88
	v_cmp_lt_u32_e64 s[6:7], 22, v0
	s_waitcnt vmcnt(0)
	ds_write_b32 v112, v114
	s_waitcnt lgkmcnt(0)
	; wave barrier
	s_and_saveexec_b64 s[8:9], s[6:7]
	s_cbranch_execz .LBB118_316
; %bb.307:
	s_andn2_b64 vcc, exec, s[10:11]
	s_cbranch_vccnz .LBB118_309
; %bb.308:
	buffer_load_dword v114, v113, s[0:3], 0 offen
	ds_read_b32 v115, v112
	s_waitcnt vmcnt(0) lgkmcnt(0)
	v_mul_f32_e32 v114, v114, v115
	s_cbranch_execz .LBB118_310
	s_branch .LBB118_311
.LBB118_309:
                                        ; implicit-def: $vgpr114
.LBB118_310:
	ds_read_b32 v114, v112
.LBB118_311:
	s_and_saveexec_b64 s[12:13], s[4:5]
	s_cbranch_execz .LBB118_315
; %bb.312:
	v_subrev_u32_e32 v115, 23, v0
	s_movk_i32 s38, 0x13c
	s_mov_b64 s[4:5], 0
.LBB118_313:                            ; =>This Inner Loop Header: Depth=1
	v_mov_b32_e32 v116, s37
	buffer_load_dword v116, v116, s[0:3], 0 offen
	v_mov_b32_e32 v117, s38
	ds_read_b32 v117, v117
	v_add_u32_e32 v115, -1, v115
	s_add_i32 s38, s38, 4
	s_add_i32 s37, s37, 4
	v_cmp_eq_u32_e32 vcc, 0, v115
	s_or_b64 s[4:5], vcc, s[4:5]
	s_waitcnt vmcnt(0) lgkmcnt(0)
	v_fmac_f32_e32 v114, v116, v117
	s_andn2_b64 exec, exec, s[4:5]
	s_cbranch_execnz .LBB118_313
; %bb.314:
	s_or_b64 exec, exec, s[4:5]
.LBB118_315:
	s_or_b64 exec, exec, s[12:13]
	v_mov_b32_e32 v115, 0
	ds_read_b32 v115, v115 offset:88
	s_waitcnt lgkmcnt(0)
	v_mul_f32_e32 v114, v114, v115
	buffer_store_dword v114, off, s[0:3], 0 offset:88
.LBB118_316:
	s_or_b64 exec, exec, s[8:9]
	buffer_load_dword v114, off, s[0:3], 0 offset:84
	v_cmp_lt_u32_e64 s[4:5], 21, v0
	s_waitcnt vmcnt(0)
	ds_write_b32 v112, v114
	s_waitcnt lgkmcnt(0)
	; wave barrier
	s_and_saveexec_b64 s[8:9], s[4:5]
	s_cbranch_execz .LBB118_326
; %bb.317:
	s_andn2_b64 vcc, exec, s[10:11]
	s_cbranch_vccnz .LBB118_319
; %bb.318:
	buffer_load_dword v114, v113, s[0:3], 0 offen
	ds_read_b32 v115, v112
	s_waitcnt vmcnt(0) lgkmcnt(0)
	v_mul_f32_e32 v114, v114, v115
	s_cbranch_execz .LBB118_320
	s_branch .LBB118_321
.LBB118_319:
                                        ; implicit-def: $vgpr114
.LBB118_320:
	ds_read_b32 v114, v112
.LBB118_321:
	s_and_saveexec_b64 s[12:13], s[6:7]
	s_cbranch_execz .LBB118_325
; %bb.322:
	v_subrev_u32_e32 v115, 22, v0
	s_movk_i32 s37, 0x138
	s_mov_b64 s[6:7], 0
.LBB118_323:                            ; =>This Inner Loop Header: Depth=1
	v_mov_b32_e32 v116, s36
	buffer_load_dword v116, v116, s[0:3], 0 offen
	v_mov_b32_e32 v117, s37
	ds_read_b32 v117, v117
	v_add_u32_e32 v115, -1, v115
	s_add_i32 s37, s37, 4
	s_add_i32 s36, s36, 4
	v_cmp_eq_u32_e32 vcc, 0, v115
	s_or_b64 s[6:7], vcc, s[6:7]
	s_waitcnt vmcnt(0) lgkmcnt(0)
	v_fmac_f32_e32 v114, v116, v117
	s_andn2_b64 exec, exec, s[6:7]
	s_cbranch_execnz .LBB118_323
; %bb.324:
	s_or_b64 exec, exec, s[6:7]
.LBB118_325:
	s_or_b64 exec, exec, s[12:13]
	v_mov_b32_e32 v115, 0
	ds_read_b32 v115, v115 offset:84
	s_waitcnt lgkmcnt(0)
	v_mul_f32_e32 v114, v114, v115
	buffer_store_dword v114, off, s[0:3], 0 offset:84
.LBB118_326:
	s_or_b64 exec, exec, s[8:9]
	buffer_load_dword v114, off, s[0:3], 0 offset:80
	v_cmp_lt_u32_e64 s[6:7], 20, v0
	s_waitcnt vmcnt(0)
	ds_write_b32 v112, v114
	s_waitcnt lgkmcnt(0)
	; wave barrier
	s_and_saveexec_b64 s[8:9], s[6:7]
	s_cbranch_execz .LBB118_336
; %bb.327:
	s_andn2_b64 vcc, exec, s[10:11]
	s_cbranch_vccnz .LBB118_329
; %bb.328:
	buffer_load_dword v114, v113, s[0:3], 0 offen
	ds_read_b32 v115, v112
	s_waitcnt vmcnt(0) lgkmcnt(0)
	v_mul_f32_e32 v114, v114, v115
	s_cbranch_execz .LBB118_330
	s_branch .LBB118_331
.LBB118_329:
                                        ; implicit-def: $vgpr114
.LBB118_330:
	ds_read_b32 v114, v112
.LBB118_331:
	s_and_saveexec_b64 s[12:13], s[4:5]
	s_cbranch_execz .LBB118_335
; %bb.332:
	v_subrev_u32_e32 v115, 21, v0
	s_movk_i32 s36, 0x134
	s_mov_b64 s[4:5], 0
.LBB118_333:                            ; =>This Inner Loop Header: Depth=1
	v_mov_b32_e32 v116, s35
	buffer_load_dword v116, v116, s[0:3], 0 offen
	v_mov_b32_e32 v117, s36
	ds_read_b32 v117, v117
	v_add_u32_e32 v115, -1, v115
	s_add_i32 s36, s36, 4
	s_add_i32 s35, s35, 4
	v_cmp_eq_u32_e32 vcc, 0, v115
	s_or_b64 s[4:5], vcc, s[4:5]
	s_waitcnt vmcnt(0) lgkmcnt(0)
	v_fmac_f32_e32 v114, v116, v117
	s_andn2_b64 exec, exec, s[4:5]
	s_cbranch_execnz .LBB118_333
; %bb.334:
	s_or_b64 exec, exec, s[4:5]
.LBB118_335:
	s_or_b64 exec, exec, s[12:13]
	v_mov_b32_e32 v115, 0
	ds_read_b32 v115, v115 offset:80
	s_waitcnt lgkmcnt(0)
	v_mul_f32_e32 v114, v114, v115
	buffer_store_dword v114, off, s[0:3], 0 offset:80
.LBB118_336:
	s_or_b64 exec, exec, s[8:9]
	buffer_load_dword v114, off, s[0:3], 0 offset:76
	v_cmp_lt_u32_e64 s[4:5], 19, v0
	s_waitcnt vmcnt(0)
	ds_write_b32 v112, v114
	s_waitcnt lgkmcnt(0)
	; wave barrier
	s_and_saveexec_b64 s[8:9], s[4:5]
	s_cbranch_execz .LBB118_346
; %bb.337:
	s_andn2_b64 vcc, exec, s[10:11]
	s_cbranch_vccnz .LBB118_339
; %bb.338:
	buffer_load_dword v114, v113, s[0:3], 0 offen
	ds_read_b32 v115, v112
	s_waitcnt vmcnt(0) lgkmcnt(0)
	v_mul_f32_e32 v114, v114, v115
	s_cbranch_execz .LBB118_340
	s_branch .LBB118_341
.LBB118_339:
                                        ; implicit-def: $vgpr114
.LBB118_340:
	ds_read_b32 v114, v112
.LBB118_341:
	s_and_saveexec_b64 s[12:13], s[6:7]
	s_cbranch_execz .LBB118_345
; %bb.342:
	v_subrev_u32_e32 v115, 20, v0
	s_movk_i32 s35, 0x130
	s_mov_b64 s[6:7], 0
.LBB118_343:                            ; =>This Inner Loop Header: Depth=1
	v_mov_b32_e32 v116, s34
	buffer_load_dword v116, v116, s[0:3], 0 offen
	v_mov_b32_e32 v117, s35
	ds_read_b32 v117, v117
	v_add_u32_e32 v115, -1, v115
	s_add_i32 s35, s35, 4
	s_add_i32 s34, s34, 4
	v_cmp_eq_u32_e32 vcc, 0, v115
	s_or_b64 s[6:7], vcc, s[6:7]
	s_waitcnt vmcnt(0) lgkmcnt(0)
	v_fmac_f32_e32 v114, v116, v117
	s_andn2_b64 exec, exec, s[6:7]
	s_cbranch_execnz .LBB118_343
; %bb.344:
	s_or_b64 exec, exec, s[6:7]
.LBB118_345:
	s_or_b64 exec, exec, s[12:13]
	v_mov_b32_e32 v115, 0
	ds_read_b32 v115, v115 offset:76
	s_waitcnt lgkmcnt(0)
	v_mul_f32_e32 v114, v114, v115
	buffer_store_dword v114, off, s[0:3], 0 offset:76
.LBB118_346:
	s_or_b64 exec, exec, s[8:9]
	buffer_load_dword v114, off, s[0:3], 0 offset:72
	v_cmp_lt_u32_e64 s[6:7], 18, v0
	s_waitcnt vmcnt(0)
	ds_write_b32 v112, v114
	s_waitcnt lgkmcnt(0)
	; wave barrier
	s_and_saveexec_b64 s[8:9], s[6:7]
	s_cbranch_execz .LBB118_356
; %bb.347:
	s_andn2_b64 vcc, exec, s[10:11]
	s_cbranch_vccnz .LBB118_349
; %bb.348:
	buffer_load_dword v114, v113, s[0:3], 0 offen
	ds_read_b32 v115, v112
	s_waitcnt vmcnt(0) lgkmcnt(0)
	v_mul_f32_e32 v114, v114, v115
	s_cbranch_execz .LBB118_350
	s_branch .LBB118_351
.LBB118_349:
                                        ; implicit-def: $vgpr114
.LBB118_350:
	ds_read_b32 v114, v112
.LBB118_351:
	s_and_saveexec_b64 s[12:13], s[4:5]
	s_cbranch_execz .LBB118_355
; %bb.352:
	v_subrev_u32_e32 v115, 19, v0
	s_movk_i32 s34, 0x12c
	s_mov_b64 s[4:5], 0
.LBB118_353:                            ; =>This Inner Loop Header: Depth=1
	v_mov_b32_e32 v116, s33
	buffer_load_dword v116, v116, s[0:3], 0 offen
	v_mov_b32_e32 v117, s34
	ds_read_b32 v117, v117
	v_add_u32_e32 v115, -1, v115
	s_add_i32 s34, s34, 4
	s_add_i32 s33, s33, 4
	v_cmp_eq_u32_e32 vcc, 0, v115
	s_or_b64 s[4:5], vcc, s[4:5]
	s_waitcnt vmcnt(0) lgkmcnt(0)
	v_fmac_f32_e32 v114, v116, v117
	s_andn2_b64 exec, exec, s[4:5]
	s_cbranch_execnz .LBB118_353
; %bb.354:
	s_or_b64 exec, exec, s[4:5]
.LBB118_355:
	s_or_b64 exec, exec, s[12:13]
	v_mov_b32_e32 v115, 0
	ds_read_b32 v115, v115 offset:72
	s_waitcnt lgkmcnt(0)
	v_mul_f32_e32 v114, v114, v115
	buffer_store_dword v114, off, s[0:3], 0 offset:72
.LBB118_356:
	s_or_b64 exec, exec, s[8:9]
	buffer_load_dword v114, off, s[0:3], 0 offset:68
	v_cmp_lt_u32_e64 s[4:5], 17, v0
	s_waitcnt vmcnt(0)
	ds_write_b32 v112, v114
	s_waitcnt lgkmcnt(0)
	; wave barrier
	s_and_saveexec_b64 s[8:9], s[4:5]
	s_cbranch_execz .LBB118_366
; %bb.357:
	s_andn2_b64 vcc, exec, s[10:11]
	s_cbranch_vccnz .LBB118_359
; %bb.358:
	buffer_load_dword v114, v113, s[0:3], 0 offen
	ds_read_b32 v115, v112
	s_waitcnt vmcnt(0) lgkmcnt(0)
	v_mul_f32_e32 v114, v114, v115
	s_cbranch_execz .LBB118_360
	s_branch .LBB118_361
.LBB118_359:
                                        ; implicit-def: $vgpr114
.LBB118_360:
	ds_read_b32 v114, v112
.LBB118_361:
	s_and_saveexec_b64 s[12:13], s[6:7]
	s_cbranch_execz .LBB118_365
; %bb.362:
	v_subrev_u32_e32 v115, 18, v0
	s_movk_i32 s33, 0x128
	s_mov_b64 s[6:7], 0
.LBB118_363:                            ; =>This Inner Loop Header: Depth=1
	v_mov_b32_e32 v116, s31
	buffer_load_dword v116, v116, s[0:3], 0 offen
	v_mov_b32_e32 v117, s33
	ds_read_b32 v117, v117
	v_add_u32_e32 v115, -1, v115
	s_add_i32 s33, s33, 4
	s_add_i32 s31, s31, 4
	v_cmp_eq_u32_e32 vcc, 0, v115
	s_or_b64 s[6:7], vcc, s[6:7]
	s_waitcnt vmcnt(0) lgkmcnt(0)
	v_fmac_f32_e32 v114, v116, v117
	s_andn2_b64 exec, exec, s[6:7]
	s_cbranch_execnz .LBB118_363
; %bb.364:
	s_or_b64 exec, exec, s[6:7]
.LBB118_365:
	s_or_b64 exec, exec, s[12:13]
	v_mov_b32_e32 v115, 0
	ds_read_b32 v115, v115 offset:68
	s_waitcnt lgkmcnt(0)
	v_mul_f32_e32 v114, v114, v115
	buffer_store_dword v114, off, s[0:3], 0 offset:68
.LBB118_366:
	s_or_b64 exec, exec, s[8:9]
	buffer_load_dword v114, off, s[0:3], 0 offset:64
	v_cmp_lt_u32_e64 s[6:7], 16, v0
	s_waitcnt vmcnt(0)
	ds_write_b32 v112, v114
	s_waitcnt lgkmcnt(0)
	; wave barrier
	s_and_saveexec_b64 s[8:9], s[6:7]
	s_cbranch_execz .LBB118_376
; %bb.367:
	s_andn2_b64 vcc, exec, s[10:11]
	s_cbranch_vccnz .LBB118_369
; %bb.368:
	buffer_load_dword v114, v113, s[0:3], 0 offen
	ds_read_b32 v115, v112
	s_waitcnt vmcnt(0) lgkmcnt(0)
	v_mul_f32_e32 v114, v114, v115
	s_cbranch_execz .LBB118_370
	s_branch .LBB118_371
.LBB118_369:
                                        ; implicit-def: $vgpr114
.LBB118_370:
	ds_read_b32 v114, v112
.LBB118_371:
	s_and_saveexec_b64 s[12:13], s[4:5]
	s_cbranch_execz .LBB118_375
; %bb.372:
	v_subrev_u32_e32 v115, 17, v0
	s_movk_i32 s31, 0x124
	s_mov_b64 s[4:5], 0
.LBB118_373:                            ; =>This Inner Loop Header: Depth=1
	v_mov_b32_e32 v116, s30
	buffer_load_dword v116, v116, s[0:3], 0 offen
	v_mov_b32_e32 v117, s31
	ds_read_b32 v117, v117
	v_add_u32_e32 v115, -1, v115
	s_add_i32 s31, s31, 4
	s_add_i32 s30, s30, 4
	v_cmp_eq_u32_e32 vcc, 0, v115
	s_or_b64 s[4:5], vcc, s[4:5]
	s_waitcnt vmcnt(0) lgkmcnt(0)
	v_fmac_f32_e32 v114, v116, v117
	s_andn2_b64 exec, exec, s[4:5]
	s_cbranch_execnz .LBB118_373
; %bb.374:
	s_or_b64 exec, exec, s[4:5]
.LBB118_375:
	s_or_b64 exec, exec, s[12:13]
	v_mov_b32_e32 v115, 0
	ds_read_b32 v115, v115 offset:64
	s_waitcnt lgkmcnt(0)
	v_mul_f32_e32 v114, v114, v115
	buffer_store_dword v114, off, s[0:3], 0 offset:64
.LBB118_376:
	s_or_b64 exec, exec, s[8:9]
	buffer_load_dword v114, off, s[0:3], 0 offset:60
	v_cmp_lt_u32_e64 s[4:5], 15, v0
	s_waitcnt vmcnt(0)
	ds_write_b32 v112, v114
	s_waitcnt lgkmcnt(0)
	; wave barrier
	s_and_saveexec_b64 s[8:9], s[4:5]
	s_cbranch_execz .LBB118_386
; %bb.377:
	s_andn2_b64 vcc, exec, s[10:11]
	s_cbranch_vccnz .LBB118_379
; %bb.378:
	buffer_load_dword v114, v113, s[0:3], 0 offen
	ds_read_b32 v115, v112
	s_waitcnt vmcnt(0) lgkmcnt(0)
	v_mul_f32_e32 v114, v114, v115
	s_cbranch_execz .LBB118_380
	s_branch .LBB118_381
.LBB118_379:
                                        ; implicit-def: $vgpr114
.LBB118_380:
	ds_read_b32 v114, v112
.LBB118_381:
	s_and_saveexec_b64 s[12:13], s[6:7]
	s_cbranch_execz .LBB118_385
; %bb.382:
	v_add_u32_e32 v115, -16, v0
	s_movk_i32 s30, 0x120
	s_mov_b64 s[6:7], 0
.LBB118_383:                            ; =>This Inner Loop Header: Depth=1
	v_mov_b32_e32 v116, s29
	buffer_load_dword v116, v116, s[0:3], 0 offen
	v_mov_b32_e32 v117, s30
	ds_read_b32 v117, v117
	v_add_u32_e32 v115, -1, v115
	s_add_i32 s30, s30, 4
	s_add_i32 s29, s29, 4
	v_cmp_eq_u32_e32 vcc, 0, v115
	s_or_b64 s[6:7], vcc, s[6:7]
	s_waitcnt vmcnt(0) lgkmcnt(0)
	v_fmac_f32_e32 v114, v116, v117
	s_andn2_b64 exec, exec, s[6:7]
	s_cbranch_execnz .LBB118_383
; %bb.384:
	s_or_b64 exec, exec, s[6:7]
.LBB118_385:
	s_or_b64 exec, exec, s[12:13]
	v_mov_b32_e32 v115, 0
	ds_read_b32 v115, v115 offset:60
	s_waitcnt lgkmcnt(0)
	v_mul_f32_e32 v114, v114, v115
	buffer_store_dword v114, off, s[0:3], 0 offset:60
.LBB118_386:
	s_or_b64 exec, exec, s[8:9]
	buffer_load_dword v114, off, s[0:3], 0 offset:56
	v_cmp_lt_u32_e64 s[6:7], 14, v0
	s_waitcnt vmcnt(0)
	ds_write_b32 v112, v114
	s_waitcnt lgkmcnt(0)
	; wave barrier
	s_and_saveexec_b64 s[8:9], s[6:7]
	s_cbranch_execz .LBB118_396
; %bb.387:
	s_andn2_b64 vcc, exec, s[10:11]
	s_cbranch_vccnz .LBB118_389
; %bb.388:
	buffer_load_dword v114, v113, s[0:3], 0 offen
	ds_read_b32 v115, v112
	s_waitcnt vmcnt(0) lgkmcnt(0)
	v_mul_f32_e32 v114, v114, v115
	s_cbranch_execz .LBB118_390
	s_branch .LBB118_391
.LBB118_389:
                                        ; implicit-def: $vgpr114
.LBB118_390:
	ds_read_b32 v114, v112
.LBB118_391:
	s_and_saveexec_b64 s[12:13], s[4:5]
	s_cbranch_execz .LBB118_395
; %bb.392:
	v_add_u32_e32 v115, -15, v0
	s_movk_i32 s29, 0x11c
	s_mov_b64 s[4:5], 0
.LBB118_393:                            ; =>This Inner Loop Header: Depth=1
	v_mov_b32_e32 v116, s28
	buffer_load_dword v116, v116, s[0:3], 0 offen
	v_mov_b32_e32 v117, s29
	ds_read_b32 v117, v117
	v_add_u32_e32 v115, -1, v115
	s_add_i32 s29, s29, 4
	s_add_i32 s28, s28, 4
	v_cmp_eq_u32_e32 vcc, 0, v115
	s_or_b64 s[4:5], vcc, s[4:5]
	s_waitcnt vmcnt(0) lgkmcnt(0)
	v_fmac_f32_e32 v114, v116, v117
	s_andn2_b64 exec, exec, s[4:5]
	s_cbranch_execnz .LBB118_393
; %bb.394:
	s_or_b64 exec, exec, s[4:5]
.LBB118_395:
	s_or_b64 exec, exec, s[12:13]
	v_mov_b32_e32 v115, 0
	ds_read_b32 v115, v115 offset:56
	s_waitcnt lgkmcnt(0)
	v_mul_f32_e32 v114, v114, v115
	buffer_store_dword v114, off, s[0:3], 0 offset:56
.LBB118_396:
	;; [unrolled: 54-line block ×15, first 2 shown]
	s_or_b64 exec, exec, s[8:9]
	buffer_load_dword v114, off, s[0:3], 0
	v_cmp_ne_u32_e32 vcc, 0, v0
	s_waitcnt vmcnt(0)
	ds_write_b32 v112, v114
	s_waitcnt lgkmcnt(0)
	; wave barrier
	s_and_saveexec_b64 s[6:7], vcc
	s_cbranch_execz .LBB118_536
; %bb.527:
	s_andn2_b64 vcc, exec, s[10:11]
	s_cbranch_vccnz .LBB118_529
; %bb.528:
	buffer_load_dword v114, v113, s[0:3], 0 offen
	ds_read_b32 v115, v112
	s_waitcnt vmcnt(0) lgkmcnt(0)
	v_mul_f32_e32 v114, v114, v115
	s_cbranch_execz .LBB118_530
	s_branch .LBB118_531
.LBB118_529:
                                        ; implicit-def: $vgpr114
.LBB118_530:
	ds_read_b32 v114, v112
.LBB118_531:
	s_and_saveexec_b64 s[8:9], s[4:5]
	s_cbranch_execz .LBB118_535
; %bb.532:
	v_add_u32_e32 v115, -1, v0
	s_movk_i32 s12, 0xe4
	s_mov_b64 s[4:5], 0
.LBB118_533:                            ; =>This Inner Loop Header: Depth=1
	v_mov_b32_e32 v116, s14
	buffer_load_dword v116, v116, s[0:3], 0 offen
	v_mov_b32_e32 v117, s12
	ds_read_b32 v117, v117
	v_add_u32_e32 v115, -1, v115
	s_add_i32 s12, s12, 4
	s_add_i32 s14, s14, 4
	v_cmp_eq_u32_e32 vcc, 0, v115
	s_or_b64 s[4:5], vcc, s[4:5]
	s_waitcnt vmcnt(0) lgkmcnt(0)
	v_fmac_f32_e32 v114, v116, v117
	s_andn2_b64 exec, exec, s[4:5]
	s_cbranch_execnz .LBB118_533
; %bb.534:
	s_or_b64 exec, exec, s[4:5]
.LBB118_535:
	s_or_b64 exec, exec, s[8:9]
	v_mov_b32_e32 v115, 0
	ds_read_b32 v115, v115
	s_waitcnt lgkmcnt(0)
	v_mul_f32_e32 v114, v114, v115
	buffer_store_dword v114, off, s[0:3], 0
.LBB118_536:
	s_or_b64 exec, exec, s[6:7]
	s_mov_b64 s[4:5], 0
.LBB118_537:
	s_and_b64 vcc, exec, s[4:5]
	s_cbranch_vccz .LBB118_1069
; %bb.538:
	buffer_load_dword v114, off, s[0:3], 0 offset:4
	v_cmp_eq_u32_e64 s[6:7], 0, v0
	s_waitcnt vmcnt(0)
	ds_write_b32 v112, v114
	s_waitcnt lgkmcnt(0)
	; wave barrier
	s_and_saveexec_b64 s[4:5], s[6:7]
	s_cbranch_execz .LBB118_544
; %bb.539:
	s_and_b64 vcc, exec, s[10:11]
	s_cbranch_vccz .LBB118_541
; %bb.540:
	buffer_load_dword v114, v113, s[0:3], 0 offen
	ds_read_b32 v115, v112
	s_waitcnt vmcnt(0) lgkmcnt(0)
	v_mul_f32_e32 v114, v114, v115
	s_cbranch_execz .LBB118_542
	s_branch .LBB118_543
.LBB118_541:
                                        ; implicit-def: $vgpr114
.LBB118_542:
	ds_read_b32 v114, v112
.LBB118_543:
	v_mov_b32_e32 v115, 0
	ds_read_b32 v115, v115 offset:4
	s_waitcnt lgkmcnt(0)
	v_mul_f32_e32 v114, v114, v115
	buffer_store_dword v114, off, s[0:3], 0 offset:4
.LBB118_544:
	s_or_b64 exec, exec, s[4:5]
	buffer_load_dword v114, off, s[0:3], 0 offset:8
	v_cndmask_b32_e64 v115, 0, 1, s[10:11]
	v_cmp_gt_u32_e32 vcc, 2, v0
	v_cmp_ne_u32_e64 s[4:5], 1, v115
	s_waitcnt vmcnt(0)
	ds_write_b32 v112, v114
	s_waitcnt lgkmcnt(0)
	; wave barrier
	s_and_saveexec_b64 s[8:9], vcc
	s_cbranch_execz .LBB118_550
; %bb.545:
	s_and_b64 vcc, exec, s[4:5]
	s_cbranch_vccnz .LBB118_547
; %bb.546:
	buffer_load_dword v114, v113, s[0:3], 0 offen
	ds_read_b32 v115, v112
	s_waitcnt vmcnt(0) lgkmcnt(0)
	v_mul_f32_e32 v114, v114, v115
	s_cbranch_execz .LBB118_548
	s_branch .LBB118_549
.LBB118_547:
                                        ; implicit-def: $vgpr114
.LBB118_548:
	ds_read_b32 v114, v112
.LBB118_549:
	buffer_load_dword v117, off, s[0:3], 0 offset:4
	v_mov_b32_e32 v115, 0
	ds_read2_b32 v[115:116], v115 offset0:2 offset1:57
	s_waitcnt vmcnt(0) lgkmcnt(0)
	v_fma_f32 v116, v117, v116, v114
	v_cndmask_b32_e64 v114, v114, v116, s[6:7]
	v_mul_f32_e32 v114, v114, v115
	buffer_store_dword v114, off, s[0:3], 0 offset:8
.LBB118_550:
	s_or_b64 exec, exec, s[8:9]
	buffer_load_dword v114, off, s[0:3], 0 offset:12
	v_cmp_gt_u32_e32 vcc, 3, v0
	s_waitcnt vmcnt(0)
	ds_write_b32 v112, v114
	s_waitcnt lgkmcnt(0)
	; wave barrier
	s_and_saveexec_b64 s[8:9], vcc
	s_cbranch_execz .LBB118_558
; %bb.551:
	s_and_b64 vcc, exec, s[4:5]
	s_cbranch_vccnz .LBB118_553
; %bb.552:
	buffer_load_dword v114, v113, s[0:3], 0 offen
	ds_read_b32 v115, v112
	s_waitcnt vmcnt(0) lgkmcnt(0)
	v_mul_f32_e32 v114, v114, v115
	s_cbranch_execz .LBB118_554
	s_branch .LBB118_555
.LBB118_553:
                                        ; implicit-def: $vgpr114
.LBB118_554:
	ds_read_b32 v114, v112
.LBB118_555:
	v_cmp_ne_u32_e32 vcc, 2, v0
	s_and_saveexec_b64 s[10:11], vcc
	s_cbranch_execz .LBB118_557
; %bb.556:
	buffer_load_dword v115, v113, s[0:3], 0 offen offset:4
	buffer_load_dword v116, off, s[0:3], 0 offset:8
	v_mov_b32_e32 v117, 0
	ds_read_b32 v118, v112 offset:4
	ds_read_b32 v117, v117 offset:232
	s_waitcnt vmcnt(1) lgkmcnt(1)
	v_fmac_f32_e32 v114, v115, v118
	s_waitcnt vmcnt(0) lgkmcnt(0)
	v_fma_f32 v115, v116, v117, v114
	v_cndmask_b32_e64 v114, v114, v115, s[6:7]
.LBB118_557:
	s_or_b64 exec, exec, s[10:11]
	v_mov_b32_e32 v115, 0
	ds_read_b32 v115, v115 offset:12
	s_waitcnt lgkmcnt(0)
	v_mul_f32_e32 v114, v114, v115
	buffer_store_dword v114, off, s[0:3], 0 offset:12
.LBB118_558:
	s_or_b64 exec, exec, s[8:9]
	buffer_load_dword v114, off, s[0:3], 0 offset:16
	v_cmp_gt_u32_e32 vcc, 4, v0
	s_waitcnt vmcnt(0)
	ds_write_b32 v112, v114
	s_waitcnt lgkmcnt(0)
	; wave barrier
	s_and_saveexec_b64 s[6:7], vcc
	s_cbranch_execz .LBB118_568
; %bb.559:
	s_and_b64 vcc, exec, s[4:5]
	s_cbranch_vccnz .LBB118_561
; %bb.560:
	buffer_load_dword v114, v113, s[0:3], 0 offen
	ds_read_b32 v115, v112
	s_waitcnt vmcnt(0) lgkmcnt(0)
	v_mul_f32_e32 v114, v114, v115
	s_cbranch_execz .LBB118_562
	s_branch .LBB118_563
.LBB118_561:
                                        ; implicit-def: $vgpr114
.LBB118_562:
	ds_read_b32 v114, v112
.LBB118_563:
	v_cmp_ne_u32_e32 vcc, 3, v0
	s_and_saveexec_b64 s[8:9], vcc
	s_cbranch_execz .LBB118_567
; %bb.564:
	s_mov_b32 s10, 0
	v_add_u32_e32 v115, 0xe4, v111
	v_add3_u32 v116, v111, s10, 4
	s_mov_b64 s[10:11], 0
	v_mov_b32_e32 v117, v0
.LBB118_565:                            ; =>This Inner Loop Header: Depth=1
	buffer_load_dword v118, v116, s[0:3], 0 offen
	ds_read_b32 v119, v115
	v_add_u32_e32 v117, 1, v117
	v_cmp_lt_u32_e32 vcc, 2, v117
	v_add_u32_e32 v115, 4, v115
	v_add_u32_e32 v116, 4, v116
	s_or_b64 s[10:11], vcc, s[10:11]
	s_waitcnt vmcnt(0) lgkmcnt(0)
	v_fmac_f32_e32 v114, v118, v119
	s_andn2_b64 exec, exec, s[10:11]
	s_cbranch_execnz .LBB118_565
; %bb.566:
	s_or_b64 exec, exec, s[10:11]
.LBB118_567:
	s_or_b64 exec, exec, s[8:9]
	v_mov_b32_e32 v115, 0
	ds_read_b32 v115, v115 offset:16
	s_waitcnt lgkmcnt(0)
	v_mul_f32_e32 v114, v114, v115
	buffer_store_dword v114, off, s[0:3], 0 offset:16
.LBB118_568:
	s_or_b64 exec, exec, s[6:7]
	buffer_load_dword v114, off, s[0:3], 0 offset:20
	v_cmp_gt_u32_e32 vcc, 5, v0
	s_waitcnt vmcnt(0)
	ds_write_b32 v112, v114
	s_waitcnt lgkmcnt(0)
	; wave barrier
	s_and_saveexec_b64 s[6:7], vcc
	s_cbranch_execz .LBB118_578
; %bb.569:
	s_and_b64 vcc, exec, s[4:5]
	s_cbranch_vccnz .LBB118_571
; %bb.570:
	buffer_load_dword v114, v113, s[0:3], 0 offen
	ds_read_b32 v115, v112
	s_waitcnt vmcnt(0) lgkmcnt(0)
	v_mul_f32_e32 v114, v114, v115
	s_cbranch_execz .LBB118_572
	s_branch .LBB118_573
.LBB118_571:
                                        ; implicit-def: $vgpr114
.LBB118_572:
	ds_read_b32 v114, v112
.LBB118_573:
	v_cmp_ne_u32_e32 vcc, 4, v0
	s_and_saveexec_b64 s[8:9], vcc
	s_cbranch_execz .LBB118_577
; %bb.574:
	s_mov_b32 s10, 0
	v_add_u32_e32 v115, 0xe4, v111
	v_add3_u32 v116, v111, s10, 4
	s_mov_b64 s[10:11], 0
	v_mov_b32_e32 v117, v0
.LBB118_575:                            ; =>This Inner Loop Header: Depth=1
	buffer_load_dword v118, v116, s[0:3], 0 offen
	ds_read_b32 v119, v115
	v_add_u32_e32 v117, 1, v117
	v_cmp_lt_u32_e32 vcc, 3, v117
	v_add_u32_e32 v115, 4, v115
	v_add_u32_e32 v116, 4, v116
	s_or_b64 s[10:11], vcc, s[10:11]
	s_waitcnt vmcnt(0) lgkmcnt(0)
	v_fmac_f32_e32 v114, v118, v119
	s_andn2_b64 exec, exec, s[10:11]
	s_cbranch_execnz .LBB118_575
; %bb.576:
	s_or_b64 exec, exec, s[10:11]
.LBB118_577:
	s_or_b64 exec, exec, s[8:9]
	v_mov_b32_e32 v115, 0
	ds_read_b32 v115, v115 offset:20
	s_waitcnt lgkmcnt(0)
	v_mul_f32_e32 v114, v114, v115
	buffer_store_dword v114, off, s[0:3], 0 offset:20
.LBB118_578:
	;; [unrolled: 55-line block ×44, first 2 shown]
	s_or_b64 exec, exec, s[6:7]
	buffer_load_dword v114, off, s[0:3], 0 offset:192
	v_cmp_gt_u32_e32 vcc, 48, v0
	s_waitcnt vmcnt(0)
	ds_write_b32 v112, v114
	s_waitcnt lgkmcnt(0)
	; wave barrier
	s_and_saveexec_b64 s[6:7], vcc
	s_cbranch_execz .LBB118_1008
; %bb.999:
	s_and_b64 vcc, exec, s[4:5]
	s_cbranch_vccnz .LBB118_1001
; %bb.1000:
	buffer_load_dword v114, v113, s[0:3], 0 offen
	ds_read_b32 v115, v112
	s_waitcnt vmcnt(0) lgkmcnt(0)
	v_mul_f32_e32 v114, v114, v115
	s_cbranch_execz .LBB118_1002
	s_branch .LBB118_1003
.LBB118_1001:
                                        ; implicit-def: $vgpr114
.LBB118_1002:
	ds_read_b32 v114, v112
.LBB118_1003:
	v_cmp_ne_u32_e32 vcc, 47, v0
	s_and_saveexec_b64 s[8:9], vcc
	s_cbranch_execz .LBB118_1007
; %bb.1004:
	s_mov_b32 s10, 0
	v_add_u32_e32 v115, 0xe4, v111
	v_add3_u32 v116, v111, s10, 4
	s_mov_b64 s[10:11], 0
	v_mov_b32_e32 v117, v0
.LBB118_1005:                           ; =>This Inner Loop Header: Depth=1
	buffer_load_dword v118, v116, s[0:3], 0 offen
	ds_read_b32 v119, v115
	v_add_u32_e32 v117, 1, v117
	v_cmp_lt_u32_e32 vcc, 46, v117
	v_add_u32_e32 v115, 4, v115
	v_add_u32_e32 v116, 4, v116
	s_or_b64 s[10:11], vcc, s[10:11]
	s_waitcnt vmcnt(0) lgkmcnt(0)
	v_fmac_f32_e32 v114, v118, v119
	s_andn2_b64 exec, exec, s[10:11]
	s_cbranch_execnz .LBB118_1005
; %bb.1006:
	s_or_b64 exec, exec, s[10:11]
.LBB118_1007:
	s_or_b64 exec, exec, s[8:9]
	v_mov_b32_e32 v115, 0
	ds_read_b32 v115, v115 offset:192
	s_waitcnt lgkmcnt(0)
	v_mul_f32_e32 v114, v114, v115
	buffer_store_dword v114, off, s[0:3], 0 offset:192
.LBB118_1008:
	s_or_b64 exec, exec, s[6:7]
	buffer_load_dword v114, off, s[0:3], 0 offset:196
	v_cmp_gt_u32_e32 vcc, 49, v0
	s_waitcnt vmcnt(0)
	ds_write_b32 v112, v114
	s_waitcnt lgkmcnt(0)
	; wave barrier
	s_and_saveexec_b64 s[6:7], vcc
	s_cbranch_execz .LBB118_1018
; %bb.1009:
	s_and_b64 vcc, exec, s[4:5]
	s_cbranch_vccnz .LBB118_1011
; %bb.1010:
	buffer_load_dword v114, v113, s[0:3], 0 offen
	ds_read_b32 v115, v112
	s_waitcnt vmcnt(0) lgkmcnt(0)
	v_mul_f32_e32 v114, v114, v115
	s_cbranch_execz .LBB118_1012
	s_branch .LBB118_1013
.LBB118_1011:
                                        ; implicit-def: $vgpr114
.LBB118_1012:
	ds_read_b32 v114, v112
.LBB118_1013:
	v_cmp_ne_u32_e32 vcc, 48, v0
	s_and_saveexec_b64 s[8:9], vcc
	s_cbranch_execz .LBB118_1017
; %bb.1014:
	s_mov_b32 s10, 0
	v_add_u32_e32 v115, 0xe4, v111
	v_add3_u32 v116, v111, s10, 4
	s_mov_b64 s[10:11], 0
	v_mov_b32_e32 v117, v0
.LBB118_1015:                           ; =>This Inner Loop Header: Depth=1
	buffer_load_dword v118, v116, s[0:3], 0 offen
	ds_read_b32 v119, v115
	v_add_u32_e32 v117, 1, v117
	v_cmp_lt_u32_e32 vcc, 47, v117
	v_add_u32_e32 v115, 4, v115
	v_add_u32_e32 v116, 4, v116
	s_or_b64 s[10:11], vcc, s[10:11]
	s_waitcnt vmcnt(0) lgkmcnt(0)
	v_fmac_f32_e32 v114, v118, v119
	s_andn2_b64 exec, exec, s[10:11]
	s_cbranch_execnz .LBB118_1015
; %bb.1016:
	s_or_b64 exec, exec, s[10:11]
.LBB118_1017:
	s_or_b64 exec, exec, s[8:9]
	v_mov_b32_e32 v115, 0
	ds_read_b32 v115, v115 offset:196
	s_waitcnt lgkmcnt(0)
	v_mul_f32_e32 v114, v114, v115
	buffer_store_dword v114, off, s[0:3], 0 offset:196
.LBB118_1018:
	;; [unrolled: 55-line block ×5, first 2 shown]
	s_or_b64 exec, exec, s[6:7]
	buffer_load_dword v114, off, s[0:3], 0 offset:212
	v_cmp_gt_u32_e64 s[6:7], 53, v0
	s_waitcnt vmcnt(0)
	ds_write_b32 v112, v114
	s_waitcnt lgkmcnt(0)
	; wave barrier
	s_and_saveexec_b64 s[8:9], s[6:7]
	s_cbranch_execz .LBB118_1058
; %bb.1049:
	s_and_b64 vcc, exec, s[4:5]
	s_cbranch_vccnz .LBB118_1051
; %bb.1050:
	buffer_load_dword v114, v113, s[0:3], 0 offen
	ds_read_b32 v115, v112
	s_waitcnt vmcnt(0) lgkmcnt(0)
	v_mul_f32_e32 v114, v114, v115
	s_cbranch_execz .LBB118_1052
	s_branch .LBB118_1053
.LBB118_1051:
                                        ; implicit-def: $vgpr114
.LBB118_1052:
	ds_read_b32 v114, v112
.LBB118_1053:
	v_cmp_ne_u32_e32 vcc, 52, v0
	s_and_saveexec_b64 s[10:11], vcc
	s_cbranch_execz .LBB118_1057
; %bb.1054:
	s_mov_b32 s12, 0
	v_add_u32_e32 v115, 0xe4, v111
	v_add3_u32 v116, v111, s12, 4
	s_mov_b64 s[12:13], 0
	v_mov_b32_e32 v117, v0
.LBB118_1055:                           ; =>This Inner Loop Header: Depth=1
	buffer_load_dword v118, v116, s[0:3], 0 offen
	ds_read_b32 v119, v115
	v_add_u32_e32 v117, 1, v117
	v_cmp_lt_u32_e32 vcc, 51, v117
	v_add_u32_e32 v115, 4, v115
	v_add_u32_e32 v116, 4, v116
	s_or_b64 s[12:13], vcc, s[12:13]
	s_waitcnt vmcnt(0) lgkmcnt(0)
	v_fmac_f32_e32 v114, v118, v119
	s_andn2_b64 exec, exec, s[12:13]
	s_cbranch_execnz .LBB118_1055
; %bb.1056:
	s_or_b64 exec, exec, s[12:13]
.LBB118_1057:
	s_or_b64 exec, exec, s[10:11]
	v_mov_b32_e32 v115, 0
	ds_read_b32 v115, v115 offset:212
	s_waitcnt lgkmcnt(0)
	v_mul_f32_e32 v114, v114, v115
	buffer_store_dword v114, off, s[0:3], 0 offset:212
.LBB118_1058:
	s_or_b64 exec, exec, s[8:9]
	buffer_load_dword v114, off, s[0:3], 0 offset:216
	v_cmp_ne_u32_e32 vcc, 54, v0
	s_waitcnt vmcnt(0)
	ds_write_b32 v112, v114
	s_waitcnt lgkmcnt(0)
	; wave barrier
	s_and_saveexec_b64 s[8:9], vcc
	s_cbranch_execz .LBB118_1068
; %bb.1059:
	s_and_b64 vcc, exec, s[4:5]
	s_cbranch_vccnz .LBB118_1061
; %bb.1060:
	buffer_load_dword v113, v113, s[0:3], 0 offen
	ds_read_b32 v114, v112
	s_waitcnt vmcnt(0) lgkmcnt(0)
	v_mul_f32_e32 v113, v113, v114
	s_cbranch_execz .LBB118_1062
	s_branch .LBB118_1063
.LBB118_1061:
                                        ; implicit-def: $vgpr113
.LBB118_1062:
	ds_read_b32 v113, v112
.LBB118_1063:
	s_and_saveexec_b64 s[4:5], s[6:7]
	s_cbranch_execz .LBB118_1067
; %bb.1064:
	s_mov_b32 s6, 0
	v_add_u32_e32 v112, 0xe4, v111
	v_add3_u32 v111, v111, s6, 4
	s_mov_b64 s[6:7], 0
.LBB118_1065:                           ; =>This Inner Loop Header: Depth=1
	buffer_load_dword v114, v111, s[0:3], 0 offen
	ds_read_b32 v115, v112
	v_add_u32_e32 v0, 1, v0
	v_cmp_lt_u32_e32 vcc, 52, v0
	v_add_u32_e32 v112, 4, v112
	v_add_u32_e32 v111, 4, v111
	s_or_b64 s[6:7], vcc, s[6:7]
	s_waitcnt vmcnt(0) lgkmcnt(0)
	v_fmac_f32_e32 v113, v114, v115
	s_andn2_b64 exec, exec, s[6:7]
	s_cbranch_execnz .LBB118_1065
; %bb.1066:
	s_or_b64 exec, exec, s[6:7]
.LBB118_1067:
	s_or_b64 exec, exec, s[4:5]
	v_mov_b32_e32 v0, 0
	ds_read_b32 v0, v0 offset:216
	s_waitcnt lgkmcnt(0)
	v_mul_f32_e32 v0, v113, v0
	buffer_store_dword v0, off, s[0:3], 0 offset:216
.LBB118_1068:
	s_or_b64 exec, exec, s[8:9]
.LBB118_1069:
	buffer_load_dword v0, off, s[0:3], 0
	s_waitcnt vmcnt(0)
	flat_store_dword v[1:2], v0
	buffer_load_dword v0, off, s[0:3], 0 offset:4
	s_waitcnt vmcnt(0)
	flat_store_dword v[3:4], v0
	buffer_load_dword v0, off, s[0:3], 0 offset:8
	;; [unrolled: 3-line block ×54, first 2 shown]
	s_waitcnt vmcnt(0)
	flat_store_dword v[109:110], v0
.LBB118_1070:
	s_endpgm
	.section	.rodata,"a",@progbits
	.p2align	6, 0x0
	.amdhsa_kernel _ZN9rocsolver6v33100L18trti2_kernel_smallILi55EfPKPfEEv13rocblas_fill_17rocblas_diagonal_T1_iil
		.amdhsa_group_segment_fixed_size 444
		.amdhsa_private_segment_fixed_size 224
		.amdhsa_kernarg_size 32
		.amdhsa_user_sgpr_count 6
		.amdhsa_user_sgpr_private_segment_buffer 1
		.amdhsa_user_sgpr_dispatch_ptr 0
		.amdhsa_user_sgpr_queue_ptr 0
		.amdhsa_user_sgpr_kernarg_segment_ptr 1
		.amdhsa_user_sgpr_dispatch_id 0
		.amdhsa_user_sgpr_flat_scratch_init 0
		.amdhsa_user_sgpr_private_segment_size 0
		.amdhsa_uses_dynamic_stack 0
		.amdhsa_system_sgpr_private_segment_wavefront_offset 1
		.amdhsa_system_sgpr_workgroup_id_x 1
		.amdhsa_system_sgpr_workgroup_id_y 0
		.amdhsa_system_sgpr_workgroup_id_z 0
		.amdhsa_system_sgpr_workgroup_info 0
		.amdhsa_system_vgpr_workitem_id 0
		.amdhsa_next_free_vgpr 120
		.amdhsa_next_free_sgpr 68
		.amdhsa_reserve_vcc 1
		.amdhsa_reserve_flat_scratch 0
		.amdhsa_float_round_mode_32 0
		.amdhsa_float_round_mode_16_64 0
		.amdhsa_float_denorm_mode_32 3
		.amdhsa_float_denorm_mode_16_64 3
		.amdhsa_dx10_clamp 1
		.amdhsa_ieee_mode 1
		.amdhsa_fp16_overflow 0
		.amdhsa_exception_fp_ieee_invalid_op 0
		.amdhsa_exception_fp_denorm_src 0
		.amdhsa_exception_fp_ieee_div_zero 0
		.amdhsa_exception_fp_ieee_overflow 0
		.amdhsa_exception_fp_ieee_underflow 0
		.amdhsa_exception_fp_ieee_inexact 0
		.amdhsa_exception_int_div_zero 0
	.end_amdhsa_kernel
	.section	.text._ZN9rocsolver6v33100L18trti2_kernel_smallILi55EfPKPfEEv13rocblas_fill_17rocblas_diagonal_T1_iil,"axG",@progbits,_ZN9rocsolver6v33100L18trti2_kernel_smallILi55EfPKPfEEv13rocblas_fill_17rocblas_diagonal_T1_iil,comdat
.Lfunc_end118:
	.size	_ZN9rocsolver6v33100L18trti2_kernel_smallILi55EfPKPfEEv13rocblas_fill_17rocblas_diagonal_T1_iil, .Lfunc_end118-_ZN9rocsolver6v33100L18trti2_kernel_smallILi55EfPKPfEEv13rocblas_fill_17rocblas_diagonal_T1_iil
                                        ; -- End function
	.set _ZN9rocsolver6v33100L18trti2_kernel_smallILi55EfPKPfEEv13rocblas_fill_17rocblas_diagonal_T1_iil.num_vgpr, 120
	.set _ZN9rocsolver6v33100L18trti2_kernel_smallILi55EfPKPfEEv13rocblas_fill_17rocblas_diagonal_T1_iil.num_agpr, 0
	.set _ZN9rocsolver6v33100L18trti2_kernel_smallILi55EfPKPfEEv13rocblas_fill_17rocblas_diagonal_T1_iil.numbered_sgpr, 68
	.set _ZN9rocsolver6v33100L18trti2_kernel_smallILi55EfPKPfEEv13rocblas_fill_17rocblas_diagonal_T1_iil.num_named_barrier, 0
	.set _ZN9rocsolver6v33100L18trti2_kernel_smallILi55EfPKPfEEv13rocblas_fill_17rocblas_diagonal_T1_iil.private_seg_size, 224
	.set _ZN9rocsolver6v33100L18trti2_kernel_smallILi55EfPKPfEEv13rocblas_fill_17rocblas_diagonal_T1_iil.uses_vcc, 1
	.set _ZN9rocsolver6v33100L18trti2_kernel_smallILi55EfPKPfEEv13rocblas_fill_17rocblas_diagonal_T1_iil.uses_flat_scratch, 0
	.set _ZN9rocsolver6v33100L18trti2_kernel_smallILi55EfPKPfEEv13rocblas_fill_17rocblas_diagonal_T1_iil.has_dyn_sized_stack, 0
	.set _ZN9rocsolver6v33100L18trti2_kernel_smallILi55EfPKPfEEv13rocblas_fill_17rocblas_diagonal_T1_iil.has_recursion, 0
	.set _ZN9rocsolver6v33100L18trti2_kernel_smallILi55EfPKPfEEv13rocblas_fill_17rocblas_diagonal_T1_iil.has_indirect_call, 0
	.section	.AMDGPU.csdata,"",@progbits
; Kernel info:
; codeLenInByte = 26768
; TotalNumSgprs: 72
; NumVgprs: 120
; ScratchSize: 224
; MemoryBound: 0
; FloatMode: 240
; IeeeMode: 1
; LDSByteSize: 444 bytes/workgroup (compile time only)
; SGPRBlocks: 8
; VGPRBlocks: 29
; NumSGPRsForWavesPerEU: 72
; NumVGPRsForWavesPerEU: 120
; Occupancy: 2
; WaveLimiterHint : 1
; COMPUTE_PGM_RSRC2:SCRATCH_EN: 1
; COMPUTE_PGM_RSRC2:USER_SGPR: 6
; COMPUTE_PGM_RSRC2:TRAP_HANDLER: 0
; COMPUTE_PGM_RSRC2:TGID_X_EN: 1
; COMPUTE_PGM_RSRC2:TGID_Y_EN: 0
; COMPUTE_PGM_RSRC2:TGID_Z_EN: 0
; COMPUTE_PGM_RSRC2:TIDIG_COMP_CNT: 0
	.section	.text._ZN9rocsolver6v33100L18trti2_kernel_smallILi56EfPKPfEEv13rocblas_fill_17rocblas_diagonal_T1_iil,"axG",@progbits,_ZN9rocsolver6v33100L18trti2_kernel_smallILi56EfPKPfEEv13rocblas_fill_17rocblas_diagonal_T1_iil,comdat
	.globl	_ZN9rocsolver6v33100L18trti2_kernel_smallILi56EfPKPfEEv13rocblas_fill_17rocblas_diagonal_T1_iil ; -- Begin function _ZN9rocsolver6v33100L18trti2_kernel_smallILi56EfPKPfEEv13rocblas_fill_17rocblas_diagonal_T1_iil
	.p2align	8
	.type	_ZN9rocsolver6v33100L18trti2_kernel_smallILi56EfPKPfEEv13rocblas_fill_17rocblas_diagonal_T1_iil,@function
_ZN9rocsolver6v33100L18trti2_kernel_smallILi56EfPKPfEEv13rocblas_fill_17rocblas_diagonal_T1_iil: ; @_ZN9rocsolver6v33100L18trti2_kernel_smallILi56EfPKPfEEv13rocblas_fill_17rocblas_diagonal_T1_iil
; %bb.0:
	s_add_u32 s0, s0, s7
	s_addc_u32 s1, s1, 0
	v_cmp_gt_u32_e32 vcc, 56, v0
	s_and_saveexec_b64 s[8:9], vcc
	s_cbranch_execz .LBB119_1090
; %bb.1:
	s_load_dwordx2 s[12:13], s[4:5], 0x10
	s_load_dwordx4 s[8:11], s[4:5], 0x0
	s_ashr_i32 s7, s6, 31
	s_lshl_b64 s[6:7], s[6:7], 3
	v_lshlrev_b32_e32 v113, 2, v0
	s_waitcnt lgkmcnt(0)
	s_ashr_i32 s5, s12, 31
	s_add_u32 s6, s10, s6
	s_addc_u32 s7, s11, s7
	s_load_dwordx2 s[6:7], s[6:7], 0x0
	s_mov_b32 s4, s12
	s_lshl_b64 s[4:5], s[4:5], 2
	s_movk_i32 s12, 0x84
	s_waitcnt lgkmcnt(0)
	s_add_u32 s4, s6, s4
	s_addc_u32 s5, s7, s5
	v_mov_b32_e32 v2, s5
	v_add_co_u32_e32 v1, vcc, s4, v113
	v_addc_co_u32_e32 v2, vcc, 0, v2, vcc
	flat_load_dword v5, v[1:2]
	s_mov_b32 s6, s13
	s_ashr_i32 s7, s13, 31
	s_lshl_b64 s[6:7], s[6:7], 2
	v_mov_b32_e32 v4, s7
	v_add_co_u32_e32 v3, vcc, s6, v1
	v_addc_co_u32_e32 v4, vcc, v2, v4, vcc
	s_add_i32 s6, s13, s13
	v_add_u32_e32 v7, s6, v0
	v_ashrrev_i32_e32 v8, 31, v7
	v_mov_b32_e32 v10, s5
	v_mov_b32_e32 v12, s5
	;; [unrolled: 1-line block ×53, first 2 shown]
	s_cmpk_lg_i32 s9, 0x84
	s_cselect_b64 s[10:11], -1, 0
	s_cmpk_eq_i32 s9, 0x84
	s_waitcnt vmcnt(0) lgkmcnt(0)
	buffer_store_dword v5, off, s[0:3], 0
	flat_load_dword v9, v[3:4]
	v_lshlrev_b64 v[5:6], 2, v[7:8]
	v_add_co_u32_e32 v5, vcc, s4, v5
	v_addc_co_u32_e32 v6, vcc, v10, v6, vcc
	s_waitcnt vmcnt(0) lgkmcnt(0)
	buffer_store_dword v9, off, s[0:3], 0 offset:4
	flat_load_dword v11, v[5:6]
	v_add_u32_e32 v9, s13, v7
	v_ashrrev_i32_e32 v10, 31, v9
	v_lshlrev_b64 v[7:8], 2, v[9:10]
	v_add_co_u32_e32 v7, vcc, s4, v7
	v_addc_co_u32_e32 v8, vcc, v12, v8, vcc
	s_waitcnt vmcnt(0) lgkmcnt(0)
	buffer_store_dword v11, off, s[0:3], 0 offset:8
	flat_load_dword v13, v[7:8]
	v_add_u32_e32 v11, s13, v9
	v_ashrrev_i32_e32 v12, 31, v11
	;; [unrolled: 8-line block ×52, first 2 shown]
	v_lshlrev_b64 v[109:110], 2, v[111:112]
	v_add_u32_e32 v111, s13, v111
	v_add_co_u32_e32 v109, vcc, s4, v109
	v_addc_co_u32_e32 v110, vcc, v115, v110, vcc
	v_ashrrev_i32_e32 v112, 31, v111
	v_lshlrev_b64 v[111:112], 2, v[111:112]
	v_add_co_u32_e32 v111, vcc, s4, v111
	v_addc_co_u32_e32 v112, vcc, v115, v112, vcc
	s_waitcnt vmcnt(0) lgkmcnt(0)
	buffer_store_dword v114, off, s[0:3], 0 offset:212
	flat_load_dword v114, v[109:110]
	s_waitcnt vmcnt(0) lgkmcnt(0)
	buffer_store_dword v114, off, s[0:3], 0 offset:216
	flat_load_dword v114, v[111:112]
	s_waitcnt vmcnt(0) lgkmcnt(0)
	buffer_store_dword v114, off, s[0:3], 0 offset:220
	v_mov_b32_e32 v114, -1.0
	s_cbranch_scc1 .LBB119_3
; %bb.2:
	v_mov_b32_e32 v114, 0
	v_lshl_add_u32 v114, v0, 2, v114
	buffer_load_dword v115, v114, s[0:3], 0 offen
	s_waitcnt vmcnt(0)
	v_div_scale_f32 v116, s[4:5], v115, v115, 1.0
	v_div_scale_f32 v117, vcc, 1.0, v115, 1.0
	v_rcp_f32_e32 v118, v116
	v_fma_f32 v119, -v116, v118, 1.0
	v_fmac_f32_e32 v118, v119, v118
	v_mul_f32_e32 v119, v117, v118
	v_fma_f32 v120, -v116, v119, v117
	v_fmac_f32_e32 v119, v120, v118
	v_fma_f32 v116, -v116, v119, v117
	v_div_fmas_f32 v116, v116, v118, v119
	v_div_fixup_f32 v115, v116, v115, 1.0
	buffer_store_dword v115, v114, s[0:3], 0 offen
	v_xor_b32_e32 v114, 0x80000000, v115
.LBB119_3:
	ds_write_b32 v113, v114
	s_cmpk_eq_i32 s8, 0x79
	v_add_u32_e32 v114, 0xe0, v113
	v_mov_b32_e32 v115, v113
	s_mov_b64 s[4:5], -1
	s_cbranch_scc1 .LBB119_547
; %bb.4:
	buffer_load_dword v116, off, s[0:3], 0 offset:216
	s_movk_i32 s30, 0x44
	s_movk_i32 s31, 0x48
	;; [unrolled: 1-line block ×36, first 2 shown]
	v_cmp_eq_u32_e64 s[4:5], 55, v0
	s_waitcnt vmcnt(0)
	ds_write_b32 v114, v116
	s_waitcnt lgkmcnt(0)
	; wave barrier
	s_and_saveexec_b64 s[6:7], s[4:5]
	s_cbranch_execz .LBB119_10
; %bb.5:
	s_and_b64 vcc, exec, s[10:11]
	s_cbranch_vccz .LBB119_7
; %bb.6:
	buffer_load_dword v116, v115, s[0:3], 0 offen
	ds_read_b32 v117, v114
	s_waitcnt vmcnt(0) lgkmcnt(0)
	v_mul_f32_e32 v116, v116, v117
	s_cbranch_execz .LBB119_8
	s_branch .LBB119_9
.LBB119_7:
                                        ; implicit-def: $vgpr116
.LBB119_8:
	ds_read_b32 v116, v114
.LBB119_9:
	v_mov_b32_e32 v117, 0
	ds_read_b32 v117, v117 offset:216
	s_waitcnt lgkmcnt(0)
	v_mul_f32_e32 v116, v116, v117
	buffer_store_dword v116, off, s[0:3], 0 offset:216
.LBB119_10:
	s_or_b64 exec, exec, s[6:7]
	buffer_load_dword v116, off, s[0:3], 0 offset:212
	s_or_b32 s14, 0, 4
	s_or_b32 s15, 0, 8
	;; [unrolled: 1-line block ×3, first 2 shown]
	s_mov_b32 s17, 16
	s_mov_b32 s18, 20
	;; [unrolled: 1-line block ×15, first 2 shown]
	v_cmp_lt_u32_e64 s[6:7], 53, v0
	s_waitcnt vmcnt(0)
	ds_write_b32 v114, v116
	s_waitcnt lgkmcnt(0)
	; wave barrier
	s_and_saveexec_b64 s[8:9], s[6:7]
	s_cbranch_execz .LBB119_16
; %bb.11:
	s_andn2_b64 vcc, exec, s[10:11]
	s_cbranch_vccnz .LBB119_13
; %bb.12:
	buffer_load_dword v116, v115, s[0:3], 0 offen
	ds_read_b32 v117, v114
	s_waitcnt vmcnt(0) lgkmcnt(0)
	v_mul_f32_e32 v116, v116, v117
	s_cbranch_execz .LBB119_14
	s_branch .LBB119_15
.LBB119_13:
                                        ; implicit-def: $vgpr116
.LBB119_14:
	ds_read_b32 v116, v114
.LBB119_15:
	buffer_load_dword v119, off, s[0:3], 0 offset:216
	v_mov_b32_e32 v117, 0
	ds_read2_b32 v[117:118], v117 offset0:53 offset1:110
	s_waitcnt vmcnt(0) lgkmcnt(0)
	v_fma_f32 v118, v119, v118, v116
	v_cndmask_b32_e64 v116, v116, v118, s[4:5]
	v_mul_f32_e32 v116, v116, v117
	buffer_store_dword v116, off, s[0:3], 0 offset:212
.LBB119_16:
	s_or_b64 exec, exec, s[8:9]
	buffer_load_dword v116, off, s[0:3], 0 offset:208
	v_cmp_lt_u32_e64 s[4:5], 52, v0
	s_waitcnt vmcnt(0)
	ds_write_b32 v114, v116
	s_waitcnt lgkmcnt(0)
	; wave barrier
	s_and_saveexec_b64 s[8:9], s[4:5]
	s_cbranch_execz .LBB119_26
; %bb.17:
	s_andn2_b64 vcc, exec, s[10:11]
	s_cbranch_vccnz .LBB119_19
; %bb.18:
	buffer_load_dword v116, v115, s[0:3], 0 offen
	ds_read_b32 v117, v114
	s_waitcnt vmcnt(0) lgkmcnt(0)
	v_mul_f32_e32 v116, v116, v117
	s_cbranch_execz .LBB119_20
	s_branch .LBB119_21
.LBB119_19:
                                        ; implicit-def: $vgpr116
.LBB119_20:
	ds_read_b32 v116, v114
.LBB119_21:
	s_and_saveexec_b64 s[12:13], s[6:7]
	s_cbranch_execz .LBB119_25
; %bb.22:
	v_subrev_u32_e32 v117, 53, v0
	s_movk_i32 s68, 0x1b4
	s_mov_b64 s[6:7], 0
.LBB119_23:                             ; =>This Inner Loop Header: Depth=1
	v_mov_b32_e32 v118, s67
	buffer_load_dword v118, v118, s[0:3], 0 offen
	v_mov_b32_e32 v119, s68
	ds_read_b32 v119, v119
	v_add_u32_e32 v117, -1, v117
	s_add_i32 s68, s68, 4
	s_add_i32 s67, s67, 4
	v_cmp_eq_u32_e32 vcc, 0, v117
	s_or_b64 s[6:7], vcc, s[6:7]
	s_waitcnt vmcnt(0) lgkmcnt(0)
	v_fmac_f32_e32 v116, v118, v119
	s_andn2_b64 exec, exec, s[6:7]
	s_cbranch_execnz .LBB119_23
; %bb.24:
	s_or_b64 exec, exec, s[6:7]
.LBB119_25:
	s_or_b64 exec, exec, s[12:13]
	v_mov_b32_e32 v117, 0
	ds_read_b32 v117, v117 offset:208
	s_waitcnt lgkmcnt(0)
	v_mul_f32_e32 v116, v116, v117
	buffer_store_dword v116, off, s[0:3], 0 offset:208
.LBB119_26:
	s_or_b64 exec, exec, s[8:9]
	buffer_load_dword v116, off, s[0:3], 0 offset:204
	v_cmp_lt_u32_e64 s[6:7], 51, v0
	s_waitcnt vmcnt(0)
	ds_write_b32 v114, v116
	s_waitcnt lgkmcnt(0)
	; wave barrier
	s_and_saveexec_b64 s[8:9], s[6:7]
	s_cbranch_execz .LBB119_36
; %bb.27:
	s_andn2_b64 vcc, exec, s[10:11]
	s_cbranch_vccnz .LBB119_29
; %bb.28:
	buffer_load_dword v116, v115, s[0:3], 0 offen
	ds_read_b32 v117, v114
	s_waitcnt vmcnt(0) lgkmcnt(0)
	v_mul_f32_e32 v116, v116, v117
	s_cbranch_execz .LBB119_30
	s_branch .LBB119_31
.LBB119_29:
                                        ; implicit-def: $vgpr116
.LBB119_30:
	ds_read_b32 v116, v114
.LBB119_31:
	s_and_saveexec_b64 s[12:13], s[4:5]
	s_cbranch_execz .LBB119_35
; %bb.32:
	v_subrev_u32_e32 v117, 52, v0
	s_movk_i32 s67, 0x1b0
	s_mov_b64 s[4:5], 0
.LBB119_33:                             ; =>This Inner Loop Header: Depth=1
	v_mov_b32_e32 v118, s66
	buffer_load_dword v118, v118, s[0:3], 0 offen
	v_mov_b32_e32 v119, s67
	ds_read_b32 v119, v119
	v_add_u32_e32 v117, -1, v117
	s_add_i32 s67, s67, 4
	s_add_i32 s66, s66, 4
	v_cmp_eq_u32_e32 vcc, 0, v117
	s_or_b64 s[4:5], vcc, s[4:5]
	s_waitcnt vmcnt(0) lgkmcnt(0)
	v_fmac_f32_e32 v116, v118, v119
	s_andn2_b64 exec, exec, s[4:5]
	s_cbranch_execnz .LBB119_33
; %bb.34:
	s_or_b64 exec, exec, s[4:5]
.LBB119_35:
	s_or_b64 exec, exec, s[12:13]
	v_mov_b32_e32 v117, 0
	ds_read_b32 v117, v117 offset:204
	s_waitcnt lgkmcnt(0)
	v_mul_f32_e32 v116, v116, v117
	buffer_store_dword v116, off, s[0:3], 0 offset:204
.LBB119_36:
	;; [unrolled: 54-line block ×8, first 2 shown]
	s_or_b64 exec, exec, s[8:9]
	buffer_load_dword v116, off, s[0:3], 0 offset:176
	v_cmp_lt_u32_e64 s[4:5], 44, v0
	s_waitcnt vmcnt(0)
	ds_write_b32 v114, v116
	s_waitcnt lgkmcnt(0)
	; wave barrier
	s_and_saveexec_b64 s[8:9], s[4:5]
	s_cbranch_execz .LBB119_106
; %bb.97:
	s_andn2_b64 vcc, exec, s[10:11]
	s_cbranch_vccnz .LBB119_99
; %bb.98:
	buffer_load_dword v116, v115, s[0:3], 0 offen
	ds_read_b32 v117, v114
	s_waitcnt vmcnt(0) lgkmcnt(0)
	v_mul_f32_e32 v116, v116, v117
	s_cbranch_execz .LBB119_100
	s_branch .LBB119_101
.LBB119_99:
                                        ; implicit-def: $vgpr116
.LBB119_100:
	ds_read_b32 v116, v114
.LBB119_101:
	s_and_saveexec_b64 s[12:13], s[6:7]
	s_cbranch_execz .LBB119_105
; %bb.102:
	v_subrev_u32_e32 v117, 45, v0
	s_movk_i32 s60, 0x194
	s_mov_b64 s[6:7], 0
.LBB119_103:                            ; =>This Inner Loop Header: Depth=1
	v_mov_b32_e32 v118, s59
	buffer_load_dword v118, v118, s[0:3], 0 offen
	v_mov_b32_e32 v119, s60
	ds_read_b32 v119, v119
	v_add_u32_e32 v117, -1, v117
	s_add_i32 s60, s60, 4
	s_add_i32 s59, s59, 4
	v_cmp_eq_u32_e32 vcc, 0, v117
	s_or_b64 s[6:7], vcc, s[6:7]
	s_waitcnt vmcnt(0) lgkmcnt(0)
	v_fmac_f32_e32 v116, v118, v119
	s_andn2_b64 exec, exec, s[6:7]
	s_cbranch_execnz .LBB119_103
; %bb.104:
	s_or_b64 exec, exec, s[6:7]
.LBB119_105:
	s_or_b64 exec, exec, s[12:13]
	v_mov_b32_e32 v117, 0
	ds_read_b32 v117, v117 offset:176
	s_waitcnt lgkmcnt(0)
	v_mul_f32_e32 v116, v116, v117
	buffer_store_dword v116, off, s[0:3], 0 offset:176
.LBB119_106:
	s_or_b64 exec, exec, s[8:9]
	buffer_load_dword v116, off, s[0:3], 0 offset:172
	v_cmp_lt_u32_e64 s[6:7], 43, v0
	s_waitcnt vmcnt(0)
	ds_write_b32 v114, v116
	s_waitcnt lgkmcnt(0)
	; wave barrier
	s_and_saveexec_b64 s[8:9], s[6:7]
	s_cbranch_execz .LBB119_116
; %bb.107:
	s_andn2_b64 vcc, exec, s[10:11]
	s_cbranch_vccnz .LBB119_109
; %bb.108:
	buffer_load_dword v116, v115, s[0:3], 0 offen
	ds_read_b32 v117, v114
	s_waitcnt vmcnt(0) lgkmcnt(0)
	v_mul_f32_e32 v116, v116, v117
	s_cbranch_execz .LBB119_110
	s_branch .LBB119_111
.LBB119_109:
                                        ; implicit-def: $vgpr116
.LBB119_110:
	ds_read_b32 v116, v114
.LBB119_111:
	s_and_saveexec_b64 s[12:13], s[4:5]
	s_cbranch_execz .LBB119_115
; %bb.112:
	v_subrev_u32_e32 v117, 44, v0
	s_movk_i32 s59, 0x190
	s_mov_b64 s[4:5], 0
.LBB119_113:                            ; =>This Inner Loop Header: Depth=1
	v_mov_b32_e32 v118, s58
	buffer_load_dword v118, v118, s[0:3], 0 offen
	v_mov_b32_e32 v119, s59
	ds_read_b32 v119, v119
	v_add_u32_e32 v117, -1, v117
	s_add_i32 s59, s59, 4
	s_add_i32 s58, s58, 4
	v_cmp_eq_u32_e32 vcc, 0, v117
	s_or_b64 s[4:5], vcc, s[4:5]
	s_waitcnt vmcnt(0) lgkmcnt(0)
	v_fmac_f32_e32 v116, v118, v119
	s_andn2_b64 exec, exec, s[4:5]
	s_cbranch_execnz .LBB119_113
; %bb.114:
	s_or_b64 exec, exec, s[4:5]
.LBB119_115:
	s_or_b64 exec, exec, s[12:13]
	v_mov_b32_e32 v117, 0
	ds_read_b32 v117, v117 offset:172
	s_waitcnt lgkmcnt(0)
	v_mul_f32_e32 v116, v116, v117
	buffer_store_dword v116, off, s[0:3], 0 offset:172
.LBB119_116:
	;; [unrolled: 54-line block ×29, first 2 shown]
	s_or_b64 exec, exec, s[8:9]
	buffer_load_dword v116, off, s[0:3], 0 offset:60
	v_cmp_lt_u32_e64 s[6:7], 15, v0
	s_waitcnt vmcnt(0)
	ds_write_b32 v114, v116
	s_waitcnt lgkmcnt(0)
	; wave barrier
	s_and_saveexec_b64 s[8:9], s[6:7]
	s_cbranch_execz .LBB119_396
; %bb.387:
	s_andn2_b64 vcc, exec, s[10:11]
	s_cbranch_vccnz .LBB119_389
; %bb.388:
	buffer_load_dword v116, v115, s[0:3], 0 offen
	ds_read_b32 v117, v114
	s_waitcnt vmcnt(0) lgkmcnt(0)
	v_mul_f32_e32 v116, v116, v117
	s_cbranch_execz .LBB119_390
	s_branch .LBB119_391
.LBB119_389:
                                        ; implicit-def: $vgpr116
.LBB119_390:
	ds_read_b32 v116, v114
.LBB119_391:
	s_and_saveexec_b64 s[12:13], s[4:5]
	s_cbranch_execz .LBB119_395
; %bb.392:
	v_add_u32_e32 v117, -16, v0
	s_movk_i32 s30, 0x120
	s_mov_b64 s[4:5], 0
.LBB119_393:                            ; =>This Inner Loop Header: Depth=1
	v_mov_b32_e32 v118, s29
	buffer_load_dword v118, v118, s[0:3], 0 offen
	v_mov_b32_e32 v119, s30
	ds_read_b32 v119, v119
	v_add_u32_e32 v117, -1, v117
	s_add_i32 s30, s30, 4
	s_add_i32 s29, s29, 4
	v_cmp_eq_u32_e32 vcc, 0, v117
	s_or_b64 s[4:5], vcc, s[4:5]
	s_waitcnt vmcnt(0) lgkmcnt(0)
	v_fmac_f32_e32 v116, v118, v119
	s_andn2_b64 exec, exec, s[4:5]
	s_cbranch_execnz .LBB119_393
; %bb.394:
	s_or_b64 exec, exec, s[4:5]
.LBB119_395:
	s_or_b64 exec, exec, s[12:13]
	v_mov_b32_e32 v117, 0
	ds_read_b32 v117, v117 offset:60
	s_waitcnt lgkmcnt(0)
	v_mul_f32_e32 v116, v116, v117
	buffer_store_dword v116, off, s[0:3], 0 offset:60
.LBB119_396:
	s_or_b64 exec, exec, s[8:9]
	buffer_load_dword v116, off, s[0:3], 0 offset:56
	v_cmp_lt_u32_e64 s[4:5], 14, v0
	s_waitcnt vmcnt(0)
	ds_write_b32 v114, v116
	s_waitcnt lgkmcnt(0)
	; wave barrier
	s_and_saveexec_b64 s[8:9], s[4:5]
	s_cbranch_execz .LBB119_406
; %bb.397:
	s_andn2_b64 vcc, exec, s[10:11]
	s_cbranch_vccnz .LBB119_399
; %bb.398:
	buffer_load_dword v116, v115, s[0:3], 0 offen
	ds_read_b32 v117, v114
	s_waitcnt vmcnt(0) lgkmcnt(0)
	v_mul_f32_e32 v116, v116, v117
	s_cbranch_execz .LBB119_400
	s_branch .LBB119_401
.LBB119_399:
                                        ; implicit-def: $vgpr116
.LBB119_400:
	ds_read_b32 v116, v114
.LBB119_401:
	s_and_saveexec_b64 s[12:13], s[6:7]
	s_cbranch_execz .LBB119_405
; %bb.402:
	v_add_u32_e32 v117, -15, v0
	s_movk_i32 s29, 0x11c
	s_mov_b64 s[6:7], 0
.LBB119_403:                            ; =>This Inner Loop Header: Depth=1
	v_mov_b32_e32 v118, s28
	buffer_load_dword v118, v118, s[0:3], 0 offen
	v_mov_b32_e32 v119, s29
	ds_read_b32 v119, v119
	v_add_u32_e32 v117, -1, v117
	s_add_i32 s29, s29, 4
	s_add_i32 s28, s28, 4
	v_cmp_eq_u32_e32 vcc, 0, v117
	s_or_b64 s[6:7], vcc, s[6:7]
	s_waitcnt vmcnt(0) lgkmcnt(0)
	v_fmac_f32_e32 v116, v118, v119
	s_andn2_b64 exec, exec, s[6:7]
	s_cbranch_execnz .LBB119_403
; %bb.404:
	s_or_b64 exec, exec, s[6:7]
.LBB119_405:
	s_or_b64 exec, exec, s[12:13]
	v_mov_b32_e32 v117, 0
	ds_read_b32 v117, v117 offset:56
	s_waitcnt lgkmcnt(0)
	v_mul_f32_e32 v116, v116, v117
	buffer_store_dword v116, off, s[0:3], 0 offset:56
.LBB119_406:
	;; [unrolled: 54-line block ×15, first 2 shown]
	s_or_b64 exec, exec, s[8:9]
	buffer_load_dword v116, off, s[0:3], 0
	v_cmp_ne_u32_e32 vcc, 0, v0
	s_waitcnt vmcnt(0)
	ds_write_b32 v114, v116
	s_waitcnt lgkmcnt(0)
	; wave barrier
	s_and_saveexec_b64 s[4:5], vcc
	s_cbranch_execz .LBB119_546
; %bb.537:
	s_andn2_b64 vcc, exec, s[10:11]
	s_cbranch_vccnz .LBB119_539
; %bb.538:
	buffer_load_dword v116, v115, s[0:3], 0 offen
	ds_read_b32 v117, v114
	s_waitcnt vmcnt(0) lgkmcnt(0)
	v_mul_f32_e32 v116, v116, v117
	s_cbranch_execz .LBB119_540
	s_branch .LBB119_541
.LBB119_539:
                                        ; implicit-def: $vgpr116
.LBB119_540:
	ds_read_b32 v116, v114
.LBB119_541:
	s_and_saveexec_b64 s[8:9], s[6:7]
	s_cbranch_execz .LBB119_545
; %bb.542:
	v_add_u32_e32 v117, -1, v0
	s_movk_i32 s12, 0xe4
	s_mov_b64 s[6:7], 0
.LBB119_543:                            ; =>This Inner Loop Header: Depth=1
	v_mov_b32_e32 v118, s14
	buffer_load_dword v118, v118, s[0:3], 0 offen
	v_mov_b32_e32 v119, s12
	ds_read_b32 v119, v119
	v_add_u32_e32 v117, -1, v117
	s_add_i32 s12, s12, 4
	s_add_i32 s14, s14, 4
	v_cmp_eq_u32_e32 vcc, 0, v117
	s_or_b64 s[6:7], vcc, s[6:7]
	s_waitcnt vmcnt(0) lgkmcnt(0)
	v_fmac_f32_e32 v116, v118, v119
	s_andn2_b64 exec, exec, s[6:7]
	s_cbranch_execnz .LBB119_543
; %bb.544:
	s_or_b64 exec, exec, s[6:7]
.LBB119_545:
	s_or_b64 exec, exec, s[8:9]
	v_mov_b32_e32 v117, 0
	ds_read_b32 v117, v117
	s_waitcnt lgkmcnt(0)
	v_mul_f32_e32 v116, v116, v117
	buffer_store_dword v116, off, s[0:3], 0
.LBB119_546:
	s_or_b64 exec, exec, s[4:5]
	s_mov_b64 s[4:5], 0
.LBB119_547:
	s_and_b64 vcc, exec, s[4:5]
	s_cbranch_vccz .LBB119_1089
; %bb.548:
	buffer_load_dword v116, off, s[0:3], 0 offset:4
	v_cmp_eq_u32_e64 s[6:7], 0, v0
	s_waitcnt vmcnt(0)
	ds_write_b32 v114, v116
	s_waitcnt lgkmcnt(0)
	; wave barrier
	s_and_saveexec_b64 s[4:5], s[6:7]
	s_cbranch_execz .LBB119_554
; %bb.549:
	s_and_b64 vcc, exec, s[10:11]
	s_cbranch_vccz .LBB119_551
; %bb.550:
	buffer_load_dword v116, v115, s[0:3], 0 offen
	ds_read_b32 v117, v114
	s_waitcnt vmcnt(0) lgkmcnt(0)
	v_mul_f32_e32 v116, v116, v117
	s_cbranch_execz .LBB119_552
	s_branch .LBB119_553
.LBB119_551:
                                        ; implicit-def: $vgpr116
.LBB119_552:
	ds_read_b32 v116, v114
.LBB119_553:
	v_mov_b32_e32 v117, 0
	ds_read_b32 v117, v117 offset:4
	s_waitcnt lgkmcnt(0)
	v_mul_f32_e32 v116, v116, v117
	buffer_store_dword v116, off, s[0:3], 0 offset:4
.LBB119_554:
	s_or_b64 exec, exec, s[4:5]
	buffer_load_dword v116, off, s[0:3], 0 offset:8
	v_cndmask_b32_e64 v117, 0, 1, s[10:11]
	v_cmp_gt_u32_e32 vcc, 2, v0
	v_cmp_ne_u32_e64 s[4:5], 1, v117
	s_waitcnt vmcnt(0)
	ds_write_b32 v114, v116
	s_waitcnt lgkmcnt(0)
	; wave barrier
	s_and_saveexec_b64 s[8:9], vcc
	s_cbranch_execz .LBB119_560
; %bb.555:
	s_and_b64 vcc, exec, s[4:5]
	s_cbranch_vccnz .LBB119_557
; %bb.556:
	buffer_load_dword v116, v115, s[0:3], 0 offen
	ds_read_b32 v117, v114
	s_waitcnt vmcnt(0) lgkmcnt(0)
	v_mul_f32_e32 v116, v116, v117
	s_cbranch_execz .LBB119_558
	s_branch .LBB119_559
.LBB119_557:
                                        ; implicit-def: $vgpr116
.LBB119_558:
	ds_read_b32 v116, v114
.LBB119_559:
	buffer_load_dword v119, off, s[0:3], 0 offset:4
	v_mov_b32_e32 v117, 0
	ds_read2_b32 v[117:118], v117 offset0:2 offset1:57
	s_waitcnt vmcnt(0) lgkmcnt(0)
	v_fma_f32 v118, v119, v118, v116
	v_cndmask_b32_e64 v116, v116, v118, s[6:7]
	v_mul_f32_e32 v116, v116, v117
	buffer_store_dword v116, off, s[0:3], 0 offset:8
.LBB119_560:
	s_or_b64 exec, exec, s[8:9]
	buffer_load_dword v116, off, s[0:3], 0 offset:12
	v_cmp_gt_u32_e32 vcc, 3, v0
	s_waitcnt vmcnt(0)
	ds_write_b32 v114, v116
	s_waitcnt lgkmcnt(0)
	; wave barrier
	s_and_saveexec_b64 s[8:9], vcc
	s_cbranch_execz .LBB119_568
; %bb.561:
	s_and_b64 vcc, exec, s[4:5]
	s_cbranch_vccnz .LBB119_563
; %bb.562:
	buffer_load_dword v116, v115, s[0:3], 0 offen
	ds_read_b32 v117, v114
	s_waitcnt vmcnt(0) lgkmcnt(0)
	v_mul_f32_e32 v116, v116, v117
	s_cbranch_execz .LBB119_564
	s_branch .LBB119_565
.LBB119_563:
                                        ; implicit-def: $vgpr116
.LBB119_564:
	ds_read_b32 v116, v114
.LBB119_565:
	v_cmp_ne_u32_e32 vcc, 2, v0
	s_and_saveexec_b64 s[10:11], vcc
	s_cbranch_execz .LBB119_567
; %bb.566:
	buffer_load_dword v117, v115, s[0:3], 0 offen offset:4
	buffer_load_dword v118, off, s[0:3], 0 offset:8
	v_mov_b32_e32 v119, 0
	ds_read_b32 v120, v114 offset:4
	ds_read_b32 v119, v119 offset:232
	s_waitcnt vmcnt(1) lgkmcnt(1)
	v_fmac_f32_e32 v116, v117, v120
	s_waitcnt vmcnt(0) lgkmcnt(0)
	v_fma_f32 v117, v118, v119, v116
	v_cndmask_b32_e64 v116, v116, v117, s[6:7]
.LBB119_567:
	s_or_b64 exec, exec, s[10:11]
	v_mov_b32_e32 v117, 0
	ds_read_b32 v117, v117 offset:12
	s_waitcnt lgkmcnt(0)
	v_mul_f32_e32 v116, v116, v117
	buffer_store_dword v116, off, s[0:3], 0 offset:12
.LBB119_568:
	s_or_b64 exec, exec, s[8:9]
	buffer_load_dword v116, off, s[0:3], 0 offset:16
	v_cmp_gt_u32_e32 vcc, 4, v0
	s_waitcnt vmcnt(0)
	ds_write_b32 v114, v116
	s_waitcnt lgkmcnt(0)
	; wave barrier
	s_and_saveexec_b64 s[6:7], vcc
	s_cbranch_execz .LBB119_578
; %bb.569:
	s_and_b64 vcc, exec, s[4:5]
	s_cbranch_vccnz .LBB119_571
; %bb.570:
	buffer_load_dword v116, v115, s[0:3], 0 offen
	ds_read_b32 v117, v114
	s_waitcnt vmcnt(0) lgkmcnt(0)
	v_mul_f32_e32 v116, v116, v117
	s_cbranch_execz .LBB119_572
	s_branch .LBB119_573
.LBB119_571:
                                        ; implicit-def: $vgpr116
.LBB119_572:
	ds_read_b32 v116, v114
.LBB119_573:
	v_cmp_ne_u32_e32 vcc, 3, v0
	s_and_saveexec_b64 s[8:9], vcc
	s_cbranch_execz .LBB119_577
; %bb.574:
	s_mov_b32 s10, 0
	v_add_u32_e32 v117, 0xe4, v113
	v_add3_u32 v118, v113, s10, 4
	s_mov_b64 s[10:11], 0
	v_mov_b32_e32 v119, v0
.LBB119_575:                            ; =>This Inner Loop Header: Depth=1
	buffer_load_dword v120, v118, s[0:3], 0 offen
	ds_read_b32 v121, v117
	v_add_u32_e32 v119, 1, v119
	v_cmp_lt_u32_e32 vcc, 2, v119
	v_add_u32_e32 v117, 4, v117
	v_add_u32_e32 v118, 4, v118
	s_or_b64 s[10:11], vcc, s[10:11]
	s_waitcnt vmcnt(0) lgkmcnt(0)
	v_fmac_f32_e32 v116, v120, v121
	s_andn2_b64 exec, exec, s[10:11]
	s_cbranch_execnz .LBB119_575
; %bb.576:
	s_or_b64 exec, exec, s[10:11]
.LBB119_577:
	s_or_b64 exec, exec, s[8:9]
	v_mov_b32_e32 v117, 0
	ds_read_b32 v117, v117 offset:16
	s_waitcnt lgkmcnt(0)
	v_mul_f32_e32 v116, v116, v117
	buffer_store_dword v116, off, s[0:3], 0 offset:16
.LBB119_578:
	s_or_b64 exec, exec, s[6:7]
	buffer_load_dword v116, off, s[0:3], 0 offset:20
	v_cmp_gt_u32_e32 vcc, 5, v0
	s_waitcnt vmcnt(0)
	ds_write_b32 v114, v116
	s_waitcnt lgkmcnt(0)
	; wave barrier
	s_and_saveexec_b64 s[6:7], vcc
	s_cbranch_execz .LBB119_588
; %bb.579:
	s_and_b64 vcc, exec, s[4:5]
	s_cbranch_vccnz .LBB119_581
; %bb.580:
	buffer_load_dword v116, v115, s[0:3], 0 offen
	ds_read_b32 v117, v114
	s_waitcnt vmcnt(0) lgkmcnt(0)
	v_mul_f32_e32 v116, v116, v117
	s_cbranch_execz .LBB119_582
	s_branch .LBB119_583
.LBB119_581:
                                        ; implicit-def: $vgpr116
.LBB119_582:
	ds_read_b32 v116, v114
.LBB119_583:
	v_cmp_ne_u32_e32 vcc, 4, v0
	s_and_saveexec_b64 s[8:9], vcc
	s_cbranch_execz .LBB119_587
; %bb.584:
	s_mov_b32 s10, 0
	v_add_u32_e32 v117, 0xe4, v113
	v_add3_u32 v118, v113, s10, 4
	s_mov_b64 s[10:11], 0
	v_mov_b32_e32 v119, v0
.LBB119_585:                            ; =>This Inner Loop Header: Depth=1
	buffer_load_dword v120, v118, s[0:3], 0 offen
	ds_read_b32 v121, v117
	v_add_u32_e32 v119, 1, v119
	v_cmp_lt_u32_e32 vcc, 3, v119
	v_add_u32_e32 v117, 4, v117
	v_add_u32_e32 v118, 4, v118
	s_or_b64 s[10:11], vcc, s[10:11]
	s_waitcnt vmcnt(0) lgkmcnt(0)
	v_fmac_f32_e32 v116, v120, v121
	s_andn2_b64 exec, exec, s[10:11]
	s_cbranch_execnz .LBB119_585
; %bb.586:
	s_or_b64 exec, exec, s[10:11]
.LBB119_587:
	s_or_b64 exec, exec, s[8:9]
	v_mov_b32_e32 v117, 0
	ds_read_b32 v117, v117 offset:20
	s_waitcnt lgkmcnt(0)
	v_mul_f32_e32 v116, v116, v117
	buffer_store_dword v116, off, s[0:3], 0 offset:20
.LBB119_588:
	;; [unrolled: 55-line block ×43, first 2 shown]
	s_or_b64 exec, exec, s[6:7]
	buffer_load_dword v116, off, s[0:3], 0 offset:188
	v_cmp_gt_u32_e32 vcc, 47, v0
	s_waitcnt vmcnt(0)
	ds_write_b32 v114, v116
	s_waitcnt lgkmcnt(0)
	; wave barrier
	s_and_saveexec_b64 s[6:7], vcc
	s_cbranch_execz .LBB119_1008
; %bb.999:
	s_and_b64 vcc, exec, s[4:5]
	s_cbranch_vccnz .LBB119_1001
; %bb.1000:
	buffer_load_dword v116, v115, s[0:3], 0 offen
	ds_read_b32 v117, v114
	s_waitcnt vmcnt(0) lgkmcnt(0)
	v_mul_f32_e32 v116, v116, v117
	s_cbranch_execz .LBB119_1002
	s_branch .LBB119_1003
.LBB119_1001:
                                        ; implicit-def: $vgpr116
.LBB119_1002:
	ds_read_b32 v116, v114
.LBB119_1003:
	v_cmp_ne_u32_e32 vcc, 46, v0
	s_and_saveexec_b64 s[8:9], vcc
	s_cbranch_execz .LBB119_1007
; %bb.1004:
	s_mov_b32 s10, 0
	v_add_u32_e32 v117, 0xe4, v113
	v_add3_u32 v118, v113, s10, 4
	s_mov_b64 s[10:11], 0
	v_mov_b32_e32 v119, v0
.LBB119_1005:                           ; =>This Inner Loop Header: Depth=1
	buffer_load_dword v120, v118, s[0:3], 0 offen
	ds_read_b32 v121, v117
	v_add_u32_e32 v119, 1, v119
	v_cmp_lt_u32_e32 vcc, 45, v119
	v_add_u32_e32 v117, 4, v117
	v_add_u32_e32 v118, 4, v118
	s_or_b64 s[10:11], vcc, s[10:11]
	s_waitcnt vmcnt(0) lgkmcnt(0)
	v_fmac_f32_e32 v116, v120, v121
	s_andn2_b64 exec, exec, s[10:11]
	s_cbranch_execnz .LBB119_1005
; %bb.1006:
	s_or_b64 exec, exec, s[10:11]
.LBB119_1007:
	s_or_b64 exec, exec, s[8:9]
	v_mov_b32_e32 v117, 0
	ds_read_b32 v117, v117 offset:188
	s_waitcnt lgkmcnt(0)
	v_mul_f32_e32 v116, v116, v117
	buffer_store_dword v116, off, s[0:3], 0 offset:188
.LBB119_1008:
	s_or_b64 exec, exec, s[6:7]
	buffer_load_dword v116, off, s[0:3], 0 offset:192
	v_cmp_gt_u32_e32 vcc, 48, v0
	s_waitcnt vmcnt(0)
	ds_write_b32 v114, v116
	s_waitcnt lgkmcnt(0)
	; wave barrier
	s_and_saveexec_b64 s[6:7], vcc
	s_cbranch_execz .LBB119_1018
; %bb.1009:
	s_and_b64 vcc, exec, s[4:5]
	s_cbranch_vccnz .LBB119_1011
; %bb.1010:
	buffer_load_dword v116, v115, s[0:3], 0 offen
	ds_read_b32 v117, v114
	s_waitcnt vmcnt(0) lgkmcnt(0)
	v_mul_f32_e32 v116, v116, v117
	s_cbranch_execz .LBB119_1012
	s_branch .LBB119_1013
.LBB119_1011:
                                        ; implicit-def: $vgpr116
.LBB119_1012:
	ds_read_b32 v116, v114
.LBB119_1013:
	v_cmp_ne_u32_e32 vcc, 47, v0
	s_and_saveexec_b64 s[8:9], vcc
	s_cbranch_execz .LBB119_1017
; %bb.1014:
	s_mov_b32 s10, 0
	v_add_u32_e32 v117, 0xe4, v113
	v_add3_u32 v118, v113, s10, 4
	s_mov_b64 s[10:11], 0
	v_mov_b32_e32 v119, v0
.LBB119_1015:                           ; =>This Inner Loop Header: Depth=1
	buffer_load_dword v120, v118, s[0:3], 0 offen
	ds_read_b32 v121, v117
	v_add_u32_e32 v119, 1, v119
	v_cmp_lt_u32_e32 vcc, 46, v119
	v_add_u32_e32 v117, 4, v117
	v_add_u32_e32 v118, 4, v118
	s_or_b64 s[10:11], vcc, s[10:11]
	s_waitcnt vmcnt(0) lgkmcnt(0)
	v_fmac_f32_e32 v116, v120, v121
	s_andn2_b64 exec, exec, s[10:11]
	s_cbranch_execnz .LBB119_1015
; %bb.1016:
	s_or_b64 exec, exec, s[10:11]
.LBB119_1017:
	s_or_b64 exec, exec, s[8:9]
	v_mov_b32_e32 v117, 0
	ds_read_b32 v117, v117 offset:192
	s_waitcnt lgkmcnt(0)
	v_mul_f32_e32 v116, v116, v117
	buffer_store_dword v116, off, s[0:3], 0 offset:192
.LBB119_1018:
	;; [unrolled: 55-line block ×7, first 2 shown]
	s_or_b64 exec, exec, s[6:7]
	buffer_load_dword v116, off, s[0:3], 0 offset:216
	v_cmp_gt_u32_e64 s[6:7], 54, v0
	s_waitcnt vmcnt(0)
	ds_write_b32 v114, v116
	s_waitcnt lgkmcnt(0)
	; wave barrier
	s_and_saveexec_b64 s[8:9], s[6:7]
	s_cbranch_execz .LBB119_1078
; %bb.1069:
	s_and_b64 vcc, exec, s[4:5]
	s_cbranch_vccnz .LBB119_1071
; %bb.1070:
	buffer_load_dword v116, v115, s[0:3], 0 offen
	ds_read_b32 v117, v114
	s_waitcnt vmcnt(0) lgkmcnt(0)
	v_mul_f32_e32 v116, v116, v117
	s_cbranch_execz .LBB119_1072
	s_branch .LBB119_1073
.LBB119_1071:
                                        ; implicit-def: $vgpr116
.LBB119_1072:
	ds_read_b32 v116, v114
.LBB119_1073:
	v_cmp_ne_u32_e32 vcc, 53, v0
	s_and_saveexec_b64 s[10:11], vcc
	s_cbranch_execz .LBB119_1077
; %bb.1074:
	s_mov_b32 s12, 0
	v_add_u32_e32 v117, 0xe4, v113
	v_add3_u32 v118, v113, s12, 4
	s_mov_b64 s[12:13], 0
	v_mov_b32_e32 v119, v0
.LBB119_1075:                           ; =>This Inner Loop Header: Depth=1
	buffer_load_dword v120, v118, s[0:3], 0 offen
	ds_read_b32 v121, v117
	v_add_u32_e32 v119, 1, v119
	v_cmp_lt_u32_e32 vcc, 52, v119
	v_add_u32_e32 v117, 4, v117
	v_add_u32_e32 v118, 4, v118
	s_or_b64 s[12:13], vcc, s[12:13]
	s_waitcnt vmcnt(0) lgkmcnt(0)
	v_fmac_f32_e32 v116, v120, v121
	s_andn2_b64 exec, exec, s[12:13]
	s_cbranch_execnz .LBB119_1075
; %bb.1076:
	s_or_b64 exec, exec, s[12:13]
.LBB119_1077:
	s_or_b64 exec, exec, s[10:11]
	v_mov_b32_e32 v117, 0
	ds_read_b32 v117, v117 offset:216
	s_waitcnt lgkmcnt(0)
	v_mul_f32_e32 v116, v116, v117
	buffer_store_dword v116, off, s[0:3], 0 offset:216
.LBB119_1078:
	s_or_b64 exec, exec, s[8:9]
	buffer_load_dword v116, off, s[0:3], 0 offset:220
	v_cmp_ne_u32_e32 vcc, 55, v0
	s_waitcnt vmcnt(0)
	ds_write_b32 v114, v116
	s_waitcnt lgkmcnt(0)
	; wave barrier
	s_and_saveexec_b64 s[8:9], vcc
	s_cbranch_execz .LBB119_1088
; %bb.1079:
	s_and_b64 vcc, exec, s[4:5]
	s_cbranch_vccnz .LBB119_1081
; %bb.1080:
	buffer_load_dword v115, v115, s[0:3], 0 offen
	ds_read_b32 v116, v114
	s_waitcnt vmcnt(0) lgkmcnt(0)
	v_mul_f32_e32 v115, v115, v116
	s_cbranch_execz .LBB119_1082
	s_branch .LBB119_1083
.LBB119_1081:
                                        ; implicit-def: $vgpr115
.LBB119_1082:
	ds_read_b32 v115, v114
.LBB119_1083:
	s_and_saveexec_b64 s[4:5], s[6:7]
	s_cbranch_execz .LBB119_1087
; %bb.1084:
	s_mov_b32 s6, 0
	v_add_u32_e32 v114, 0xe4, v113
	v_add3_u32 v113, v113, s6, 4
	s_mov_b64 s[6:7], 0
.LBB119_1085:                           ; =>This Inner Loop Header: Depth=1
	buffer_load_dword v116, v113, s[0:3], 0 offen
	ds_read_b32 v117, v114
	v_add_u32_e32 v0, 1, v0
	v_cmp_lt_u32_e32 vcc, 53, v0
	v_add_u32_e32 v114, 4, v114
	v_add_u32_e32 v113, 4, v113
	s_or_b64 s[6:7], vcc, s[6:7]
	s_waitcnt vmcnt(0) lgkmcnt(0)
	v_fmac_f32_e32 v115, v116, v117
	s_andn2_b64 exec, exec, s[6:7]
	s_cbranch_execnz .LBB119_1085
; %bb.1086:
	s_or_b64 exec, exec, s[6:7]
.LBB119_1087:
	s_or_b64 exec, exec, s[4:5]
	v_mov_b32_e32 v0, 0
	ds_read_b32 v0, v0 offset:220
	s_waitcnt lgkmcnt(0)
	v_mul_f32_e32 v0, v115, v0
	buffer_store_dword v0, off, s[0:3], 0 offset:220
.LBB119_1088:
	s_or_b64 exec, exec, s[8:9]
.LBB119_1089:
	buffer_load_dword v0, off, s[0:3], 0
	s_waitcnt vmcnt(0)
	flat_store_dword v[1:2], v0
	buffer_load_dword v0, off, s[0:3], 0 offset:4
	s_waitcnt vmcnt(0)
	flat_store_dword v[3:4], v0
	buffer_load_dword v0, off, s[0:3], 0 offset:8
	;; [unrolled: 3-line block ×55, first 2 shown]
	s_waitcnt vmcnt(0)
	flat_store_dword v[111:112], v0
.LBB119_1090:
	s_endpgm
	.section	.rodata,"a",@progbits
	.p2align	6, 0x0
	.amdhsa_kernel _ZN9rocsolver6v33100L18trti2_kernel_smallILi56EfPKPfEEv13rocblas_fill_17rocblas_diagonal_T1_iil
		.amdhsa_group_segment_fixed_size 448
		.amdhsa_private_segment_fixed_size 240
		.amdhsa_kernarg_size 32
		.amdhsa_user_sgpr_count 6
		.amdhsa_user_sgpr_private_segment_buffer 1
		.amdhsa_user_sgpr_dispatch_ptr 0
		.amdhsa_user_sgpr_queue_ptr 0
		.amdhsa_user_sgpr_kernarg_segment_ptr 1
		.amdhsa_user_sgpr_dispatch_id 0
		.amdhsa_user_sgpr_flat_scratch_init 0
		.amdhsa_user_sgpr_private_segment_size 0
		.amdhsa_uses_dynamic_stack 0
		.amdhsa_system_sgpr_private_segment_wavefront_offset 1
		.amdhsa_system_sgpr_workgroup_id_x 1
		.amdhsa_system_sgpr_workgroup_id_y 0
		.amdhsa_system_sgpr_workgroup_id_z 0
		.amdhsa_system_sgpr_workgroup_info 0
		.amdhsa_system_vgpr_workitem_id 0
		.amdhsa_next_free_vgpr 122
		.amdhsa_next_free_sgpr 69
		.amdhsa_reserve_vcc 1
		.amdhsa_reserve_flat_scratch 0
		.amdhsa_float_round_mode_32 0
		.amdhsa_float_round_mode_16_64 0
		.amdhsa_float_denorm_mode_32 3
		.amdhsa_float_denorm_mode_16_64 3
		.amdhsa_dx10_clamp 1
		.amdhsa_ieee_mode 1
		.amdhsa_fp16_overflow 0
		.amdhsa_exception_fp_ieee_invalid_op 0
		.amdhsa_exception_fp_denorm_src 0
		.amdhsa_exception_fp_ieee_div_zero 0
		.amdhsa_exception_fp_ieee_overflow 0
		.amdhsa_exception_fp_ieee_underflow 0
		.amdhsa_exception_fp_ieee_inexact 0
		.amdhsa_exception_int_div_zero 0
	.end_amdhsa_kernel
	.section	.text._ZN9rocsolver6v33100L18trti2_kernel_smallILi56EfPKPfEEv13rocblas_fill_17rocblas_diagonal_T1_iil,"axG",@progbits,_ZN9rocsolver6v33100L18trti2_kernel_smallILi56EfPKPfEEv13rocblas_fill_17rocblas_diagonal_T1_iil,comdat
.Lfunc_end119:
	.size	_ZN9rocsolver6v33100L18trti2_kernel_smallILi56EfPKPfEEv13rocblas_fill_17rocblas_diagonal_T1_iil, .Lfunc_end119-_ZN9rocsolver6v33100L18trti2_kernel_smallILi56EfPKPfEEv13rocblas_fill_17rocblas_diagonal_T1_iil
                                        ; -- End function
	.set _ZN9rocsolver6v33100L18trti2_kernel_smallILi56EfPKPfEEv13rocblas_fill_17rocblas_diagonal_T1_iil.num_vgpr, 122
	.set _ZN9rocsolver6v33100L18trti2_kernel_smallILi56EfPKPfEEv13rocblas_fill_17rocblas_diagonal_T1_iil.num_agpr, 0
	.set _ZN9rocsolver6v33100L18trti2_kernel_smallILi56EfPKPfEEv13rocblas_fill_17rocblas_diagonal_T1_iil.numbered_sgpr, 69
	.set _ZN9rocsolver6v33100L18trti2_kernel_smallILi56EfPKPfEEv13rocblas_fill_17rocblas_diagonal_T1_iil.num_named_barrier, 0
	.set _ZN9rocsolver6v33100L18trti2_kernel_smallILi56EfPKPfEEv13rocblas_fill_17rocblas_diagonal_T1_iil.private_seg_size, 240
	.set _ZN9rocsolver6v33100L18trti2_kernel_smallILi56EfPKPfEEv13rocblas_fill_17rocblas_diagonal_T1_iil.uses_vcc, 1
	.set _ZN9rocsolver6v33100L18trti2_kernel_smallILi56EfPKPfEEv13rocblas_fill_17rocblas_diagonal_T1_iil.uses_flat_scratch, 0
	.set _ZN9rocsolver6v33100L18trti2_kernel_smallILi56EfPKPfEEv13rocblas_fill_17rocblas_diagonal_T1_iil.has_dyn_sized_stack, 0
	.set _ZN9rocsolver6v33100L18trti2_kernel_smallILi56EfPKPfEEv13rocblas_fill_17rocblas_diagonal_T1_iil.has_recursion, 0
	.set _ZN9rocsolver6v33100L18trti2_kernel_smallILi56EfPKPfEEv13rocblas_fill_17rocblas_diagonal_T1_iil.has_indirect_call, 0
	.section	.AMDGPU.csdata,"",@progbits
; Kernel info:
; codeLenInByte = 27264
; TotalNumSgprs: 73
; NumVgprs: 122
; ScratchSize: 240
; MemoryBound: 0
; FloatMode: 240
; IeeeMode: 1
; LDSByteSize: 448 bytes/workgroup (compile time only)
; SGPRBlocks: 9
; VGPRBlocks: 30
; NumSGPRsForWavesPerEU: 73
; NumVGPRsForWavesPerEU: 122
; Occupancy: 2
; WaveLimiterHint : 1
; COMPUTE_PGM_RSRC2:SCRATCH_EN: 1
; COMPUTE_PGM_RSRC2:USER_SGPR: 6
; COMPUTE_PGM_RSRC2:TRAP_HANDLER: 0
; COMPUTE_PGM_RSRC2:TGID_X_EN: 1
; COMPUTE_PGM_RSRC2:TGID_Y_EN: 0
; COMPUTE_PGM_RSRC2:TGID_Z_EN: 0
; COMPUTE_PGM_RSRC2:TIDIG_COMP_CNT: 0
	.section	.text._ZN9rocsolver6v33100L18trti2_kernel_smallILi57EfPKPfEEv13rocblas_fill_17rocblas_diagonal_T1_iil,"axG",@progbits,_ZN9rocsolver6v33100L18trti2_kernel_smallILi57EfPKPfEEv13rocblas_fill_17rocblas_diagonal_T1_iil,comdat
	.globl	_ZN9rocsolver6v33100L18trti2_kernel_smallILi57EfPKPfEEv13rocblas_fill_17rocblas_diagonal_T1_iil ; -- Begin function _ZN9rocsolver6v33100L18trti2_kernel_smallILi57EfPKPfEEv13rocblas_fill_17rocblas_diagonal_T1_iil
	.p2align	8
	.type	_ZN9rocsolver6v33100L18trti2_kernel_smallILi57EfPKPfEEv13rocblas_fill_17rocblas_diagonal_T1_iil,@function
_ZN9rocsolver6v33100L18trti2_kernel_smallILi57EfPKPfEEv13rocblas_fill_17rocblas_diagonal_T1_iil: ; @_ZN9rocsolver6v33100L18trti2_kernel_smallILi57EfPKPfEEv13rocblas_fill_17rocblas_diagonal_T1_iil
; %bb.0:
	s_add_u32 s0, s0, s7
	s_addc_u32 s1, s1, 0
	v_cmp_gt_u32_e32 vcc, 57, v0
	s_and_saveexec_b64 s[8:9], vcc
	s_cbranch_execz .LBB120_1110
; %bb.1:
	s_load_dwordx2 s[12:13], s[4:5], 0x10
	s_load_dwordx4 s[8:11], s[4:5], 0x0
	s_ashr_i32 s7, s6, 31
	s_lshl_b64 s[6:7], s[6:7], 3
	v_lshlrev_b32_e32 v115, 2, v0
	s_waitcnt lgkmcnt(0)
	s_ashr_i32 s5, s12, 31
	s_add_u32 s6, s10, s6
	s_addc_u32 s7, s11, s7
	s_load_dwordx2 s[6:7], s[6:7], 0x0
	s_mov_b32 s4, s12
	s_lshl_b64 s[4:5], s[4:5], 2
	s_movk_i32 s12, 0x84
	s_waitcnt lgkmcnt(0)
	s_add_u32 s4, s6, s4
	s_addc_u32 s5, s7, s5
	v_mov_b32_e32 v2, s5
	v_add_co_u32_e32 v1, vcc, s4, v115
	v_addc_co_u32_e32 v2, vcc, 0, v2, vcc
	flat_load_dword v5, v[1:2]
	s_mov_b32 s6, s13
	s_ashr_i32 s7, s13, 31
	s_lshl_b64 s[6:7], s[6:7], 2
	v_mov_b32_e32 v4, s7
	v_add_co_u32_e32 v3, vcc, s6, v1
	v_addc_co_u32_e32 v4, vcc, v2, v4, vcc
	s_add_i32 s6, s13, s13
	v_add_u32_e32 v7, s6, v0
	v_ashrrev_i32_e32 v8, 31, v7
	v_mov_b32_e32 v10, s5
	v_mov_b32_e32 v12, s5
	;; [unrolled: 1-line block ×54, first 2 shown]
	s_cmpk_lg_i32 s9, 0x84
	s_cselect_b64 s[10:11], -1, 0
	s_cmpk_eq_i32 s9, 0x84
	s_waitcnt vmcnt(0) lgkmcnt(0)
	buffer_store_dword v5, off, s[0:3], 0
	flat_load_dword v9, v[3:4]
	v_lshlrev_b64 v[5:6], 2, v[7:8]
	v_add_co_u32_e32 v5, vcc, s4, v5
	v_addc_co_u32_e32 v6, vcc, v10, v6, vcc
	s_waitcnt vmcnt(0) lgkmcnt(0)
	buffer_store_dword v9, off, s[0:3], 0 offset:4
	flat_load_dword v11, v[5:6]
	v_add_u32_e32 v9, s13, v7
	v_ashrrev_i32_e32 v10, 31, v9
	v_lshlrev_b64 v[7:8], 2, v[9:10]
	v_add_co_u32_e32 v7, vcc, s4, v7
	v_addc_co_u32_e32 v8, vcc, v12, v8, vcc
	s_waitcnt vmcnt(0) lgkmcnt(0)
	buffer_store_dword v11, off, s[0:3], 0 offset:8
	flat_load_dword v13, v[7:8]
	v_add_u32_e32 v11, s13, v9
	v_ashrrev_i32_e32 v12, 31, v11
	;; [unrolled: 8-line block ×53, first 2 shown]
	v_lshlrev_b64 v[111:112], 2, v[113:114]
	v_add_u32_e32 v113, s13, v113
	v_add_co_u32_e32 v111, vcc, s4, v111
	v_addc_co_u32_e32 v112, vcc, v117, v112, vcc
	v_ashrrev_i32_e32 v114, 31, v113
	v_lshlrev_b64 v[113:114], 2, v[113:114]
	v_add_co_u32_e32 v113, vcc, s4, v113
	v_addc_co_u32_e32 v114, vcc, v117, v114, vcc
	s_waitcnt vmcnt(0) lgkmcnt(0)
	buffer_store_dword v116, off, s[0:3], 0 offset:216
	flat_load_dword v116, v[111:112]
	s_waitcnt vmcnt(0) lgkmcnt(0)
	buffer_store_dword v116, off, s[0:3], 0 offset:220
	flat_load_dword v116, v[113:114]
	s_waitcnt vmcnt(0) lgkmcnt(0)
	buffer_store_dword v116, off, s[0:3], 0 offset:224
	v_mov_b32_e32 v116, -1.0
	s_cbranch_scc1 .LBB120_3
; %bb.2:
	v_mov_b32_e32 v116, 0
	v_lshl_add_u32 v116, v0, 2, v116
	buffer_load_dword v117, v116, s[0:3], 0 offen
	s_waitcnt vmcnt(0)
	v_div_scale_f32 v118, s[4:5], v117, v117, 1.0
	v_div_scale_f32 v119, vcc, 1.0, v117, 1.0
	v_rcp_f32_e32 v120, v118
	v_fma_f32 v121, -v118, v120, 1.0
	v_fmac_f32_e32 v120, v121, v120
	v_mul_f32_e32 v121, v119, v120
	v_fma_f32 v122, -v118, v121, v119
	v_fmac_f32_e32 v121, v122, v120
	v_fma_f32 v118, -v118, v121, v119
	v_div_fmas_f32 v118, v118, v120, v121
	v_div_fixup_f32 v117, v118, v117, 1.0
	buffer_store_dword v117, v116, s[0:3], 0 offen
	v_xor_b32_e32 v116, 0x80000000, v117
.LBB120_3:
	ds_write_b32 v115, v116
	s_cmpk_eq_i32 s8, 0x79
	v_add_u32_e32 v116, 0xf0, v115
	v_mov_b32_e32 v117, v115
	s_mov_b64 s[4:5], -1
	s_cbranch_scc1 .LBB120_557
; %bb.4:
	buffer_load_dword v118, off, s[0:3], 0 offset:220
	s_movk_i32 s30, 0x44
	s_movk_i32 s31, 0x48
	;; [unrolled: 1-line block ×37, first 2 shown]
	v_cmp_eq_u32_e64 s[4:5], 56, v0
	s_waitcnt vmcnt(0)
	ds_write_b32 v116, v118
	s_waitcnt lgkmcnt(0)
	; wave barrier
	s_and_saveexec_b64 s[6:7], s[4:5]
	s_cbranch_execz .LBB120_10
; %bb.5:
	s_and_b64 vcc, exec, s[10:11]
	s_cbranch_vccz .LBB120_7
; %bb.6:
	buffer_load_dword v118, v117, s[0:3], 0 offen
	ds_read_b32 v119, v116
	s_waitcnt vmcnt(0) lgkmcnt(0)
	v_mul_f32_e32 v118, v118, v119
	s_cbranch_execz .LBB120_8
	s_branch .LBB120_9
.LBB120_7:
                                        ; implicit-def: $vgpr118
.LBB120_8:
	ds_read_b32 v118, v116
.LBB120_9:
	v_mov_b32_e32 v119, 0
	ds_read_b32 v119, v119 offset:220
	s_waitcnt lgkmcnt(0)
	v_mul_f32_e32 v118, v118, v119
	buffer_store_dword v118, off, s[0:3], 0 offset:220
.LBB120_10:
	s_or_b64 exec, exec, s[6:7]
	buffer_load_dword v118, off, s[0:3], 0 offset:216
	s_or_b32 s14, 0, 4
	s_or_b32 s15, 0, 8
	;; [unrolled: 1-line block ×3, first 2 shown]
	s_mov_b32 s17, 16
	s_mov_b32 s18, 20
	;; [unrolled: 1-line block ×15, first 2 shown]
	v_cmp_lt_u32_e64 s[6:7], 54, v0
	s_waitcnt vmcnt(0)
	ds_write_b32 v116, v118
	s_waitcnt lgkmcnt(0)
	; wave barrier
	s_and_saveexec_b64 s[8:9], s[6:7]
	s_cbranch_execz .LBB120_16
; %bb.11:
	s_andn2_b64 vcc, exec, s[10:11]
	s_cbranch_vccnz .LBB120_13
; %bb.12:
	buffer_load_dword v118, v117, s[0:3], 0 offen
	ds_read_b32 v119, v116
	s_waitcnt vmcnt(0) lgkmcnt(0)
	v_mul_f32_e32 v118, v118, v119
	s_cbranch_execz .LBB120_14
	s_branch .LBB120_15
.LBB120_13:
                                        ; implicit-def: $vgpr118
.LBB120_14:
	ds_read_b32 v118, v116
.LBB120_15:
	buffer_load_dword v121, off, s[0:3], 0 offset:220
	v_mov_b32_e32 v119, 0
	ds_read2_b32 v[119:120], v119 offset0:54 offset1:115
	s_waitcnt vmcnt(0) lgkmcnt(0)
	v_fma_f32 v120, v121, v120, v118
	v_cndmask_b32_e64 v118, v118, v120, s[4:5]
	v_mul_f32_e32 v118, v118, v119
	buffer_store_dword v118, off, s[0:3], 0 offset:216
.LBB120_16:
	s_or_b64 exec, exec, s[8:9]
	buffer_load_dword v118, off, s[0:3], 0 offset:212
	v_cmp_lt_u32_e64 s[4:5], 53, v0
	s_waitcnt vmcnt(0)
	ds_write_b32 v116, v118
	s_waitcnt lgkmcnt(0)
	; wave barrier
	s_and_saveexec_b64 s[8:9], s[4:5]
	s_cbranch_execz .LBB120_26
; %bb.17:
	s_andn2_b64 vcc, exec, s[10:11]
	s_cbranch_vccnz .LBB120_19
; %bb.18:
	buffer_load_dword v118, v117, s[0:3], 0 offen
	ds_read_b32 v119, v116
	s_waitcnt vmcnt(0) lgkmcnt(0)
	v_mul_f32_e32 v118, v118, v119
	s_cbranch_execz .LBB120_20
	s_branch .LBB120_21
.LBB120_19:
                                        ; implicit-def: $vgpr118
.LBB120_20:
	ds_read_b32 v118, v116
.LBB120_21:
	s_and_saveexec_b64 s[12:13], s[6:7]
	s_cbranch_execz .LBB120_25
; %bb.22:
	v_subrev_u32_e32 v119, 54, v0
	s_movk_i32 s69, 0x1c8
	s_mov_b64 s[6:7], 0
.LBB120_23:                             ; =>This Inner Loop Header: Depth=1
	v_mov_b32_e32 v120, s68
	buffer_load_dword v120, v120, s[0:3], 0 offen
	v_mov_b32_e32 v121, s69
	ds_read_b32 v121, v121
	v_add_u32_e32 v119, -1, v119
	s_add_i32 s69, s69, 4
	s_add_i32 s68, s68, 4
	v_cmp_eq_u32_e32 vcc, 0, v119
	s_or_b64 s[6:7], vcc, s[6:7]
	s_waitcnt vmcnt(0) lgkmcnt(0)
	v_fmac_f32_e32 v118, v120, v121
	s_andn2_b64 exec, exec, s[6:7]
	s_cbranch_execnz .LBB120_23
; %bb.24:
	s_or_b64 exec, exec, s[6:7]
.LBB120_25:
	s_or_b64 exec, exec, s[12:13]
	v_mov_b32_e32 v119, 0
	ds_read_b32 v119, v119 offset:212
	s_waitcnt lgkmcnt(0)
	v_mul_f32_e32 v118, v118, v119
	buffer_store_dword v118, off, s[0:3], 0 offset:212
.LBB120_26:
	s_or_b64 exec, exec, s[8:9]
	buffer_load_dword v118, off, s[0:3], 0 offset:208
	v_cmp_lt_u32_e64 s[6:7], 52, v0
	s_waitcnt vmcnt(0)
	ds_write_b32 v116, v118
	s_waitcnt lgkmcnt(0)
	; wave barrier
	s_and_saveexec_b64 s[8:9], s[6:7]
	s_cbranch_execz .LBB120_36
; %bb.27:
	s_andn2_b64 vcc, exec, s[10:11]
	s_cbranch_vccnz .LBB120_29
; %bb.28:
	buffer_load_dword v118, v117, s[0:3], 0 offen
	ds_read_b32 v119, v116
	s_waitcnt vmcnt(0) lgkmcnt(0)
	v_mul_f32_e32 v118, v118, v119
	s_cbranch_execz .LBB120_30
	s_branch .LBB120_31
.LBB120_29:
                                        ; implicit-def: $vgpr118
.LBB120_30:
	ds_read_b32 v118, v116
.LBB120_31:
	s_and_saveexec_b64 s[12:13], s[4:5]
	s_cbranch_execz .LBB120_35
; %bb.32:
	v_subrev_u32_e32 v119, 53, v0
	s_movk_i32 s68, 0x1c4
	s_mov_b64 s[4:5], 0
.LBB120_33:                             ; =>This Inner Loop Header: Depth=1
	v_mov_b32_e32 v120, s67
	buffer_load_dword v120, v120, s[0:3], 0 offen
	v_mov_b32_e32 v121, s68
	ds_read_b32 v121, v121
	v_add_u32_e32 v119, -1, v119
	s_add_i32 s68, s68, 4
	s_add_i32 s67, s67, 4
	v_cmp_eq_u32_e32 vcc, 0, v119
	s_or_b64 s[4:5], vcc, s[4:5]
	s_waitcnt vmcnt(0) lgkmcnt(0)
	v_fmac_f32_e32 v118, v120, v121
	s_andn2_b64 exec, exec, s[4:5]
	s_cbranch_execnz .LBB120_33
; %bb.34:
	s_or_b64 exec, exec, s[4:5]
.LBB120_35:
	s_or_b64 exec, exec, s[12:13]
	v_mov_b32_e32 v119, 0
	ds_read_b32 v119, v119 offset:208
	s_waitcnt lgkmcnt(0)
	v_mul_f32_e32 v118, v118, v119
	buffer_store_dword v118, off, s[0:3], 0 offset:208
.LBB120_36:
	;; [unrolled: 54-line block ×8, first 2 shown]
	s_or_b64 exec, exec, s[8:9]
	buffer_load_dword v118, off, s[0:3], 0 offset:180
	v_cmp_lt_u32_e64 s[4:5], 45, v0
	s_waitcnt vmcnt(0)
	ds_write_b32 v116, v118
	s_waitcnt lgkmcnt(0)
	; wave barrier
	s_and_saveexec_b64 s[8:9], s[4:5]
	s_cbranch_execz .LBB120_106
; %bb.97:
	s_andn2_b64 vcc, exec, s[10:11]
	s_cbranch_vccnz .LBB120_99
; %bb.98:
	buffer_load_dword v118, v117, s[0:3], 0 offen
	ds_read_b32 v119, v116
	s_waitcnt vmcnt(0) lgkmcnt(0)
	v_mul_f32_e32 v118, v118, v119
	s_cbranch_execz .LBB120_100
	s_branch .LBB120_101
.LBB120_99:
                                        ; implicit-def: $vgpr118
.LBB120_100:
	ds_read_b32 v118, v116
.LBB120_101:
	s_and_saveexec_b64 s[12:13], s[6:7]
	s_cbranch_execz .LBB120_105
; %bb.102:
	v_subrev_u32_e32 v119, 46, v0
	s_movk_i32 s61, 0x1a8
	s_mov_b64 s[6:7], 0
.LBB120_103:                            ; =>This Inner Loop Header: Depth=1
	v_mov_b32_e32 v120, s60
	buffer_load_dword v120, v120, s[0:3], 0 offen
	v_mov_b32_e32 v121, s61
	ds_read_b32 v121, v121
	v_add_u32_e32 v119, -1, v119
	s_add_i32 s61, s61, 4
	s_add_i32 s60, s60, 4
	v_cmp_eq_u32_e32 vcc, 0, v119
	s_or_b64 s[6:7], vcc, s[6:7]
	s_waitcnt vmcnt(0) lgkmcnt(0)
	v_fmac_f32_e32 v118, v120, v121
	s_andn2_b64 exec, exec, s[6:7]
	s_cbranch_execnz .LBB120_103
; %bb.104:
	s_or_b64 exec, exec, s[6:7]
.LBB120_105:
	s_or_b64 exec, exec, s[12:13]
	v_mov_b32_e32 v119, 0
	ds_read_b32 v119, v119 offset:180
	s_waitcnt lgkmcnt(0)
	v_mul_f32_e32 v118, v118, v119
	buffer_store_dword v118, off, s[0:3], 0 offset:180
.LBB120_106:
	s_or_b64 exec, exec, s[8:9]
	buffer_load_dword v118, off, s[0:3], 0 offset:176
	v_cmp_lt_u32_e64 s[6:7], 44, v0
	s_waitcnt vmcnt(0)
	ds_write_b32 v116, v118
	s_waitcnt lgkmcnt(0)
	; wave barrier
	s_and_saveexec_b64 s[8:9], s[6:7]
	s_cbranch_execz .LBB120_116
; %bb.107:
	s_andn2_b64 vcc, exec, s[10:11]
	s_cbranch_vccnz .LBB120_109
; %bb.108:
	buffer_load_dword v118, v117, s[0:3], 0 offen
	ds_read_b32 v119, v116
	s_waitcnt vmcnt(0) lgkmcnt(0)
	v_mul_f32_e32 v118, v118, v119
	s_cbranch_execz .LBB120_110
	s_branch .LBB120_111
.LBB120_109:
                                        ; implicit-def: $vgpr118
.LBB120_110:
	ds_read_b32 v118, v116
.LBB120_111:
	s_and_saveexec_b64 s[12:13], s[4:5]
	s_cbranch_execz .LBB120_115
; %bb.112:
	v_subrev_u32_e32 v119, 45, v0
	s_movk_i32 s60, 0x1a4
	s_mov_b64 s[4:5], 0
.LBB120_113:                            ; =>This Inner Loop Header: Depth=1
	v_mov_b32_e32 v120, s59
	buffer_load_dword v120, v120, s[0:3], 0 offen
	v_mov_b32_e32 v121, s60
	ds_read_b32 v121, v121
	v_add_u32_e32 v119, -1, v119
	s_add_i32 s60, s60, 4
	s_add_i32 s59, s59, 4
	v_cmp_eq_u32_e32 vcc, 0, v119
	s_or_b64 s[4:5], vcc, s[4:5]
	s_waitcnt vmcnt(0) lgkmcnt(0)
	v_fmac_f32_e32 v118, v120, v121
	s_andn2_b64 exec, exec, s[4:5]
	s_cbranch_execnz .LBB120_113
; %bb.114:
	s_or_b64 exec, exec, s[4:5]
.LBB120_115:
	s_or_b64 exec, exec, s[12:13]
	v_mov_b32_e32 v119, 0
	ds_read_b32 v119, v119 offset:176
	s_waitcnt lgkmcnt(0)
	v_mul_f32_e32 v118, v118, v119
	buffer_store_dword v118, off, s[0:3], 0 offset:176
.LBB120_116:
	;; [unrolled: 54-line block ×30, first 2 shown]
	s_or_b64 exec, exec, s[8:9]
	buffer_load_dword v118, off, s[0:3], 0 offset:60
	v_cmp_lt_u32_e64 s[4:5], 15, v0
	s_waitcnt vmcnt(0)
	ds_write_b32 v116, v118
	s_waitcnt lgkmcnt(0)
	; wave barrier
	s_and_saveexec_b64 s[8:9], s[4:5]
	s_cbranch_execz .LBB120_406
; %bb.397:
	s_andn2_b64 vcc, exec, s[10:11]
	s_cbranch_vccnz .LBB120_399
; %bb.398:
	buffer_load_dword v118, v117, s[0:3], 0 offen
	ds_read_b32 v119, v116
	s_waitcnt vmcnt(0) lgkmcnt(0)
	v_mul_f32_e32 v118, v118, v119
	s_cbranch_execz .LBB120_400
	s_branch .LBB120_401
.LBB120_399:
                                        ; implicit-def: $vgpr118
.LBB120_400:
	ds_read_b32 v118, v116
.LBB120_401:
	s_and_saveexec_b64 s[12:13], s[6:7]
	s_cbranch_execz .LBB120_405
; %bb.402:
	v_add_u32_e32 v119, -16, v0
	s_movk_i32 s30, 0x130
	s_mov_b64 s[6:7], 0
.LBB120_403:                            ; =>This Inner Loop Header: Depth=1
	v_mov_b32_e32 v120, s29
	buffer_load_dword v120, v120, s[0:3], 0 offen
	v_mov_b32_e32 v121, s30
	ds_read_b32 v121, v121
	v_add_u32_e32 v119, -1, v119
	s_add_i32 s30, s30, 4
	s_add_i32 s29, s29, 4
	v_cmp_eq_u32_e32 vcc, 0, v119
	s_or_b64 s[6:7], vcc, s[6:7]
	s_waitcnt vmcnt(0) lgkmcnt(0)
	v_fmac_f32_e32 v118, v120, v121
	s_andn2_b64 exec, exec, s[6:7]
	s_cbranch_execnz .LBB120_403
; %bb.404:
	s_or_b64 exec, exec, s[6:7]
.LBB120_405:
	s_or_b64 exec, exec, s[12:13]
	v_mov_b32_e32 v119, 0
	ds_read_b32 v119, v119 offset:60
	s_waitcnt lgkmcnt(0)
	v_mul_f32_e32 v118, v118, v119
	buffer_store_dword v118, off, s[0:3], 0 offset:60
.LBB120_406:
	s_or_b64 exec, exec, s[8:9]
	buffer_load_dword v118, off, s[0:3], 0 offset:56
	v_cmp_lt_u32_e64 s[6:7], 14, v0
	s_waitcnt vmcnt(0)
	ds_write_b32 v116, v118
	s_waitcnt lgkmcnt(0)
	; wave barrier
	s_and_saveexec_b64 s[8:9], s[6:7]
	s_cbranch_execz .LBB120_416
; %bb.407:
	s_andn2_b64 vcc, exec, s[10:11]
	s_cbranch_vccnz .LBB120_409
; %bb.408:
	buffer_load_dword v118, v117, s[0:3], 0 offen
	ds_read_b32 v119, v116
	s_waitcnt vmcnt(0) lgkmcnt(0)
	v_mul_f32_e32 v118, v118, v119
	s_cbranch_execz .LBB120_410
	s_branch .LBB120_411
.LBB120_409:
                                        ; implicit-def: $vgpr118
.LBB120_410:
	ds_read_b32 v118, v116
.LBB120_411:
	s_and_saveexec_b64 s[12:13], s[4:5]
	s_cbranch_execz .LBB120_415
; %bb.412:
	v_add_u32_e32 v119, -15, v0
	s_movk_i32 s29, 0x12c
	s_mov_b64 s[4:5], 0
.LBB120_413:                            ; =>This Inner Loop Header: Depth=1
	v_mov_b32_e32 v120, s28
	buffer_load_dword v120, v120, s[0:3], 0 offen
	v_mov_b32_e32 v121, s29
	ds_read_b32 v121, v121
	v_add_u32_e32 v119, -1, v119
	s_add_i32 s29, s29, 4
	s_add_i32 s28, s28, 4
	v_cmp_eq_u32_e32 vcc, 0, v119
	s_or_b64 s[4:5], vcc, s[4:5]
	s_waitcnt vmcnt(0) lgkmcnt(0)
	v_fmac_f32_e32 v118, v120, v121
	s_andn2_b64 exec, exec, s[4:5]
	s_cbranch_execnz .LBB120_413
; %bb.414:
	s_or_b64 exec, exec, s[4:5]
.LBB120_415:
	s_or_b64 exec, exec, s[12:13]
	v_mov_b32_e32 v119, 0
	ds_read_b32 v119, v119 offset:56
	s_waitcnt lgkmcnt(0)
	v_mul_f32_e32 v118, v118, v119
	buffer_store_dword v118, off, s[0:3], 0 offset:56
.LBB120_416:
	;; [unrolled: 54-line block ×15, first 2 shown]
	s_or_b64 exec, exec, s[8:9]
	buffer_load_dword v118, off, s[0:3], 0
	v_cmp_ne_u32_e32 vcc, 0, v0
	s_waitcnt vmcnt(0)
	ds_write_b32 v116, v118
	s_waitcnt lgkmcnt(0)
	; wave barrier
	s_and_saveexec_b64 s[6:7], vcc
	s_cbranch_execz .LBB120_556
; %bb.547:
	s_andn2_b64 vcc, exec, s[10:11]
	s_cbranch_vccnz .LBB120_549
; %bb.548:
	buffer_load_dword v118, v117, s[0:3], 0 offen
	ds_read_b32 v119, v116
	s_waitcnt vmcnt(0) lgkmcnt(0)
	v_mul_f32_e32 v118, v118, v119
	s_cbranch_execz .LBB120_550
	s_branch .LBB120_551
.LBB120_549:
                                        ; implicit-def: $vgpr118
.LBB120_550:
	ds_read_b32 v118, v116
.LBB120_551:
	s_and_saveexec_b64 s[8:9], s[4:5]
	s_cbranch_execz .LBB120_555
; %bb.552:
	v_add_u32_e32 v119, -1, v0
	s_movk_i32 s12, 0xf4
	s_mov_b64 s[4:5], 0
.LBB120_553:                            ; =>This Inner Loop Header: Depth=1
	v_mov_b32_e32 v120, s14
	buffer_load_dword v120, v120, s[0:3], 0 offen
	v_mov_b32_e32 v121, s12
	ds_read_b32 v121, v121
	v_add_u32_e32 v119, -1, v119
	s_add_i32 s12, s12, 4
	s_add_i32 s14, s14, 4
	v_cmp_eq_u32_e32 vcc, 0, v119
	s_or_b64 s[4:5], vcc, s[4:5]
	s_waitcnt vmcnt(0) lgkmcnt(0)
	v_fmac_f32_e32 v118, v120, v121
	s_andn2_b64 exec, exec, s[4:5]
	s_cbranch_execnz .LBB120_553
; %bb.554:
	s_or_b64 exec, exec, s[4:5]
.LBB120_555:
	s_or_b64 exec, exec, s[8:9]
	v_mov_b32_e32 v119, 0
	ds_read_b32 v119, v119
	s_waitcnt lgkmcnt(0)
	v_mul_f32_e32 v118, v118, v119
	buffer_store_dword v118, off, s[0:3], 0
.LBB120_556:
	s_or_b64 exec, exec, s[6:7]
	s_mov_b64 s[4:5], 0
.LBB120_557:
	s_and_b64 vcc, exec, s[4:5]
	s_cbranch_vccz .LBB120_1109
; %bb.558:
	buffer_load_dword v118, off, s[0:3], 0 offset:4
	v_cmp_eq_u32_e64 s[6:7], 0, v0
	s_waitcnt vmcnt(0)
	ds_write_b32 v116, v118
	s_waitcnt lgkmcnt(0)
	; wave barrier
	s_and_saveexec_b64 s[4:5], s[6:7]
	s_cbranch_execz .LBB120_564
; %bb.559:
	s_and_b64 vcc, exec, s[10:11]
	s_cbranch_vccz .LBB120_561
; %bb.560:
	buffer_load_dword v118, v117, s[0:3], 0 offen
	ds_read_b32 v119, v116
	s_waitcnt vmcnt(0) lgkmcnt(0)
	v_mul_f32_e32 v118, v118, v119
	s_cbranch_execz .LBB120_562
	s_branch .LBB120_563
.LBB120_561:
                                        ; implicit-def: $vgpr118
.LBB120_562:
	ds_read_b32 v118, v116
.LBB120_563:
	v_mov_b32_e32 v119, 0
	ds_read_b32 v119, v119 offset:4
	s_waitcnt lgkmcnt(0)
	v_mul_f32_e32 v118, v118, v119
	buffer_store_dword v118, off, s[0:3], 0 offset:4
.LBB120_564:
	s_or_b64 exec, exec, s[4:5]
	buffer_load_dword v118, off, s[0:3], 0 offset:8
	v_cndmask_b32_e64 v119, 0, 1, s[10:11]
	v_cmp_gt_u32_e32 vcc, 2, v0
	v_cmp_ne_u32_e64 s[4:5], 1, v119
	s_waitcnt vmcnt(0)
	ds_write_b32 v116, v118
	s_waitcnt lgkmcnt(0)
	; wave barrier
	s_and_saveexec_b64 s[8:9], vcc
	s_cbranch_execz .LBB120_570
; %bb.565:
	s_and_b64 vcc, exec, s[4:5]
	s_cbranch_vccnz .LBB120_567
; %bb.566:
	buffer_load_dword v118, v117, s[0:3], 0 offen
	ds_read_b32 v119, v116
	s_waitcnt vmcnt(0) lgkmcnt(0)
	v_mul_f32_e32 v118, v118, v119
	s_cbranch_execz .LBB120_568
	s_branch .LBB120_569
.LBB120_567:
                                        ; implicit-def: $vgpr118
.LBB120_568:
	ds_read_b32 v118, v116
.LBB120_569:
	buffer_load_dword v121, off, s[0:3], 0 offset:4
	v_mov_b32_e32 v119, 0
	ds_read2_b32 v[119:120], v119 offset0:2 offset1:61
	s_waitcnt vmcnt(0) lgkmcnt(0)
	v_fma_f32 v120, v121, v120, v118
	v_cndmask_b32_e64 v118, v118, v120, s[6:7]
	v_mul_f32_e32 v118, v118, v119
	buffer_store_dword v118, off, s[0:3], 0 offset:8
.LBB120_570:
	s_or_b64 exec, exec, s[8:9]
	buffer_load_dword v118, off, s[0:3], 0 offset:12
	v_cmp_gt_u32_e32 vcc, 3, v0
	s_waitcnt vmcnt(0)
	ds_write_b32 v116, v118
	s_waitcnt lgkmcnt(0)
	; wave barrier
	s_and_saveexec_b64 s[8:9], vcc
	s_cbranch_execz .LBB120_578
; %bb.571:
	s_and_b64 vcc, exec, s[4:5]
	s_cbranch_vccnz .LBB120_573
; %bb.572:
	buffer_load_dword v118, v117, s[0:3], 0 offen
	ds_read_b32 v119, v116
	s_waitcnt vmcnt(0) lgkmcnt(0)
	v_mul_f32_e32 v118, v118, v119
	s_cbranch_execz .LBB120_574
	s_branch .LBB120_575
.LBB120_573:
                                        ; implicit-def: $vgpr118
.LBB120_574:
	ds_read_b32 v118, v116
.LBB120_575:
	v_cmp_ne_u32_e32 vcc, 2, v0
	s_and_saveexec_b64 s[10:11], vcc
	s_cbranch_execz .LBB120_577
; %bb.576:
	buffer_load_dword v119, v117, s[0:3], 0 offen offset:4
	buffer_load_dword v120, off, s[0:3], 0 offset:8
	v_mov_b32_e32 v121, 0
	ds_read_b32 v122, v116 offset:4
	ds_read_b32 v121, v121 offset:248
	s_waitcnt vmcnt(1) lgkmcnt(1)
	v_fmac_f32_e32 v118, v119, v122
	s_waitcnt vmcnt(0) lgkmcnt(0)
	v_fma_f32 v119, v120, v121, v118
	v_cndmask_b32_e64 v118, v118, v119, s[6:7]
.LBB120_577:
	s_or_b64 exec, exec, s[10:11]
	v_mov_b32_e32 v119, 0
	ds_read_b32 v119, v119 offset:12
	s_waitcnt lgkmcnt(0)
	v_mul_f32_e32 v118, v118, v119
	buffer_store_dword v118, off, s[0:3], 0 offset:12
.LBB120_578:
	s_or_b64 exec, exec, s[8:9]
	buffer_load_dword v118, off, s[0:3], 0 offset:16
	v_cmp_gt_u32_e32 vcc, 4, v0
	s_waitcnt vmcnt(0)
	ds_write_b32 v116, v118
	s_waitcnt lgkmcnt(0)
	; wave barrier
	s_and_saveexec_b64 s[6:7], vcc
	s_cbranch_execz .LBB120_588
; %bb.579:
	s_and_b64 vcc, exec, s[4:5]
	s_cbranch_vccnz .LBB120_581
; %bb.580:
	buffer_load_dword v118, v117, s[0:3], 0 offen
	ds_read_b32 v119, v116
	s_waitcnt vmcnt(0) lgkmcnt(0)
	v_mul_f32_e32 v118, v118, v119
	s_cbranch_execz .LBB120_582
	s_branch .LBB120_583
.LBB120_581:
                                        ; implicit-def: $vgpr118
.LBB120_582:
	ds_read_b32 v118, v116
.LBB120_583:
	v_cmp_ne_u32_e32 vcc, 3, v0
	s_and_saveexec_b64 s[8:9], vcc
	s_cbranch_execz .LBB120_587
; %bb.584:
	s_mov_b32 s10, 0
	v_add_u32_e32 v119, 0xf4, v115
	v_add3_u32 v120, v115, s10, 4
	s_mov_b64 s[10:11], 0
	v_mov_b32_e32 v121, v0
.LBB120_585:                            ; =>This Inner Loop Header: Depth=1
	buffer_load_dword v122, v120, s[0:3], 0 offen
	ds_read_b32 v123, v119
	v_add_u32_e32 v121, 1, v121
	v_cmp_lt_u32_e32 vcc, 2, v121
	v_add_u32_e32 v119, 4, v119
	v_add_u32_e32 v120, 4, v120
	s_or_b64 s[10:11], vcc, s[10:11]
	s_waitcnt vmcnt(0) lgkmcnt(0)
	v_fmac_f32_e32 v118, v122, v123
	s_andn2_b64 exec, exec, s[10:11]
	s_cbranch_execnz .LBB120_585
; %bb.586:
	s_or_b64 exec, exec, s[10:11]
.LBB120_587:
	s_or_b64 exec, exec, s[8:9]
	v_mov_b32_e32 v119, 0
	ds_read_b32 v119, v119 offset:16
	s_waitcnt lgkmcnt(0)
	v_mul_f32_e32 v118, v118, v119
	buffer_store_dword v118, off, s[0:3], 0 offset:16
.LBB120_588:
	s_or_b64 exec, exec, s[6:7]
	buffer_load_dword v118, off, s[0:3], 0 offset:20
	v_cmp_gt_u32_e32 vcc, 5, v0
	s_waitcnt vmcnt(0)
	ds_write_b32 v116, v118
	s_waitcnt lgkmcnt(0)
	; wave barrier
	s_and_saveexec_b64 s[6:7], vcc
	s_cbranch_execz .LBB120_598
; %bb.589:
	s_and_b64 vcc, exec, s[4:5]
	s_cbranch_vccnz .LBB120_591
; %bb.590:
	buffer_load_dword v118, v117, s[0:3], 0 offen
	ds_read_b32 v119, v116
	s_waitcnt vmcnt(0) lgkmcnt(0)
	v_mul_f32_e32 v118, v118, v119
	s_cbranch_execz .LBB120_592
	s_branch .LBB120_593
.LBB120_591:
                                        ; implicit-def: $vgpr118
.LBB120_592:
	ds_read_b32 v118, v116
.LBB120_593:
	v_cmp_ne_u32_e32 vcc, 4, v0
	s_and_saveexec_b64 s[8:9], vcc
	s_cbranch_execz .LBB120_597
; %bb.594:
	s_mov_b32 s10, 0
	v_add_u32_e32 v119, 0xf4, v115
	v_add3_u32 v120, v115, s10, 4
	s_mov_b64 s[10:11], 0
	v_mov_b32_e32 v121, v0
.LBB120_595:                            ; =>This Inner Loop Header: Depth=1
	buffer_load_dword v122, v120, s[0:3], 0 offen
	ds_read_b32 v123, v119
	v_add_u32_e32 v121, 1, v121
	v_cmp_lt_u32_e32 vcc, 3, v121
	v_add_u32_e32 v119, 4, v119
	v_add_u32_e32 v120, 4, v120
	s_or_b64 s[10:11], vcc, s[10:11]
	s_waitcnt vmcnt(0) lgkmcnt(0)
	v_fmac_f32_e32 v118, v122, v123
	s_andn2_b64 exec, exec, s[10:11]
	s_cbranch_execnz .LBB120_595
; %bb.596:
	s_or_b64 exec, exec, s[10:11]
.LBB120_597:
	s_or_b64 exec, exec, s[8:9]
	v_mov_b32_e32 v119, 0
	ds_read_b32 v119, v119 offset:20
	s_waitcnt lgkmcnt(0)
	v_mul_f32_e32 v118, v118, v119
	buffer_store_dword v118, off, s[0:3], 0 offset:20
.LBB120_598:
	s_or_b64 exec, exec, s[6:7]
	buffer_load_dword v118, off, s[0:3], 0 offset:24
	v_cmp_gt_u32_e32 vcc, 6, v0
	s_waitcnt vmcnt(0)
	ds_write_b32 v116, v118
	s_waitcnt lgkmcnt(0)
	; wave barrier
	s_and_saveexec_b64 s[6:7], vcc
	s_cbranch_execz .LBB120_608
; %bb.599:
	s_and_b64 vcc, exec, s[4:5]
	s_cbranch_vccnz .LBB120_601
; %bb.600:
	buffer_load_dword v118, v117, s[0:3], 0 offen
	ds_read_b32 v119, v116
	s_waitcnt vmcnt(0) lgkmcnt(0)
	v_mul_f32_e32 v118, v118, v119
	s_cbranch_execz .LBB120_602
	s_branch .LBB120_603
.LBB120_601:
                                        ; implicit-def: $vgpr118
.LBB120_602:
	ds_read_b32 v118, v116
.LBB120_603:
	v_cmp_ne_u32_e32 vcc, 5, v0
	s_and_saveexec_b64 s[8:9], vcc
	s_cbranch_execz .LBB120_607
; %bb.604:
	s_mov_b32 s10, 0
	v_add_u32_e32 v119, 0xf4, v115
	v_add3_u32 v120, v115, s10, 4
	s_mov_b64 s[10:11], 0
	v_mov_b32_e32 v121, v0
.LBB120_605:                            ; =>This Inner Loop Header: Depth=1
	buffer_load_dword v122, v120, s[0:3], 0 offen
	ds_read_b32 v123, v119
	v_add_u32_e32 v121, 1, v121
	v_cmp_lt_u32_e32 vcc, 4, v121
	v_add_u32_e32 v119, 4, v119
	v_add_u32_e32 v120, 4, v120
	s_or_b64 s[10:11], vcc, s[10:11]
	s_waitcnt vmcnt(0) lgkmcnt(0)
	v_fmac_f32_e32 v118, v122, v123
	s_andn2_b64 exec, exec, s[10:11]
	s_cbranch_execnz .LBB120_605
; %bb.606:
	s_or_b64 exec, exec, s[10:11]
.LBB120_607:
	s_or_b64 exec, exec, s[8:9]
	v_mov_b32_e32 v119, 0
	ds_read_b32 v119, v119 offset:24
	s_waitcnt lgkmcnt(0)
	v_mul_f32_e32 v118, v118, v119
	buffer_store_dword v118, off, s[0:3], 0 offset:24
.LBB120_608:
	s_or_b64 exec, exec, s[6:7]
	buffer_load_dword v118, off, s[0:3], 0 offset:28
	v_cmp_gt_u32_e32 vcc, 7, v0
	s_waitcnt vmcnt(0)
	ds_write_b32 v116, v118
	s_waitcnt lgkmcnt(0)
	; wave barrier
	s_and_saveexec_b64 s[6:7], vcc
	s_cbranch_execz .LBB120_618
; %bb.609:
	s_and_b64 vcc, exec, s[4:5]
	s_cbranch_vccnz .LBB120_611
; %bb.610:
	buffer_load_dword v118, v117, s[0:3], 0 offen
	ds_read_b32 v119, v116
	s_waitcnt vmcnt(0) lgkmcnt(0)
	v_mul_f32_e32 v118, v118, v119
	s_cbranch_execz .LBB120_612
	s_branch .LBB120_613
.LBB120_611:
                                        ; implicit-def: $vgpr118
.LBB120_612:
	ds_read_b32 v118, v116
.LBB120_613:
	v_cmp_ne_u32_e32 vcc, 6, v0
	s_and_saveexec_b64 s[8:9], vcc
	s_cbranch_execz .LBB120_617
; %bb.614:
	s_mov_b32 s10, 0
	v_add_u32_e32 v119, 0xf4, v115
	v_add3_u32 v120, v115, s10, 4
	s_mov_b64 s[10:11], 0
	v_mov_b32_e32 v121, v0
.LBB120_615:                            ; =>This Inner Loop Header: Depth=1
	buffer_load_dword v122, v120, s[0:3], 0 offen
	ds_read_b32 v123, v119
	v_add_u32_e32 v121, 1, v121
	v_cmp_lt_u32_e32 vcc, 5, v121
	v_add_u32_e32 v119, 4, v119
	v_add_u32_e32 v120, 4, v120
	s_or_b64 s[10:11], vcc, s[10:11]
	s_waitcnt vmcnt(0) lgkmcnt(0)
	v_fmac_f32_e32 v118, v122, v123
	s_andn2_b64 exec, exec, s[10:11]
	s_cbranch_execnz .LBB120_615
; %bb.616:
	s_or_b64 exec, exec, s[10:11]
.LBB120_617:
	s_or_b64 exec, exec, s[8:9]
	v_mov_b32_e32 v119, 0
	ds_read_b32 v119, v119 offset:28
	s_waitcnt lgkmcnt(0)
	v_mul_f32_e32 v118, v118, v119
	buffer_store_dword v118, off, s[0:3], 0 offset:28
.LBB120_618:
	s_or_b64 exec, exec, s[6:7]
	buffer_load_dword v118, off, s[0:3], 0 offset:32
	v_cmp_gt_u32_e32 vcc, 8, v0
	s_waitcnt vmcnt(0)
	ds_write_b32 v116, v118
	s_waitcnt lgkmcnt(0)
	; wave barrier
	s_and_saveexec_b64 s[6:7], vcc
	s_cbranch_execz .LBB120_628
; %bb.619:
	s_and_b64 vcc, exec, s[4:5]
	s_cbranch_vccnz .LBB120_621
; %bb.620:
	buffer_load_dword v118, v117, s[0:3], 0 offen
	ds_read_b32 v119, v116
	s_waitcnt vmcnt(0) lgkmcnt(0)
	v_mul_f32_e32 v118, v118, v119
	s_cbranch_execz .LBB120_622
	s_branch .LBB120_623
.LBB120_621:
                                        ; implicit-def: $vgpr118
.LBB120_622:
	ds_read_b32 v118, v116
.LBB120_623:
	v_cmp_ne_u32_e32 vcc, 7, v0
	s_and_saveexec_b64 s[8:9], vcc
	s_cbranch_execz .LBB120_627
; %bb.624:
	s_mov_b32 s10, 0
	v_add_u32_e32 v119, 0xf4, v115
	v_add3_u32 v120, v115, s10, 4
	s_mov_b64 s[10:11], 0
	v_mov_b32_e32 v121, v0
.LBB120_625:                            ; =>This Inner Loop Header: Depth=1
	buffer_load_dword v122, v120, s[0:3], 0 offen
	ds_read_b32 v123, v119
	v_add_u32_e32 v121, 1, v121
	v_cmp_lt_u32_e32 vcc, 6, v121
	v_add_u32_e32 v119, 4, v119
	v_add_u32_e32 v120, 4, v120
	s_or_b64 s[10:11], vcc, s[10:11]
	s_waitcnt vmcnt(0) lgkmcnt(0)
	v_fmac_f32_e32 v118, v122, v123
	s_andn2_b64 exec, exec, s[10:11]
	s_cbranch_execnz .LBB120_625
; %bb.626:
	s_or_b64 exec, exec, s[10:11]
.LBB120_627:
	s_or_b64 exec, exec, s[8:9]
	v_mov_b32_e32 v119, 0
	ds_read_b32 v119, v119 offset:32
	s_waitcnt lgkmcnt(0)
	v_mul_f32_e32 v118, v118, v119
	buffer_store_dword v118, off, s[0:3], 0 offset:32
.LBB120_628:
	s_or_b64 exec, exec, s[6:7]
	buffer_load_dword v118, off, s[0:3], 0 offset:36
	v_cmp_gt_u32_e32 vcc, 9, v0
	s_waitcnt vmcnt(0)
	ds_write_b32 v116, v118
	s_waitcnt lgkmcnt(0)
	; wave barrier
	s_and_saveexec_b64 s[6:7], vcc
	s_cbranch_execz .LBB120_638
; %bb.629:
	s_and_b64 vcc, exec, s[4:5]
	s_cbranch_vccnz .LBB120_631
; %bb.630:
	buffer_load_dword v118, v117, s[0:3], 0 offen
	ds_read_b32 v119, v116
	s_waitcnt vmcnt(0) lgkmcnt(0)
	v_mul_f32_e32 v118, v118, v119
	s_cbranch_execz .LBB120_632
	s_branch .LBB120_633
.LBB120_631:
                                        ; implicit-def: $vgpr118
.LBB120_632:
	ds_read_b32 v118, v116
.LBB120_633:
	v_cmp_ne_u32_e32 vcc, 8, v0
	s_and_saveexec_b64 s[8:9], vcc
	s_cbranch_execz .LBB120_637
; %bb.634:
	s_mov_b32 s10, 0
	v_add_u32_e32 v119, 0xf4, v115
	v_add3_u32 v120, v115, s10, 4
	s_mov_b64 s[10:11], 0
	v_mov_b32_e32 v121, v0
.LBB120_635:                            ; =>This Inner Loop Header: Depth=1
	buffer_load_dword v122, v120, s[0:3], 0 offen
	ds_read_b32 v123, v119
	v_add_u32_e32 v121, 1, v121
	v_cmp_lt_u32_e32 vcc, 7, v121
	v_add_u32_e32 v119, 4, v119
	v_add_u32_e32 v120, 4, v120
	s_or_b64 s[10:11], vcc, s[10:11]
	s_waitcnt vmcnt(0) lgkmcnt(0)
	v_fmac_f32_e32 v118, v122, v123
	s_andn2_b64 exec, exec, s[10:11]
	s_cbranch_execnz .LBB120_635
; %bb.636:
	s_or_b64 exec, exec, s[10:11]
.LBB120_637:
	s_or_b64 exec, exec, s[8:9]
	v_mov_b32_e32 v119, 0
	ds_read_b32 v119, v119 offset:36
	s_waitcnt lgkmcnt(0)
	v_mul_f32_e32 v118, v118, v119
	buffer_store_dword v118, off, s[0:3], 0 offset:36
.LBB120_638:
	s_or_b64 exec, exec, s[6:7]
	buffer_load_dword v118, off, s[0:3], 0 offset:40
	v_cmp_gt_u32_e32 vcc, 10, v0
	s_waitcnt vmcnt(0)
	ds_write_b32 v116, v118
	s_waitcnt lgkmcnt(0)
	; wave barrier
	s_and_saveexec_b64 s[6:7], vcc
	s_cbranch_execz .LBB120_648
; %bb.639:
	s_and_b64 vcc, exec, s[4:5]
	s_cbranch_vccnz .LBB120_641
; %bb.640:
	buffer_load_dword v118, v117, s[0:3], 0 offen
	ds_read_b32 v119, v116
	s_waitcnt vmcnt(0) lgkmcnt(0)
	v_mul_f32_e32 v118, v118, v119
	s_cbranch_execz .LBB120_642
	s_branch .LBB120_643
.LBB120_641:
                                        ; implicit-def: $vgpr118
.LBB120_642:
	ds_read_b32 v118, v116
.LBB120_643:
	v_cmp_ne_u32_e32 vcc, 9, v0
	s_and_saveexec_b64 s[8:9], vcc
	s_cbranch_execz .LBB120_647
; %bb.644:
	s_mov_b32 s10, 0
	v_add_u32_e32 v119, 0xf4, v115
	v_add3_u32 v120, v115, s10, 4
	s_mov_b64 s[10:11], 0
	v_mov_b32_e32 v121, v0
.LBB120_645:                            ; =>This Inner Loop Header: Depth=1
	buffer_load_dword v122, v120, s[0:3], 0 offen
	ds_read_b32 v123, v119
	v_add_u32_e32 v121, 1, v121
	v_cmp_lt_u32_e32 vcc, 8, v121
	v_add_u32_e32 v119, 4, v119
	v_add_u32_e32 v120, 4, v120
	s_or_b64 s[10:11], vcc, s[10:11]
	s_waitcnt vmcnt(0) lgkmcnt(0)
	v_fmac_f32_e32 v118, v122, v123
	s_andn2_b64 exec, exec, s[10:11]
	s_cbranch_execnz .LBB120_645
; %bb.646:
	s_or_b64 exec, exec, s[10:11]
.LBB120_647:
	s_or_b64 exec, exec, s[8:9]
	v_mov_b32_e32 v119, 0
	ds_read_b32 v119, v119 offset:40
	s_waitcnt lgkmcnt(0)
	v_mul_f32_e32 v118, v118, v119
	buffer_store_dword v118, off, s[0:3], 0 offset:40
.LBB120_648:
	s_or_b64 exec, exec, s[6:7]
	buffer_load_dword v118, off, s[0:3], 0 offset:44
	v_cmp_gt_u32_e32 vcc, 11, v0
	s_waitcnt vmcnt(0)
	ds_write_b32 v116, v118
	s_waitcnt lgkmcnt(0)
	; wave barrier
	s_and_saveexec_b64 s[6:7], vcc
	s_cbranch_execz .LBB120_658
; %bb.649:
	s_and_b64 vcc, exec, s[4:5]
	s_cbranch_vccnz .LBB120_651
; %bb.650:
	buffer_load_dword v118, v117, s[0:3], 0 offen
	ds_read_b32 v119, v116
	s_waitcnt vmcnt(0) lgkmcnt(0)
	v_mul_f32_e32 v118, v118, v119
	s_cbranch_execz .LBB120_652
	s_branch .LBB120_653
.LBB120_651:
                                        ; implicit-def: $vgpr118
.LBB120_652:
	ds_read_b32 v118, v116
.LBB120_653:
	v_cmp_ne_u32_e32 vcc, 10, v0
	s_and_saveexec_b64 s[8:9], vcc
	s_cbranch_execz .LBB120_657
; %bb.654:
	s_mov_b32 s10, 0
	v_add_u32_e32 v119, 0xf4, v115
	v_add3_u32 v120, v115, s10, 4
	s_mov_b64 s[10:11], 0
	v_mov_b32_e32 v121, v0
.LBB120_655:                            ; =>This Inner Loop Header: Depth=1
	buffer_load_dword v122, v120, s[0:3], 0 offen
	ds_read_b32 v123, v119
	v_add_u32_e32 v121, 1, v121
	v_cmp_lt_u32_e32 vcc, 9, v121
	v_add_u32_e32 v119, 4, v119
	v_add_u32_e32 v120, 4, v120
	s_or_b64 s[10:11], vcc, s[10:11]
	s_waitcnt vmcnt(0) lgkmcnt(0)
	v_fmac_f32_e32 v118, v122, v123
	s_andn2_b64 exec, exec, s[10:11]
	s_cbranch_execnz .LBB120_655
; %bb.656:
	s_or_b64 exec, exec, s[10:11]
.LBB120_657:
	s_or_b64 exec, exec, s[8:9]
	v_mov_b32_e32 v119, 0
	ds_read_b32 v119, v119 offset:44
	s_waitcnt lgkmcnt(0)
	v_mul_f32_e32 v118, v118, v119
	buffer_store_dword v118, off, s[0:3], 0 offset:44
.LBB120_658:
	s_or_b64 exec, exec, s[6:7]
	buffer_load_dword v118, off, s[0:3], 0 offset:48
	v_cmp_gt_u32_e32 vcc, 12, v0
	s_waitcnt vmcnt(0)
	ds_write_b32 v116, v118
	s_waitcnt lgkmcnt(0)
	; wave barrier
	s_and_saveexec_b64 s[6:7], vcc
	s_cbranch_execz .LBB120_668
; %bb.659:
	s_and_b64 vcc, exec, s[4:5]
	s_cbranch_vccnz .LBB120_661
; %bb.660:
	buffer_load_dword v118, v117, s[0:3], 0 offen
	ds_read_b32 v119, v116
	s_waitcnt vmcnt(0) lgkmcnt(0)
	v_mul_f32_e32 v118, v118, v119
	s_cbranch_execz .LBB120_662
	s_branch .LBB120_663
.LBB120_661:
                                        ; implicit-def: $vgpr118
.LBB120_662:
	ds_read_b32 v118, v116
.LBB120_663:
	v_cmp_ne_u32_e32 vcc, 11, v0
	s_and_saveexec_b64 s[8:9], vcc
	s_cbranch_execz .LBB120_667
; %bb.664:
	s_mov_b32 s10, 0
	v_add_u32_e32 v119, 0xf4, v115
	v_add3_u32 v120, v115, s10, 4
	s_mov_b64 s[10:11], 0
	v_mov_b32_e32 v121, v0
.LBB120_665:                            ; =>This Inner Loop Header: Depth=1
	buffer_load_dword v122, v120, s[0:3], 0 offen
	ds_read_b32 v123, v119
	v_add_u32_e32 v121, 1, v121
	v_cmp_lt_u32_e32 vcc, 10, v121
	v_add_u32_e32 v119, 4, v119
	v_add_u32_e32 v120, 4, v120
	s_or_b64 s[10:11], vcc, s[10:11]
	s_waitcnt vmcnt(0) lgkmcnt(0)
	v_fmac_f32_e32 v118, v122, v123
	s_andn2_b64 exec, exec, s[10:11]
	s_cbranch_execnz .LBB120_665
; %bb.666:
	s_or_b64 exec, exec, s[10:11]
.LBB120_667:
	s_or_b64 exec, exec, s[8:9]
	v_mov_b32_e32 v119, 0
	ds_read_b32 v119, v119 offset:48
	s_waitcnt lgkmcnt(0)
	v_mul_f32_e32 v118, v118, v119
	buffer_store_dword v118, off, s[0:3], 0 offset:48
.LBB120_668:
	s_or_b64 exec, exec, s[6:7]
	buffer_load_dword v118, off, s[0:3], 0 offset:52
	v_cmp_gt_u32_e32 vcc, 13, v0
	s_waitcnt vmcnt(0)
	ds_write_b32 v116, v118
	s_waitcnt lgkmcnt(0)
	; wave barrier
	s_and_saveexec_b64 s[6:7], vcc
	s_cbranch_execz .LBB120_678
; %bb.669:
	s_and_b64 vcc, exec, s[4:5]
	s_cbranch_vccnz .LBB120_671
; %bb.670:
	buffer_load_dword v118, v117, s[0:3], 0 offen
	ds_read_b32 v119, v116
	s_waitcnt vmcnt(0) lgkmcnt(0)
	v_mul_f32_e32 v118, v118, v119
	s_cbranch_execz .LBB120_672
	s_branch .LBB120_673
.LBB120_671:
                                        ; implicit-def: $vgpr118
.LBB120_672:
	ds_read_b32 v118, v116
.LBB120_673:
	v_cmp_ne_u32_e32 vcc, 12, v0
	s_and_saveexec_b64 s[8:9], vcc
	s_cbranch_execz .LBB120_677
; %bb.674:
	s_mov_b32 s10, 0
	v_add_u32_e32 v119, 0xf4, v115
	v_add3_u32 v120, v115, s10, 4
	s_mov_b64 s[10:11], 0
	v_mov_b32_e32 v121, v0
.LBB120_675:                            ; =>This Inner Loop Header: Depth=1
	buffer_load_dword v122, v120, s[0:3], 0 offen
	ds_read_b32 v123, v119
	v_add_u32_e32 v121, 1, v121
	v_cmp_lt_u32_e32 vcc, 11, v121
	v_add_u32_e32 v119, 4, v119
	v_add_u32_e32 v120, 4, v120
	s_or_b64 s[10:11], vcc, s[10:11]
	s_waitcnt vmcnt(0) lgkmcnt(0)
	v_fmac_f32_e32 v118, v122, v123
	s_andn2_b64 exec, exec, s[10:11]
	s_cbranch_execnz .LBB120_675
; %bb.676:
	s_or_b64 exec, exec, s[10:11]
.LBB120_677:
	s_or_b64 exec, exec, s[8:9]
	v_mov_b32_e32 v119, 0
	ds_read_b32 v119, v119 offset:52
	s_waitcnt lgkmcnt(0)
	v_mul_f32_e32 v118, v118, v119
	buffer_store_dword v118, off, s[0:3], 0 offset:52
.LBB120_678:
	s_or_b64 exec, exec, s[6:7]
	buffer_load_dword v118, off, s[0:3], 0 offset:56
	v_cmp_gt_u32_e32 vcc, 14, v0
	s_waitcnt vmcnt(0)
	ds_write_b32 v116, v118
	s_waitcnt lgkmcnt(0)
	; wave barrier
	s_and_saveexec_b64 s[6:7], vcc
	s_cbranch_execz .LBB120_688
; %bb.679:
	s_and_b64 vcc, exec, s[4:5]
	s_cbranch_vccnz .LBB120_681
; %bb.680:
	buffer_load_dword v118, v117, s[0:3], 0 offen
	ds_read_b32 v119, v116
	s_waitcnt vmcnt(0) lgkmcnt(0)
	v_mul_f32_e32 v118, v118, v119
	s_cbranch_execz .LBB120_682
	s_branch .LBB120_683
.LBB120_681:
                                        ; implicit-def: $vgpr118
.LBB120_682:
	ds_read_b32 v118, v116
.LBB120_683:
	v_cmp_ne_u32_e32 vcc, 13, v0
	s_and_saveexec_b64 s[8:9], vcc
	s_cbranch_execz .LBB120_687
; %bb.684:
	s_mov_b32 s10, 0
	v_add_u32_e32 v119, 0xf4, v115
	v_add3_u32 v120, v115, s10, 4
	s_mov_b64 s[10:11], 0
	v_mov_b32_e32 v121, v0
.LBB120_685:                            ; =>This Inner Loop Header: Depth=1
	buffer_load_dword v122, v120, s[0:3], 0 offen
	ds_read_b32 v123, v119
	v_add_u32_e32 v121, 1, v121
	v_cmp_lt_u32_e32 vcc, 12, v121
	v_add_u32_e32 v119, 4, v119
	v_add_u32_e32 v120, 4, v120
	s_or_b64 s[10:11], vcc, s[10:11]
	s_waitcnt vmcnt(0) lgkmcnt(0)
	v_fmac_f32_e32 v118, v122, v123
	s_andn2_b64 exec, exec, s[10:11]
	s_cbranch_execnz .LBB120_685
; %bb.686:
	s_or_b64 exec, exec, s[10:11]
.LBB120_687:
	s_or_b64 exec, exec, s[8:9]
	v_mov_b32_e32 v119, 0
	ds_read_b32 v119, v119 offset:56
	s_waitcnt lgkmcnt(0)
	v_mul_f32_e32 v118, v118, v119
	buffer_store_dword v118, off, s[0:3], 0 offset:56
.LBB120_688:
	s_or_b64 exec, exec, s[6:7]
	buffer_load_dword v118, off, s[0:3], 0 offset:60
	v_cmp_gt_u32_e32 vcc, 15, v0
	s_waitcnt vmcnt(0)
	ds_write_b32 v116, v118
	s_waitcnt lgkmcnt(0)
	; wave barrier
	s_and_saveexec_b64 s[6:7], vcc
	s_cbranch_execz .LBB120_698
; %bb.689:
	s_and_b64 vcc, exec, s[4:5]
	s_cbranch_vccnz .LBB120_691
; %bb.690:
	buffer_load_dword v118, v117, s[0:3], 0 offen
	ds_read_b32 v119, v116
	s_waitcnt vmcnt(0) lgkmcnt(0)
	v_mul_f32_e32 v118, v118, v119
	s_cbranch_execz .LBB120_692
	s_branch .LBB120_693
.LBB120_691:
                                        ; implicit-def: $vgpr118
.LBB120_692:
	ds_read_b32 v118, v116
.LBB120_693:
	v_cmp_ne_u32_e32 vcc, 14, v0
	s_and_saveexec_b64 s[8:9], vcc
	s_cbranch_execz .LBB120_697
; %bb.694:
	s_mov_b32 s10, 0
	v_add_u32_e32 v119, 0xf4, v115
	v_add3_u32 v120, v115, s10, 4
	s_mov_b64 s[10:11], 0
	v_mov_b32_e32 v121, v0
.LBB120_695:                            ; =>This Inner Loop Header: Depth=1
	buffer_load_dword v122, v120, s[0:3], 0 offen
	ds_read_b32 v123, v119
	v_add_u32_e32 v121, 1, v121
	v_cmp_lt_u32_e32 vcc, 13, v121
	v_add_u32_e32 v119, 4, v119
	v_add_u32_e32 v120, 4, v120
	s_or_b64 s[10:11], vcc, s[10:11]
	s_waitcnt vmcnt(0) lgkmcnt(0)
	v_fmac_f32_e32 v118, v122, v123
	s_andn2_b64 exec, exec, s[10:11]
	s_cbranch_execnz .LBB120_695
; %bb.696:
	s_or_b64 exec, exec, s[10:11]
.LBB120_697:
	s_or_b64 exec, exec, s[8:9]
	v_mov_b32_e32 v119, 0
	ds_read_b32 v119, v119 offset:60
	s_waitcnt lgkmcnt(0)
	v_mul_f32_e32 v118, v118, v119
	buffer_store_dword v118, off, s[0:3], 0 offset:60
.LBB120_698:
	s_or_b64 exec, exec, s[6:7]
	buffer_load_dword v118, off, s[0:3], 0 offset:64
	v_cmp_gt_u32_e32 vcc, 16, v0
	s_waitcnt vmcnt(0)
	ds_write_b32 v116, v118
	s_waitcnt lgkmcnt(0)
	; wave barrier
	s_and_saveexec_b64 s[6:7], vcc
	s_cbranch_execz .LBB120_708
; %bb.699:
	s_and_b64 vcc, exec, s[4:5]
	s_cbranch_vccnz .LBB120_701
; %bb.700:
	buffer_load_dword v118, v117, s[0:3], 0 offen
	ds_read_b32 v119, v116
	s_waitcnt vmcnt(0) lgkmcnt(0)
	v_mul_f32_e32 v118, v118, v119
	s_cbranch_execz .LBB120_702
	s_branch .LBB120_703
.LBB120_701:
                                        ; implicit-def: $vgpr118
.LBB120_702:
	ds_read_b32 v118, v116
.LBB120_703:
	v_cmp_ne_u32_e32 vcc, 15, v0
	s_and_saveexec_b64 s[8:9], vcc
	s_cbranch_execz .LBB120_707
; %bb.704:
	s_mov_b32 s10, 0
	v_add_u32_e32 v119, 0xf4, v115
	v_add3_u32 v120, v115, s10, 4
	s_mov_b64 s[10:11], 0
	v_mov_b32_e32 v121, v0
.LBB120_705:                            ; =>This Inner Loop Header: Depth=1
	buffer_load_dword v122, v120, s[0:3], 0 offen
	ds_read_b32 v123, v119
	v_add_u32_e32 v121, 1, v121
	v_cmp_lt_u32_e32 vcc, 14, v121
	v_add_u32_e32 v119, 4, v119
	v_add_u32_e32 v120, 4, v120
	s_or_b64 s[10:11], vcc, s[10:11]
	s_waitcnt vmcnt(0) lgkmcnt(0)
	v_fmac_f32_e32 v118, v122, v123
	s_andn2_b64 exec, exec, s[10:11]
	s_cbranch_execnz .LBB120_705
; %bb.706:
	s_or_b64 exec, exec, s[10:11]
.LBB120_707:
	s_or_b64 exec, exec, s[8:9]
	v_mov_b32_e32 v119, 0
	ds_read_b32 v119, v119 offset:64
	s_waitcnt lgkmcnt(0)
	v_mul_f32_e32 v118, v118, v119
	buffer_store_dword v118, off, s[0:3], 0 offset:64
.LBB120_708:
	s_or_b64 exec, exec, s[6:7]
	buffer_load_dword v118, off, s[0:3], 0 offset:68
	v_cmp_gt_u32_e32 vcc, 17, v0
	s_waitcnt vmcnt(0)
	ds_write_b32 v116, v118
	s_waitcnt lgkmcnt(0)
	; wave barrier
	s_and_saveexec_b64 s[6:7], vcc
	s_cbranch_execz .LBB120_718
; %bb.709:
	s_and_b64 vcc, exec, s[4:5]
	s_cbranch_vccnz .LBB120_711
; %bb.710:
	buffer_load_dword v118, v117, s[0:3], 0 offen
	ds_read_b32 v119, v116
	s_waitcnt vmcnt(0) lgkmcnt(0)
	v_mul_f32_e32 v118, v118, v119
	s_cbranch_execz .LBB120_712
	s_branch .LBB120_713
.LBB120_711:
                                        ; implicit-def: $vgpr118
.LBB120_712:
	ds_read_b32 v118, v116
.LBB120_713:
	v_cmp_ne_u32_e32 vcc, 16, v0
	s_and_saveexec_b64 s[8:9], vcc
	s_cbranch_execz .LBB120_717
; %bb.714:
	s_mov_b32 s10, 0
	v_add_u32_e32 v119, 0xf4, v115
	v_add3_u32 v120, v115, s10, 4
	s_mov_b64 s[10:11], 0
	v_mov_b32_e32 v121, v0
.LBB120_715:                            ; =>This Inner Loop Header: Depth=1
	buffer_load_dword v122, v120, s[0:3], 0 offen
	ds_read_b32 v123, v119
	v_add_u32_e32 v121, 1, v121
	v_cmp_lt_u32_e32 vcc, 15, v121
	v_add_u32_e32 v119, 4, v119
	v_add_u32_e32 v120, 4, v120
	s_or_b64 s[10:11], vcc, s[10:11]
	s_waitcnt vmcnt(0) lgkmcnt(0)
	v_fmac_f32_e32 v118, v122, v123
	s_andn2_b64 exec, exec, s[10:11]
	s_cbranch_execnz .LBB120_715
; %bb.716:
	s_or_b64 exec, exec, s[10:11]
.LBB120_717:
	s_or_b64 exec, exec, s[8:9]
	v_mov_b32_e32 v119, 0
	ds_read_b32 v119, v119 offset:68
	s_waitcnt lgkmcnt(0)
	v_mul_f32_e32 v118, v118, v119
	buffer_store_dword v118, off, s[0:3], 0 offset:68
.LBB120_718:
	s_or_b64 exec, exec, s[6:7]
	buffer_load_dword v118, off, s[0:3], 0 offset:72
	v_cmp_gt_u32_e32 vcc, 18, v0
	s_waitcnt vmcnt(0)
	ds_write_b32 v116, v118
	s_waitcnt lgkmcnt(0)
	; wave barrier
	s_and_saveexec_b64 s[6:7], vcc
	s_cbranch_execz .LBB120_728
; %bb.719:
	s_and_b64 vcc, exec, s[4:5]
	s_cbranch_vccnz .LBB120_721
; %bb.720:
	buffer_load_dword v118, v117, s[0:3], 0 offen
	ds_read_b32 v119, v116
	s_waitcnt vmcnt(0) lgkmcnt(0)
	v_mul_f32_e32 v118, v118, v119
	s_cbranch_execz .LBB120_722
	s_branch .LBB120_723
.LBB120_721:
                                        ; implicit-def: $vgpr118
.LBB120_722:
	ds_read_b32 v118, v116
.LBB120_723:
	v_cmp_ne_u32_e32 vcc, 17, v0
	s_and_saveexec_b64 s[8:9], vcc
	s_cbranch_execz .LBB120_727
; %bb.724:
	s_mov_b32 s10, 0
	v_add_u32_e32 v119, 0xf4, v115
	v_add3_u32 v120, v115, s10, 4
	s_mov_b64 s[10:11], 0
	v_mov_b32_e32 v121, v0
.LBB120_725:                            ; =>This Inner Loop Header: Depth=1
	buffer_load_dword v122, v120, s[0:3], 0 offen
	ds_read_b32 v123, v119
	v_add_u32_e32 v121, 1, v121
	v_cmp_lt_u32_e32 vcc, 16, v121
	v_add_u32_e32 v119, 4, v119
	v_add_u32_e32 v120, 4, v120
	s_or_b64 s[10:11], vcc, s[10:11]
	s_waitcnt vmcnt(0) lgkmcnt(0)
	v_fmac_f32_e32 v118, v122, v123
	s_andn2_b64 exec, exec, s[10:11]
	s_cbranch_execnz .LBB120_725
; %bb.726:
	s_or_b64 exec, exec, s[10:11]
.LBB120_727:
	s_or_b64 exec, exec, s[8:9]
	v_mov_b32_e32 v119, 0
	ds_read_b32 v119, v119 offset:72
	s_waitcnt lgkmcnt(0)
	v_mul_f32_e32 v118, v118, v119
	buffer_store_dword v118, off, s[0:3], 0 offset:72
.LBB120_728:
	s_or_b64 exec, exec, s[6:7]
	buffer_load_dword v118, off, s[0:3], 0 offset:76
	v_cmp_gt_u32_e32 vcc, 19, v0
	s_waitcnt vmcnt(0)
	ds_write_b32 v116, v118
	s_waitcnt lgkmcnt(0)
	; wave barrier
	s_and_saveexec_b64 s[6:7], vcc
	s_cbranch_execz .LBB120_738
; %bb.729:
	s_and_b64 vcc, exec, s[4:5]
	s_cbranch_vccnz .LBB120_731
; %bb.730:
	buffer_load_dword v118, v117, s[0:3], 0 offen
	ds_read_b32 v119, v116
	s_waitcnt vmcnt(0) lgkmcnt(0)
	v_mul_f32_e32 v118, v118, v119
	s_cbranch_execz .LBB120_732
	s_branch .LBB120_733
.LBB120_731:
                                        ; implicit-def: $vgpr118
.LBB120_732:
	ds_read_b32 v118, v116
.LBB120_733:
	v_cmp_ne_u32_e32 vcc, 18, v0
	s_and_saveexec_b64 s[8:9], vcc
	s_cbranch_execz .LBB120_737
; %bb.734:
	s_mov_b32 s10, 0
	v_add_u32_e32 v119, 0xf4, v115
	v_add3_u32 v120, v115, s10, 4
	s_mov_b64 s[10:11], 0
	v_mov_b32_e32 v121, v0
.LBB120_735:                            ; =>This Inner Loop Header: Depth=1
	buffer_load_dword v122, v120, s[0:3], 0 offen
	ds_read_b32 v123, v119
	v_add_u32_e32 v121, 1, v121
	v_cmp_lt_u32_e32 vcc, 17, v121
	v_add_u32_e32 v119, 4, v119
	v_add_u32_e32 v120, 4, v120
	s_or_b64 s[10:11], vcc, s[10:11]
	s_waitcnt vmcnt(0) lgkmcnt(0)
	v_fmac_f32_e32 v118, v122, v123
	s_andn2_b64 exec, exec, s[10:11]
	s_cbranch_execnz .LBB120_735
; %bb.736:
	s_or_b64 exec, exec, s[10:11]
.LBB120_737:
	s_or_b64 exec, exec, s[8:9]
	v_mov_b32_e32 v119, 0
	ds_read_b32 v119, v119 offset:76
	s_waitcnt lgkmcnt(0)
	v_mul_f32_e32 v118, v118, v119
	buffer_store_dword v118, off, s[0:3], 0 offset:76
.LBB120_738:
	s_or_b64 exec, exec, s[6:7]
	buffer_load_dword v118, off, s[0:3], 0 offset:80
	v_cmp_gt_u32_e32 vcc, 20, v0
	s_waitcnt vmcnt(0)
	ds_write_b32 v116, v118
	s_waitcnt lgkmcnt(0)
	; wave barrier
	s_and_saveexec_b64 s[6:7], vcc
	s_cbranch_execz .LBB120_748
; %bb.739:
	s_and_b64 vcc, exec, s[4:5]
	s_cbranch_vccnz .LBB120_741
; %bb.740:
	buffer_load_dword v118, v117, s[0:3], 0 offen
	ds_read_b32 v119, v116
	s_waitcnt vmcnt(0) lgkmcnt(0)
	v_mul_f32_e32 v118, v118, v119
	s_cbranch_execz .LBB120_742
	s_branch .LBB120_743
.LBB120_741:
                                        ; implicit-def: $vgpr118
.LBB120_742:
	ds_read_b32 v118, v116
.LBB120_743:
	v_cmp_ne_u32_e32 vcc, 19, v0
	s_and_saveexec_b64 s[8:9], vcc
	s_cbranch_execz .LBB120_747
; %bb.744:
	s_mov_b32 s10, 0
	v_add_u32_e32 v119, 0xf4, v115
	v_add3_u32 v120, v115, s10, 4
	s_mov_b64 s[10:11], 0
	v_mov_b32_e32 v121, v0
.LBB120_745:                            ; =>This Inner Loop Header: Depth=1
	buffer_load_dword v122, v120, s[0:3], 0 offen
	ds_read_b32 v123, v119
	v_add_u32_e32 v121, 1, v121
	v_cmp_lt_u32_e32 vcc, 18, v121
	v_add_u32_e32 v119, 4, v119
	v_add_u32_e32 v120, 4, v120
	s_or_b64 s[10:11], vcc, s[10:11]
	s_waitcnt vmcnt(0) lgkmcnt(0)
	v_fmac_f32_e32 v118, v122, v123
	s_andn2_b64 exec, exec, s[10:11]
	s_cbranch_execnz .LBB120_745
; %bb.746:
	s_or_b64 exec, exec, s[10:11]
.LBB120_747:
	s_or_b64 exec, exec, s[8:9]
	v_mov_b32_e32 v119, 0
	ds_read_b32 v119, v119 offset:80
	s_waitcnt lgkmcnt(0)
	v_mul_f32_e32 v118, v118, v119
	buffer_store_dword v118, off, s[0:3], 0 offset:80
.LBB120_748:
	s_or_b64 exec, exec, s[6:7]
	buffer_load_dword v118, off, s[0:3], 0 offset:84
	v_cmp_gt_u32_e32 vcc, 21, v0
	s_waitcnt vmcnt(0)
	ds_write_b32 v116, v118
	s_waitcnt lgkmcnt(0)
	; wave barrier
	s_and_saveexec_b64 s[6:7], vcc
	s_cbranch_execz .LBB120_758
; %bb.749:
	s_and_b64 vcc, exec, s[4:5]
	s_cbranch_vccnz .LBB120_751
; %bb.750:
	buffer_load_dword v118, v117, s[0:3], 0 offen
	ds_read_b32 v119, v116
	s_waitcnt vmcnt(0) lgkmcnt(0)
	v_mul_f32_e32 v118, v118, v119
	s_cbranch_execz .LBB120_752
	s_branch .LBB120_753
.LBB120_751:
                                        ; implicit-def: $vgpr118
.LBB120_752:
	ds_read_b32 v118, v116
.LBB120_753:
	v_cmp_ne_u32_e32 vcc, 20, v0
	s_and_saveexec_b64 s[8:9], vcc
	s_cbranch_execz .LBB120_757
; %bb.754:
	s_mov_b32 s10, 0
	v_add_u32_e32 v119, 0xf4, v115
	v_add3_u32 v120, v115, s10, 4
	s_mov_b64 s[10:11], 0
	v_mov_b32_e32 v121, v0
.LBB120_755:                            ; =>This Inner Loop Header: Depth=1
	buffer_load_dword v122, v120, s[0:3], 0 offen
	ds_read_b32 v123, v119
	v_add_u32_e32 v121, 1, v121
	v_cmp_lt_u32_e32 vcc, 19, v121
	v_add_u32_e32 v119, 4, v119
	v_add_u32_e32 v120, 4, v120
	s_or_b64 s[10:11], vcc, s[10:11]
	s_waitcnt vmcnt(0) lgkmcnt(0)
	v_fmac_f32_e32 v118, v122, v123
	s_andn2_b64 exec, exec, s[10:11]
	s_cbranch_execnz .LBB120_755
; %bb.756:
	s_or_b64 exec, exec, s[10:11]
.LBB120_757:
	s_or_b64 exec, exec, s[8:9]
	v_mov_b32_e32 v119, 0
	ds_read_b32 v119, v119 offset:84
	s_waitcnt lgkmcnt(0)
	v_mul_f32_e32 v118, v118, v119
	buffer_store_dword v118, off, s[0:3], 0 offset:84
.LBB120_758:
	s_or_b64 exec, exec, s[6:7]
	buffer_load_dword v118, off, s[0:3], 0 offset:88
	v_cmp_gt_u32_e32 vcc, 22, v0
	s_waitcnt vmcnt(0)
	ds_write_b32 v116, v118
	s_waitcnt lgkmcnt(0)
	; wave barrier
	s_and_saveexec_b64 s[6:7], vcc
	s_cbranch_execz .LBB120_768
; %bb.759:
	s_and_b64 vcc, exec, s[4:5]
	s_cbranch_vccnz .LBB120_761
; %bb.760:
	buffer_load_dword v118, v117, s[0:3], 0 offen
	ds_read_b32 v119, v116
	s_waitcnt vmcnt(0) lgkmcnt(0)
	v_mul_f32_e32 v118, v118, v119
	s_cbranch_execz .LBB120_762
	s_branch .LBB120_763
.LBB120_761:
                                        ; implicit-def: $vgpr118
.LBB120_762:
	ds_read_b32 v118, v116
.LBB120_763:
	v_cmp_ne_u32_e32 vcc, 21, v0
	s_and_saveexec_b64 s[8:9], vcc
	s_cbranch_execz .LBB120_767
; %bb.764:
	s_mov_b32 s10, 0
	v_add_u32_e32 v119, 0xf4, v115
	v_add3_u32 v120, v115, s10, 4
	s_mov_b64 s[10:11], 0
	v_mov_b32_e32 v121, v0
.LBB120_765:                            ; =>This Inner Loop Header: Depth=1
	buffer_load_dword v122, v120, s[0:3], 0 offen
	ds_read_b32 v123, v119
	v_add_u32_e32 v121, 1, v121
	v_cmp_lt_u32_e32 vcc, 20, v121
	v_add_u32_e32 v119, 4, v119
	v_add_u32_e32 v120, 4, v120
	s_or_b64 s[10:11], vcc, s[10:11]
	s_waitcnt vmcnt(0) lgkmcnt(0)
	v_fmac_f32_e32 v118, v122, v123
	s_andn2_b64 exec, exec, s[10:11]
	s_cbranch_execnz .LBB120_765
; %bb.766:
	s_or_b64 exec, exec, s[10:11]
.LBB120_767:
	s_or_b64 exec, exec, s[8:9]
	v_mov_b32_e32 v119, 0
	ds_read_b32 v119, v119 offset:88
	s_waitcnt lgkmcnt(0)
	v_mul_f32_e32 v118, v118, v119
	buffer_store_dword v118, off, s[0:3], 0 offset:88
.LBB120_768:
	s_or_b64 exec, exec, s[6:7]
	buffer_load_dword v118, off, s[0:3], 0 offset:92
	v_cmp_gt_u32_e32 vcc, 23, v0
	s_waitcnt vmcnt(0)
	ds_write_b32 v116, v118
	s_waitcnt lgkmcnt(0)
	; wave barrier
	s_and_saveexec_b64 s[6:7], vcc
	s_cbranch_execz .LBB120_778
; %bb.769:
	s_and_b64 vcc, exec, s[4:5]
	s_cbranch_vccnz .LBB120_771
; %bb.770:
	buffer_load_dword v118, v117, s[0:3], 0 offen
	ds_read_b32 v119, v116
	s_waitcnt vmcnt(0) lgkmcnt(0)
	v_mul_f32_e32 v118, v118, v119
	s_cbranch_execz .LBB120_772
	s_branch .LBB120_773
.LBB120_771:
                                        ; implicit-def: $vgpr118
.LBB120_772:
	ds_read_b32 v118, v116
.LBB120_773:
	v_cmp_ne_u32_e32 vcc, 22, v0
	s_and_saveexec_b64 s[8:9], vcc
	s_cbranch_execz .LBB120_777
; %bb.774:
	s_mov_b32 s10, 0
	v_add_u32_e32 v119, 0xf4, v115
	v_add3_u32 v120, v115, s10, 4
	s_mov_b64 s[10:11], 0
	v_mov_b32_e32 v121, v0
.LBB120_775:                            ; =>This Inner Loop Header: Depth=1
	buffer_load_dword v122, v120, s[0:3], 0 offen
	ds_read_b32 v123, v119
	v_add_u32_e32 v121, 1, v121
	v_cmp_lt_u32_e32 vcc, 21, v121
	v_add_u32_e32 v119, 4, v119
	v_add_u32_e32 v120, 4, v120
	s_or_b64 s[10:11], vcc, s[10:11]
	s_waitcnt vmcnt(0) lgkmcnt(0)
	v_fmac_f32_e32 v118, v122, v123
	s_andn2_b64 exec, exec, s[10:11]
	s_cbranch_execnz .LBB120_775
; %bb.776:
	s_or_b64 exec, exec, s[10:11]
.LBB120_777:
	s_or_b64 exec, exec, s[8:9]
	v_mov_b32_e32 v119, 0
	ds_read_b32 v119, v119 offset:92
	s_waitcnt lgkmcnt(0)
	v_mul_f32_e32 v118, v118, v119
	buffer_store_dword v118, off, s[0:3], 0 offset:92
.LBB120_778:
	s_or_b64 exec, exec, s[6:7]
	buffer_load_dword v118, off, s[0:3], 0 offset:96
	v_cmp_gt_u32_e32 vcc, 24, v0
	s_waitcnt vmcnt(0)
	ds_write_b32 v116, v118
	s_waitcnt lgkmcnt(0)
	; wave barrier
	s_and_saveexec_b64 s[6:7], vcc
	s_cbranch_execz .LBB120_788
; %bb.779:
	s_and_b64 vcc, exec, s[4:5]
	s_cbranch_vccnz .LBB120_781
; %bb.780:
	buffer_load_dword v118, v117, s[0:3], 0 offen
	ds_read_b32 v119, v116
	s_waitcnt vmcnt(0) lgkmcnt(0)
	v_mul_f32_e32 v118, v118, v119
	s_cbranch_execz .LBB120_782
	s_branch .LBB120_783
.LBB120_781:
                                        ; implicit-def: $vgpr118
.LBB120_782:
	ds_read_b32 v118, v116
.LBB120_783:
	v_cmp_ne_u32_e32 vcc, 23, v0
	s_and_saveexec_b64 s[8:9], vcc
	s_cbranch_execz .LBB120_787
; %bb.784:
	s_mov_b32 s10, 0
	v_add_u32_e32 v119, 0xf4, v115
	v_add3_u32 v120, v115, s10, 4
	s_mov_b64 s[10:11], 0
	v_mov_b32_e32 v121, v0
.LBB120_785:                            ; =>This Inner Loop Header: Depth=1
	buffer_load_dword v122, v120, s[0:3], 0 offen
	ds_read_b32 v123, v119
	v_add_u32_e32 v121, 1, v121
	v_cmp_lt_u32_e32 vcc, 22, v121
	v_add_u32_e32 v119, 4, v119
	v_add_u32_e32 v120, 4, v120
	s_or_b64 s[10:11], vcc, s[10:11]
	s_waitcnt vmcnt(0) lgkmcnt(0)
	v_fmac_f32_e32 v118, v122, v123
	s_andn2_b64 exec, exec, s[10:11]
	s_cbranch_execnz .LBB120_785
; %bb.786:
	s_or_b64 exec, exec, s[10:11]
.LBB120_787:
	s_or_b64 exec, exec, s[8:9]
	v_mov_b32_e32 v119, 0
	ds_read_b32 v119, v119 offset:96
	s_waitcnt lgkmcnt(0)
	v_mul_f32_e32 v118, v118, v119
	buffer_store_dword v118, off, s[0:3], 0 offset:96
.LBB120_788:
	s_or_b64 exec, exec, s[6:7]
	buffer_load_dword v118, off, s[0:3], 0 offset:100
	v_cmp_gt_u32_e32 vcc, 25, v0
	s_waitcnt vmcnt(0)
	ds_write_b32 v116, v118
	s_waitcnt lgkmcnt(0)
	; wave barrier
	s_and_saveexec_b64 s[6:7], vcc
	s_cbranch_execz .LBB120_798
; %bb.789:
	s_and_b64 vcc, exec, s[4:5]
	s_cbranch_vccnz .LBB120_791
; %bb.790:
	buffer_load_dword v118, v117, s[0:3], 0 offen
	ds_read_b32 v119, v116
	s_waitcnt vmcnt(0) lgkmcnt(0)
	v_mul_f32_e32 v118, v118, v119
	s_cbranch_execz .LBB120_792
	s_branch .LBB120_793
.LBB120_791:
                                        ; implicit-def: $vgpr118
.LBB120_792:
	ds_read_b32 v118, v116
.LBB120_793:
	v_cmp_ne_u32_e32 vcc, 24, v0
	s_and_saveexec_b64 s[8:9], vcc
	s_cbranch_execz .LBB120_797
; %bb.794:
	s_mov_b32 s10, 0
	v_add_u32_e32 v119, 0xf4, v115
	v_add3_u32 v120, v115, s10, 4
	s_mov_b64 s[10:11], 0
	v_mov_b32_e32 v121, v0
.LBB120_795:                            ; =>This Inner Loop Header: Depth=1
	buffer_load_dword v122, v120, s[0:3], 0 offen
	ds_read_b32 v123, v119
	v_add_u32_e32 v121, 1, v121
	v_cmp_lt_u32_e32 vcc, 23, v121
	v_add_u32_e32 v119, 4, v119
	v_add_u32_e32 v120, 4, v120
	s_or_b64 s[10:11], vcc, s[10:11]
	s_waitcnt vmcnt(0) lgkmcnt(0)
	v_fmac_f32_e32 v118, v122, v123
	s_andn2_b64 exec, exec, s[10:11]
	s_cbranch_execnz .LBB120_795
; %bb.796:
	s_or_b64 exec, exec, s[10:11]
.LBB120_797:
	s_or_b64 exec, exec, s[8:9]
	v_mov_b32_e32 v119, 0
	ds_read_b32 v119, v119 offset:100
	s_waitcnt lgkmcnt(0)
	v_mul_f32_e32 v118, v118, v119
	buffer_store_dword v118, off, s[0:3], 0 offset:100
.LBB120_798:
	s_or_b64 exec, exec, s[6:7]
	buffer_load_dword v118, off, s[0:3], 0 offset:104
	v_cmp_gt_u32_e32 vcc, 26, v0
	s_waitcnt vmcnt(0)
	ds_write_b32 v116, v118
	s_waitcnt lgkmcnt(0)
	; wave barrier
	s_and_saveexec_b64 s[6:7], vcc
	s_cbranch_execz .LBB120_808
; %bb.799:
	s_and_b64 vcc, exec, s[4:5]
	s_cbranch_vccnz .LBB120_801
; %bb.800:
	buffer_load_dword v118, v117, s[0:3], 0 offen
	ds_read_b32 v119, v116
	s_waitcnt vmcnt(0) lgkmcnt(0)
	v_mul_f32_e32 v118, v118, v119
	s_cbranch_execz .LBB120_802
	s_branch .LBB120_803
.LBB120_801:
                                        ; implicit-def: $vgpr118
.LBB120_802:
	ds_read_b32 v118, v116
.LBB120_803:
	v_cmp_ne_u32_e32 vcc, 25, v0
	s_and_saveexec_b64 s[8:9], vcc
	s_cbranch_execz .LBB120_807
; %bb.804:
	s_mov_b32 s10, 0
	v_add_u32_e32 v119, 0xf4, v115
	v_add3_u32 v120, v115, s10, 4
	s_mov_b64 s[10:11], 0
	v_mov_b32_e32 v121, v0
.LBB120_805:                            ; =>This Inner Loop Header: Depth=1
	buffer_load_dword v122, v120, s[0:3], 0 offen
	ds_read_b32 v123, v119
	v_add_u32_e32 v121, 1, v121
	v_cmp_lt_u32_e32 vcc, 24, v121
	v_add_u32_e32 v119, 4, v119
	v_add_u32_e32 v120, 4, v120
	s_or_b64 s[10:11], vcc, s[10:11]
	s_waitcnt vmcnt(0) lgkmcnt(0)
	v_fmac_f32_e32 v118, v122, v123
	s_andn2_b64 exec, exec, s[10:11]
	s_cbranch_execnz .LBB120_805
; %bb.806:
	s_or_b64 exec, exec, s[10:11]
.LBB120_807:
	s_or_b64 exec, exec, s[8:9]
	v_mov_b32_e32 v119, 0
	ds_read_b32 v119, v119 offset:104
	s_waitcnt lgkmcnt(0)
	v_mul_f32_e32 v118, v118, v119
	buffer_store_dword v118, off, s[0:3], 0 offset:104
.LBB120_808:
	s_or_b64 exec, exec, s[6:7]
	buffer_load_dword v118, off, s[0:3], 0 offset:108
	v_cmp_gt_u32_e32 vcc, 27, v0
	s_waitcnt vmcnt(0)
	ds_write_b32 v116, v118
	s_waitcnt lgkmcnt(0)
	; wave barrier
	s_and_saveexec_b64 s[6:7], vcc
	s_cbranch_execz .LBB120_818
; %bb.809:
	s_and_b64 vcc, exec, s[4:5]
	s_cbranch_vccnz .LBB120_811
; %bb.810:
	buffer_load_dword v118, v117, s[0:3], 0 offen
	ds_read_b32 v119, v116
	s_waitcnt vmcnt(0) lgkmcnt(0)
	v_mul_f32_e32 v118, v118, v119
	s_cbranch_execz .LBB120_812
	s_branch .LBB120_813
.LBB120_811:
                                        ; implicit-def: $vgpr118
.LBB120_812:
	ds_read_b32 v118, v116
.LBB120_813:
	v_cmp_ne_u32_e32 vcc, 26, v0
	s_and_saveexec_b64 s[8:9], vcc
	s_cbranch_execz .LBB120_817
; %bb.814:
	s_mov_b32 s10, 0
	v_add_u32_e32 v119, 0xf4, v115
	v_add3_u32 v120, v115, s10, 4
	s_mov_b64 s[10:11], 0
	v_mov_b32_e32 v121, v0
.LBB120_815:                            ; =>This Inner Loop Header: Depth=1
	buffer_load_dword v122, v120, s[0:3], 0 offen
	ds_read_b32 v123, v119
	v_add_u32_e32 v121, 1, v121
	v_cmp_lt_u32_e32 vcc, 25, v121
	v_add_u32_e32 v119, 4, v119
	v_add_u32_e32 v120, 4, v120
	s_or_b64 s[10:11], vcc, s[10:11]
	s_waitcnt vmcnt(0) lgkmcnt(0)
	v_fmac_f32_e32 v118, v122, v123
	s_andn2_b64 exec, exec, s[10:11]
	s_cbranch_execnz .LBB120_815
; %bb.816:
	s_or_b64 exec, exec, s[10:11]
.LBB120_817:
	s_or_b64 exec, exec, s[8:9]
	v_mov_b32_e32 v119, 0
	ds_read_b32 v119, v119 offset:108
	s_waitcnt lgkmcnt(0)
	v_mul_f32_e32 v118, v118, v119
	buffer_store_dword v118, off, s[0:3], 0 offset:108
.LBB120_818:
	s_or_b64 exec, exec, s[6:7]
	buffer_load_dword v118, off, s[0:3], 0 offset:112
	v_cmp_gt_u32_e32 vcc, 28, v0
	s_waitcnt vmcnt(0)
	ds_write_b32 v116, v118
	s_waitcnt lgkmcnt(0)
	; wave barrier
	s_and_saveexec_b64 s[6:7], vcc
	s_cbranch_execz .LBB120_828
; %bb.819:
	s_and_b64 vcc, exec, s[4:5]
	s_cbranch_vccnz .LBB120_821
; %bb.820:
	buffer_load_dword v118, v117, s[0:3], 0 offen
	ds_read_b32 v119, v116
	s_waitcnt vmcnt(0) lgkmcnt(0)
	v_mul_f32_e32 v118, v118, v119
	s_cbranch_execz .LBB120_822
	s_branch .LBB120_823
.LBB120_821:
                                        ; implicit-def: $vgpr118
.LBB120_822:
	ds_read_b32 v118, v116
.LBB120_823:
	v_cmp_ne_u32_e32 vcc, 27, v0
	s_and_saveexec_b64 s[8:9], vcc
	s_cbranch_execz .LBB120_827
; %bb.824:
	s_mov_b32 s10, 0
	v_add_u32_e32 v119, 0xf4, v115
	v_add3_u32 v120, v115, s10, 4
	s_mov_b64 s[10:11], 0
	v_mov_b32_e32 v121, v0
.LBB120_825:                            ; =>This Inner Loop Header: Depth=1
	buffer_load_dword v122, v120, s[0:3], 0 offen
	ds_read_b32 v123, v119
	v_add_u32_e32 v121, 1, v121
	v_cmp_lt_u32_e32 vcc, 26, v121
	v_add_u32_e32 v119, 4, v119
	v_add_u32_e32 v120, 4, v120
	s_or_b64 s[10:11], vcc, s[10:11]
	s_waitcnt vmcnt(0) lgkmcnt(0)
	v_fmac_f32_e32 v118, v122, v123
	s_andn2_b64 exec, exec, s[10:11]
	s_cbranch_execnz .LBB120_825
; %bb.826:
	s_or_b64 exec, exec, s[10:11]
.LBB120_827:
	s_or_b64 exec, exec, s[8:9]
	v_mov_b32_e32 v119, 0
	ds_read_b32 v119, v119 offset:112
	s_waitcnt lgkmcnt(0)
	v_mul_f32_e32 v118, v118, v119
	buffer_store_dword v118, off, s[0:3], 0 offset:112
.LBB120_828:
	s_or_b64 exec, exec, s[6:7]
	buffer_load_dword v118, off, s[0:3], 0 offset:116
	v_cmp_gt_u32_e32 vcc, 29, v0
	s_waitcnt vmcnt(0)
	ds_write_b32 v116, v118
	s_waitcnt lgkmcnt(0)
	; wave barrier
	s_and_saveexec_b64 s[6:7], vcc
	s_cbranch_execz .LBB120_838
; %bb.829:
	s_and_b64 vcc, exec, s[4:5]
	s_cbranch_vccnz .LBB120_831
; %bb.830:
	buffer_load_dword v118, v117, s[0:3], 0 offen
	ds_read_b32 v119, v116
	s_waitcnt vmcnt(0) lgkmcnt(0)
	v_mul_f32_e32 v118, v118, v119
	s_cbranch_execz .LBB120_832
	s_branch .LBB120_833
.LBB120_831:
                                        ; implicit-def: $vgpr118
.LBB120_832:
	ds_read_b32 v118, v116
.LBB120_833:
	v_cmp_ne_u32_e32 vcc, 28, v0
	s_and_saveexec_b64 s[8:9], vcc
	s_cbranch_execz .LBB120_837
; %bb.834:
	s_mov_b32 s10, 0
	v_add_u32_e32 v119, 0xf4, v115
	v_add3_u32 v120, v115, s10, 4
	s_mov_b64 s[10:11], 0
	v_mov_b32_e32 v121, v0
.LBB120_835:                            ; =>This Inner Loop Header: Depth=1
	buffer_load_dword v122, v120, s[0:3], 0 offen
	ds_read_b32 v123, v119
	v_add_u32_e32 v121, 1, v121
	v_cmp_lt_u32_e32 vcc, 27, v121
	v_add_u32_e32 v119, 4, v119
	v_add_u32_e32 v120, 4, v120
	s_or_b64 s[10:11], vcc, s[10:11]
	s_waitcnt vmcnt(0) lgkmcnt(0)
	v_fmac_f32_e32 v118, v122, v123
	s_andn2_b64 exec, exec, s[10:11]
	s_cbranch_execnz .LBB120_835
; %bb.836:
	s_or_b64 exec, exec, s[10:11]
.LBB120_837:
	s_or_b64 exec, exec, s[8:9]
	v_mov_b32_e32 v119, 0
	ds_read_b32 v119, v119 offset:116
	s_waitcnt lgkmcnt(0)
	v_mul_f32_e32 v118, v118, v119
	buffer_store_dword v118, off, s[0:3], 0 offset:116
.LBB120_838:
	s_or_b64 exec, exec, s[6:7]
	buffer_load_dword v118, off, s[0:3], 0 offset:120
	v_cmp_gt_u32_e32 vcc, 30, v0
	s_waitcnt vmcnt(0)
	ds_write_b32 v116, v118
	s_waitcnt lgkmcnt(0)
	; wave barrier
	s_and_saveexec_b64 s[6:7], vcc
	s_cbranch_execz .LBB120_848
; %bb.839:
	s_and_b64 vcc, exec, s[4:5]
	s_cbranch_vccnz .LBB120_841
; %bb.840:
	buffer_load_dword v118, v117, s[0:3], 0 offen
	ds_read_b32 v119, v116
	s_waitcnt vmcnt(0) lgkmcnt(0)
	v_mul_f32_e32 v118, v118, v119
	s_cbranch_execz .LBB120_842
	s_branch .LBB120_843
.LBB120_841:
                                        ; implicit-def: $vgpr118
.LBB120_842:
	ds_read_b32 v118, v116
.LBB120_843:
	v_cmp_ne_u32_e32 vcc, 29, v0
	s_and_saveexec_b64 s[8:9], vcc
	s_cbranch_execz .LBB120_847
; %bb.844:
	s_mov_b32 s10, 0
	v_add_u32_e32 v119, 0xf4, v115
	v_add3_u32 v120, v115, s10, 4
	s_mov_b64 s[10:11], 0
	v_mov_b32_e32 v121, v0
.LBB120_845:                            ; =>This Inner Loop Header: Depth=1
	buffer_load_dword v122, v120, s[0:3], 0 offen
	ds_read_b32 v123, v119
	v_add_u32_e32 v121, 1, v121
	v_cmp_lt_u32_e32 vcc, 28, v121
	v_add_u32_e32 v119, 4, v119
	v_add_u32_e32 v120, 4, v120
	s_or_b64 s[10:11], vcc, s[10:11]
	s_waitcnt vmcnt(0) lgkmcnt(0)
	v_fmac_f32_e32 v118, v122, v123
	s_andn2_b64 exec, exec, s[10:11]
	s_cbranch_execnz .LBB120_845
; %bb.846:
	s_or_b64 exec, exec, s[10:11]
.LBB120_847:
	s_or_b64 exec, exec, s[8:9]
	v_mov_b32_e32 v119, 0
	ds_read_b32 v119, v119 offset:120
	s_waitcnt lgkmcnt(0)
	v_mul_f32_e32 v118, v118, v119
	buffer_store_dword v118, off, s[0:3], 0 offset:120
.LBB120_848:
	s_or_b64 exec, exec, s[6:7]
	buffer_load_dword v118, off, s[0:3], 0 offset:124
	v_cmp_gt_u32_e32 vcc, 31, v0
	s_waitcnt vmcnt(0)
	ds_write_b32 v116, v118
	s_waitcnt lgkmcnt(0)
	; wave barrier
	s_and_saveexec_b64 s[6:7], vcc
	s_cbranch_execz .LBB120_858
; %bb.849:
	s_and_b64 vcc, exec, s[4:5]
	s_cbranch_vccnz .LBB120_851
; %bb.850:
	buffer_load_dword v118, v117, s[0:3], 0 offen
	ds_read_b32 v119, v116
	s_waitcnt vmcnt(0) lgkmcnt(0)
	v_mul_f32_e32 v118, v118, v119
	s_cbranch_execz .LBB120_852
	s_branch .LBB120_853
.LBB120_851:
                                        ; implicit-def: $vgpr118
.LBB120_852:
	ds_read_b32 v118, v116
.LBB120_853:
	v_cmp_ne_u32_e32 vcc, 30, v0
	s_and_saveexec_b64 s[8:9], vcc
	s_cbranch_execz .LBB120_857
; %bb.854:
	s_mov_b32 s10, 0
	v_add_u32_e32 v119, 0xf4, v115
	v_add3_u32 v120, v115, s10, 4
	s_mov_b64 s[10:11], 0
	v_mov_b32_e32 v121, v0
.LBB120_855:                            ; =>This Inner Loop Header: Depth=1
	buffer_load_dword v122, v120, s[0:3], 0 offen
	ds_read_b32 v123, v119
	v_add_u32_e32 v121, 1, v121
	v_cmp_lt_u32_e32 vcc, 29, v121
	v_add_u32_e32 v119, 4, v119
	v_add_u32_e32 v120, 4, v120
	s_or_b64 s[10:11], vcc, s[10:11]
	s_waitcnt vmcnt(0) lgkmcnt(0)
	v_fmac_f32_e32 v118, v122, v123
	s_andn2_b64 exec, exec, s[10:11]
	s_cbranch_execnz .LBB120_855
; %bb.856:
	s_or_b64 exec, exec, s[10:11]
.LBB120_857:
	s_or_b64 exec, exec, s[8:9]
	v_mov_b32_e32 v119, 0
	ds_read_b32 v119, v119 offset:124
	s_waitcnt lgkmcnt(0)
	v_mul_f32_e32 v118, v118, v119
	buffer_store_dword v118, off, s[0:3], 0 offset:124
.LBB120_858:
	s_or_b64 exec, exec, s[6:7]
	buffer_load_dword v118, off, s[0:3], 0 offset:128
	v_cmp_gt_u32_e32 vcc, 32, v0
	s_waitcnt vmcnt(0)
	ds_write_b32 v116, v118
	s_waitcnt lgkmcnt(0)
	; wave barrier
	s_and_saveexec_b64 s[6:7], vcc
	s_cbranch_execz .LBB120_868
; %bb.859:
	s_and_b64 vcc, exec, s[4:5]
	s_cbranch_vccnz .LBB120_861
; %bb.860:
	buffer_load_dword v118, v117, s[0:3], 0 offen
	ds_read_b32 v119, v116
	s_waitcnt vmcnt(0) lgkmcnt(0)
	v_mul_f32_e32 v118, v118, v119
	s_cbranch_execz .LBB120_862
	s_branch .LBB120_863
.LBB120_861:
                                        ; implicit-def: $vgpr118
.LBB120_862:
	ds_read_b32 v118, v116
.LBB120_863:
	v_cmp_ne_u32_e32 vcc, 31, v0
	s_and_saveexec_b64 s[8:9], vcc
	s_cbranch_execz .LBB120_867
; %bb.864:
	s_mov_b32 s10, 0
	v_add_u32_e32 v119, 0xf4, v115
	v_add3_u32 v120, v115, s10, 4
	s_mov_b64 s[10:11], 0
	v_mov_b32_e32 v121, v0
.LBB120_865:                            ; =>This Inner Loop Header: Depth=1
	buffer_load_dword v122, v120, s[0:3], 0 offen
	ds_read_b32 v123, v119
	v_add_u32_e32 v121, 1, v121
	v_cmp_lt_u32_e32 vcc, 30, v121
	v_add_u32_e32 v119, 4, v119
	v_add_u32_e32 v120, 4, v120
	s_or_b64 s[10:11], vcc, s[10:11]
	s_waitcnt vmcnt(0) lgkmcnt(0)
	v_fmac_f32_e32 v118, v122, v123
	s_andn2_b64 exec, exec, s[10:11]
	s_cbranch_execnz .LBB120_865
; %bb.866:
	s_or_b64 exec, exec, s[10:11]
.LBB120_867:
	s_or_b64 exec, exec, s[8:9]
	v_mov_b32_e32 v119, 0
	ds_read_b32 v119, v119 offset:128
	s_waitcnt lgkmcnt(0)
	v_mul_f32_e32 v118, v118, v119
	buffer_store_dword v118, off, s[0:3], 0 offset:128
.LBB120_868:
	s_or_b64 exec, exec, s[6:7]
	buffer_load_dword v118, off, s[0:3], 0 offset:132
	v_cmp_gt_u32_e32 vcc, 33, v0
	s_waitcnt vmcnt(0)
	ds_write_b32 v116, v118
	s_waitcnt lgkmcnt(0)
	; wave barrier
	s_and_saveexec_b64 s[6:7], vcc
	s_cbranch_execz .LBB120_878
; %bb.869:
	s_and_b64 vcc, exec, s[4:5]
	s_cbranch_vccnz .LBB120_871
; %bb.870:
	buffer_load_dword v118, v117, s[0:3], 0 offen
	ds_read_b32 v119, v116
	s_waitcnt vmcnt(0) lgkmcnt(0)
	v_mul_f32_e32 v118, v118, v119
	s_cbranch_execz .LBB120_872
	s_branch .LBB120_873
.LBB120_871:
                                        ; implicit-def: $vgpr118
.LBB120_872:
	ds_read_b32 v118, v116
.LBB120_873:
	v_cmp_ne_u32_e32 vcc, 32, v0
	s_and_saveexec_b64 s[8:9], vcc
	s_cbranch_execz .LBB120_877
; %bb.874:
	s_mov_b32 s10, 0
	v_add_u32_e32 v119, 0xf4, v115
	v_add3_u32 v120, v115, s10, 4
	s_mov_b64 s[10:11], 0
	v_mov_b32_e32 v121, v0
.LBB120_875:                            ; =>This Inner Loop Header: Depth=1
	buffer_load_dword v122, v120, s[0:3], 0 offen
	ds_read_b32 v123, v119
	v_add_u32_e32 v121, 1, v121
	v_cmp_lt_u32_e32 vcc, 31, v121
	v_add_u32_e32 v119, 4, v119
	v_add_u32_e32 v120, 4, v120
	s_or_b64 s[10:11], vcc, s[10:11]
	s_waitcnt vmcnt(0) lgkmcnt(0)
	v_fmac_f32_e32 v118, v122, v123
	s_andn2_b64 exec, exec, s[10:11]
	s_cbranch_execnz .LBB120_875
; %bb.876:
	s_or_b64 exec, exec, s[10:11]
.LBB120_877:
	s_or_b64 exec, exec, s[8:9]
	v_mov_b32_e32 v119, 0
	ds_read_b32 v119, v119 offset:132
	s_waitcnt lgkmcnt(0)
	v_mul_f32_e32 v118, v118, v119
	buffer_store_dword v118, off, s[0:3], 0 offset:132
.LBB120_878:
	s_or_b64 exec, exec, s[6:7]
	buffer_load_dword v118, off, s[0:3], 0 offset:136
	v_cmp_gt_u32_e32 vcc, 34, v0
	s_waitcnt vmcnt(0)
	ds_write_b32 v116, v118
	s_waitcnt lgkmcnt(0)
	; wave barrier
	s_and_saveexec_b64 s[6:7], vcc
	s_cbranch_execz .LBB120_888
; %bb.879:
	s_and_b64 vcc, exec, s[4:5]
	s_cbranch_vccnz .LBB120_881
; %bb.880:
	buffer_load_dword v118, v117, s[0:3], 0 offen
	ds_read_b32 v119, v116
	s_waitcnt vmcnt(0) lgkmcnt(0)
	v_mul_f32_e32 v118, v118, v119
	s_cbranch_execz .LBB120_882
	s_branch .LBB120_883
.LBB120_881:
                                        ; implicit-def: $vgpr118
.LBB120_882:
	ds_read_b32 v118, v116
.LBB120_883:
	v_cmp_ne_u32_e32 vcc, 33, v0
	s_and_saveexec_b64 s[8:9], vcc
	s_cbranch_execz .LBB120_887
; %bb.884:
	s_mov_b32 s10, 0
	v_add_u32_e32 v119, 0xf4, v115
	v_add3_u32 v120, v115, s10, 4
	s_mov_b64 s[10:11], 0
	v_mov_b32_e32 v121, v0
.LBB120_885:                            ; =>This Inner Loop Header: Depth=1
	buffer_load_dword v122, v120, s[0:3], 0 offen
	ds_read_b32 v123, v119
	v_add_u32_e32 v121, 1, v121
	v_cmp_lt_u32_e32 vcc, 32, v121
	v_add_u32_e32 v119, 4, v119
	v_add_u32_e32 v120, 4, v120
	s_or_b64 s[10:11], vcc, s[10:11]
	s_waitcnt vmcnt(0) lgkmcnt(0)
	v_fmac_f32_e32 v118, v122, v123
	s_andn2_b64 exec, exec, s[10:11]
	s_cbranch_execnz .LBB120_885
; %bb.886:
	s_or_b64 exec, exec, s[10:11]
.LBB120_887:
	s_or_b64 exec, exec, s[8:9]
	v_mov_b32_e32 v119, 0
	ds_read_b32 v119, v119 offset:136
	s_waitcnt lgkmcnt(0)
	v_mul_f32_e32 v118, v118, v119
	buffer_store_dword v118, off, s[0:3], 0 offset:136
.LBB120_888:
	s_or_b64 exec, exec, s[6:7]
	buffer_load_dword v118, off, s[0:3], 0 offset:140
	v_cmp_gt_u32_e32 vcc, 35, v0
	s_waitcnt vmcnt(0)
	ds_write_b32 v116, v118
	s_waitcnt lgkmcnt(0)
	; wave barrier
	s_and_saveexec_b64 s[6:7], vcc
	s_cbranch_execz .LBB120_898
; %bb.889:
	s_and_b64 vcc, exec, s[4:5]
	s_cbranch_vccnz .LBB120_891
; %bb.890:
	buffer_load_dword v118, v117, s[0:3], 0 offen
	ds_read_b32 v119, v116
	s_waitcnt vmcnt(0) lgkmcnt(0)
	v_mul_f32_e32 v118, v118, v119
	s_cbranch_execz .LBB120_892
	s_branch .LBB120_893
.LBB120_891:
                                        ; implicit-def: $vgpr118
.LBB120_892:
	ds_read_b32 v118, v116
.LBB120_893:
	v_cmp_ne_u32_e32 vcc, 34, v0
	s_and_saveexec_b64 s[8:9], vcc
	s_cbranch_execz .LBB120_897
; %bb.894:
	s_mov_b32 s10, 0
	v_add_u32_e32 v119, 0xf4, v115
	v_add3_u32 v120, v115, s10, 4
	s_mov_b64 s[10:11], 0
	v_mov_b32_e32 v121, v0
.LBB120_895:                            ; =>This Inner Loop Header: Depth=1
	buffer_load_dword v122, v120, s[0:3], 0 offen
	ds_read_b32 v123, v119
	v_add_u32_e32 v121, 1, v121
	v_cmp_lt_u32_e32 vcc, 33, v121
	v_add_u32_e32 v119, 4, v119
	v_add_u32_e32 v120, 4, v120
	s_or_b64 s[10:11], vcc, s[10:11]
	s_waitcnt vmcnt(0) lgkmcnt(0)
	v_fmac_f32_e32 v118, v122, v123
	s_andn2_b64 exec, exec, s[10:11]
	s_cbranch_execnz .LBB120_895
; %bb.896:
	s_or_b64 exec, exec, s[10:11]
.LBB120_897:
	s_or_b64 exec, exec, s[8:9]
	v_mov_b32_e32 v119, 0
	ds_read_b32 v119, v119 offset:140
	s_waitcnt lgkmcnt(0)
	v_mul_f32_e32 v118, v118, v119
	buffer_store_dword v118, off, s[0:3], 0 offset:140
.LBB120_898:
	s_or_b64 exec, exec, s[6:7]
	buffer_load_dword v118, off, s[0:3], 0 offset:144
	v_cmp_gt_u32_e32 vcc, 36, v0
	s_waitcnt vmcnt(0)
	ds_write_b32 v116, v118
	s_waitcnt lgkmcnt(0)
	; wave barrier
	s_and_saveexec_b64 s[6:7], vcc
	s_cbranch_execz .LBB120_908
; %bb.899:
	s_and_b64 vcc, exec, s[4:5]
	s_cbranch_vccnz .LBB120_901
; %bb.900:
	buffer_load_dword v118, v117, s[0:3], 0 offen
	ds_read_b32 v119, v116
	s_waitcnt vmcnt(0) lgkmcnt(0)
	v_mul_f32_e32 v118, v118, v119
	s_cbranch_execz .LBB120_902
	s_branch .LBB120_903
.LBB120_901:
                                        ; implicit-def: $vgpr118
.LBB120_902:
	ds_read_b32 v118, v116
.LBB120_903:
	v_cmp_ne_u32_e32 vcc, 35, v0
	s_and_saveexec_b64 s[8:9], vcc
	s_cbranch_execz .LBB120_907
; %bb.904:
	s_mov_b32 s10, 0
	v_add_u32_e32 v119, 0xf4, v115
	v_add3_u32 v120, v115, s10, 4
	s_mov_b64 s[10:11], 0
	v_mov_b32_e32 v121, v0
.LBB120_905:                            ; =>This Inner Loop Header: Depth=1
	buffer_load_dword v122, v120, s[0:3], 0 offen
	ds_read_b32 v123, v119
	v_add_u32_e32 v121, 1, v121
	v_cmp_lt_u32_e32 vcc, 34, v121
	v_add_u32_e32 v119, 4, v119
	v_add_u32_e32 v120, 4, v120
	s_or_b64 s[10:11], vcc, s[10:11]
	s_waitcnt vmcnt(0) lgkmcnt(0)
	v_fmac_f32_e32 v118, v122, v123
	s_andn2_b64 exec, exec, s[10:11]
	s_cbranch_execnz .LBB120_905
; %bb.906:
	s_or_b64 exec, exec, s[10:11]
.LBB120_907:
	s_or_b64 exec, exec, s[8:9]
	v_mov_b32_e32 v119, 0
	ds_read_b32 v119, v119 offset:144
	s_waitcnt lgkmcnt(0)
	v_mul_f32_e32 v118, v118, v119
	buffer_store_dword v118, off, s[0:3], 0 offset:144
.LBB120_908:
	s_or_b64 exec, exec, s[6:7]
	buffer_load_dword v118, off, s[0:3], 0 offset:148
	v_cmp_gt_u32_e32 vcc, 37, v0
	s_waitcnt vmcnt(0)
	ds_write_b32 v116, v118
	s_waitcnt lgkmcnt(0)
	; wave barrier
	s_and_saveexec_b64 s[6:7], vcc
	s_cbranch_execz .LBB120_918
; %bb.909:
	s_and_b64 vcc, exec, s[4:5]
	s_cbranch_vccnz .LBB120_911
; %bb.910:
	buffer_load_dword v118, v117, s[0:3], 0 offen
	ds_read_b32 v119, v116
	s_waitcnt vmcnt(0) lgkmcnt(0)
	v_mul_f32_e32 v118, v118, v119
	s_cbranch_execz .LBB120_912
	s_branch .LBB120_913
.LBB120_911:
                                        ; implicit-def: $vgpr118
.LBB120_912:
	ds_read_b32 v118, v116
.LBB120_913:
	v_cmp_ne_u32_e32 vcc, 36, v0
	s_and_saveexec_b64 s[8:9], vcc
	s_cbranch_execz .LBB120_917
; %bb.914:
	s_mov_b32 s10, 0
	v_add_u32_e32 v119, 0xf4, v115
	v_add3_u32 v120, v115, s10, 4
	s_mov_b64 s[10:11], 0
	v_mov_b32_e32 v121, v0
.LBB120_915:                            ; =>This Inner Loop Header: Depth=1
	buffer_load_dword v122, v120, s[0:3], 0 offen
	ds_read_b32 v123, v119
	v_add_u32_e32 v121, 1, v121
	v_cmp_lt_u32_e32 vcc, 35, v121
	v_add_u32_e32 v119, 4, v119
	v_add_u32_e32 v120, 4, v120
	s_or_b64 s[10:11], vcc, s[10:11]
	s_waitcnt vmcnt(0) lgkmcnt(0)
	v_fmac_f32_e32 v118, v122, v123
	s_andn2_b64 exec, exec, s[10:11]
	s_cbranch_execnz .LBB120_915
; %bb.916:
	s_or_b64 exec, exec, s[10:11]
.LBB120_917:
	s_or_b64 exec, exec, s[8:9]
	v_mov_b32_e32 v119, 0
	ds_read_b32 v119, v119 offset:148
	s_waitcnt lgkmcnt(0)
	v_mul_f32_e32 v118, v118, v119
	buffer_store_dword v118, off, s[0:3], 0 offset:148
.LBB120_918:
	s_or_b64 exec, exec, s[6:7]
	buffer_load_dword v118, off, s[0:3], 0 offset:152
	v_cmp_gt_u32_e32 vcc, 38, v0
	s_waitcnt vmcnt(0)
	ds_write_b32 v116, v118
	s_waitcnt lgkmcnt(0)
	; wave barrier
	s_and_saveexec_b64 s[6:7], vcc
	s_cbranch_execz .LBB120_928
; %bb.919:
	s_and_b64 vcc, exec, s[4:5]
	s_cbranch_vccnz .LBB120_921
; %bb.920:
	buffer_load_dword v118, v117, s[0:3], 0 offen
	ds_read_b32 v119, v116
	s_waitcnt vmcnt(0) lgkmcnt(0)
	v_mul_f32_e32 v118, v118, v119
	s_cbranch_execz .LBB120_922
	s_branch .LBB120_923
.LBB120_921:
                                        ; implicit-def: $vgpr118
.LBB120_922:
	ds_read_b32 v118, v116
.LBB120_923:
	v_cmp_ne_u32_e32 vcc, 37, v0
	s_and_saveexec_b64 s[8:9], vcc
	s_cbranch_execz .LBB120_927
; %bb.924:
	s_mov_b32 s10, 0
	v_add_u32_e32 v119, 0xf4, v115
	v_add3_u32 v120, v115, s10, 4
	s_mov_b64 s[10:11], 0
	v_mov_b32_e32 v121, v0
.LBB120_925:                            ; =>This Inner Loop Header: Depth=1
	buffer_load_dword v122, v120, s[0:3], 0 offen
	ds_read_b32 v123, v119
	v_add_u32_e32 v121, 1, v121
	v_cmp_lt_u32_e32 vcc, 36, v121
	v_add_u32_e32 v119, 4, v119
	v_add_u32_e32 v120, 4, v120
	s_or_b64 s[10:11], vcc, s[10:11]
	s_waitcnt vmcnt(0) lgkmcnt(0)
	v_fmac_f32_e32 v118, v122, v123
	s_andn2_b64 exec, exec, s[10:11]
	s_cbranch_execnz .LBB120_925
; %bb.926:
	s_or_b64 exec, exec, s[10:11]
.LBB120_927:
	s_or_b64 exec, exec, s[8:9]
	v_mov_b32_e32 v119, 0
	ds_read_b32 v119, v119 offset:152
	s_waitcnt lgkmcnt(0)
	v_mul_f32_e32 v118, v118, v119
	buffer_store_dword v118, off, s[0:3], 0 offset:152
.LBB120_928:
	s_or_b64 exec, exec, s[6:7]
	buffer_load_dword v118, off, s[0:3], 0 offset:156
	v_cmp_gt_u32_e32 vcc, 39, v0
	s_waitcnt vmcnt(0)
	ds_write_b32 v116, v118
	s_waitcnt lgkmcnt(0)
	; wave barrier
	s_and_saveexec_b64 s[6:7], vcc
	s_cbranch_execz .LBB120_938
; %bb.929:
	s_and_b64 vcc, exec, s[4:5]
	s_cbranch_vccnz .LBB120_931
; %bb.930:
	buffer_load_dword v118, v117, s[0:3], 0 offen
	ds_read_b32 v119, v116
	s_waitcnt vmcnt(0) lgkmcnt(0)
	v_mul_f32_e32 v118, v118, v119
	s_cbranch_execz .LBB120_932
	s_branch .LBB120_933
.LBB120_931:
                                        ; implicit-def: $vgpr118
.LBB120_932:
	ds_read_b32 v118, v116
.LBB120_933:
	v_cmp_ne_u32_e32 vcc, 38, v0
	s_and_saveexec_b64 s[8:9], vcc
	s_cbranch_execz .LBB120_937
; %bb.934:
	s_mov_b32 s10, 0
	v_add_u32_e32 v119, 0xf4, v115
	v_add3_u32 v120, v115, s10, 4
	s_mov_b64 s[10:11], 0
	v_mov_b32_e32 v121, v0
.LBB120_935:                            ; =>This Inner Loop Header: Depth=1
	buffer_load_dword v122, v120, s[0:3], 0 offen
	ds_read_b32 v123, v119
	v_add_u32_e32 v121, 1, v121
	v_cmp_lt_u32_e32 vcc, 37, v121
	v_add_u32_e32 v119, 4, v119
	v_add_u32_e32 v120, 4, v120
	s_or_b64 s[10:11], vcc, s[10:11]
	s_waitcnt vmcnt(0) lgkmcnt(0)
	v_fmac_f32_e32 v118, v122, v123
	s_andn2_b64 exec, exec, s[10:11]
	s_cbranch_execnz .LBB120_935
; %bb.936:
	s_or_b64 exec, exec, s[10:11]
.LBB120_937:
	s_or_b64 exec, exec, s[8:9]
	v_mov_b32_e32 v119, 0
	ds_read_b32 v119, v119 offset:156
	s_waitcnt lgkmcnt(0)
	v_mul_f32_e32 v118, v118, v119
	buffer_store_dword v118, off, s[0:3], 0 offset:156
.LBB120_938:
	s_or_b64 exec, exec, s[6:7]
	buffer_load_dword v118, off, s[0:3], 0 offset:160
	v_cmp_gt_u32_e32 vcc, 40, v0
	s_waitcnt vmcnt(0)
	ds_write_b32 v116, v118
	s_waitcnt lgkmcnt(0)
	; wave barrier
	s_and_saveexec_b64 s[6:7], vcc
	s_cbranch_execz .LBB120_948
; %bb.939:
	s_and_b64 vcc, exec, s[4:5]
	s_cbranch_vccnz .LBB120_941
; %bb.940:
	buffer_load_dword v118, v117, s[0:3], 0 offen
	ds_read_b32 v119, v116
	s_waitcnt vmcnt(0) lgkmcnt(0)
	v_mul_f32_e32 v118, v118, v119
	s_cbranch_execz .LBB120_942
	s_branch .LBB120_943
.LBB120_941:
                                        ; implicit-def: $vgpr118
.LBB120_942:
	ds_read_b32 v118, v116
.LBB120_943:
	v_cmp_ne_u32_e32 vcc, 39, v0
	s_and_saveexec_b64 s[8:9], vcc
	s_cbranch_execz .LBB120_947
; %bb.944:
	s_mov_b32 s10, 0
	v_add_u32_e32 v119, 0xf4, v115
	v_add3_u32 v120, v115, s10, 4
	s_mov_b64 s[10:11], 0
	v_mov_b32_e32 v121, v0
.LBB120_945:                            ; =>This Inner Loop Header: Depth=1
	buffer_load_dword v122, v120, s[0:3], 0 offen
	ds_read_b32 v123, v119
	v_add_u32_e32 v121, 1, v121
	v_cmp_lt_u32_e32 vcc, 38, v121
	v_add_u32_e32 v119, 4, v119
	v_add_u32_e32 v120, 4, v120
	s_or_b64 s[10:11], vcc, s[10:11]
	s_waitcnt vmcnt(0) lgkmcnt(0)
	v_fmac_f32_e32 v118, v122, v123
	s_andn2_b64 exec, exec, s[10:11]
	s_cbranch_execnz .LBB120_945
; %bb.946:
	s_or_b64 exec, exec, s[10:11]
.LBB120_947:
	s_or_b64 exec, exec, s[8:9]
	v_mov_b32_e32 v119, 0
	ds_read_b32 v119, v119 offset:160
	s_waitcnt lgkmcnt(0)
	v_mul_f32_e32 v118, v118, v119
	buffer_store_dword v118, off, s[0:3], 0 offset:160
.LBB120_948:
	s_or_b64 exec, exec, s[6:7]
	buffer_load_dword v118, off, s[0:3], 0 offset:164
	v_cmp_gt_u32_e32 vcc, 41, v0
	s_waitcnt vmcnt(0)
	ds_write_b32 v116, v118
	s_waitcnt lgkmcnt(0)
	; wave barrier
	s_and_saveexec_b64 s[6:7], vcc
	s_cbranch_execz .LBB120_958
; %bb.949:
	s_and_b64 vcc, exec, s[4:5]
	s_cbranch_vccnz .LBB120_951
; %bb.950:
	buffer_load_dword v118, v117, s[0:3], 0 offen
	ds_read_b32 v119, v116
	s_waitcnt vmcnt(0) lgkmcnt(0)
	v_mul_f32_e32 v118, v118, v119
	s_cbranch_execz .LBB120_952
	s_branch .LBB120_953
.LBB120_951:
                                        ; implicit-def: $vgpr118
.LBB120_952:
	ds_read_b32 v118, v116
.LBB120_953:
	v_cmp_ne_u32_e32 vcc, 40, v0
	s_and_saveexec_b64 s[8:9], vcc
	s_cbranch_execz .LBB120_957
; %bb.954:
	s_mov_b32 s10, 0
	v_add_u32_e32 v119, 0xf4, v115
	v_add3_u32 v120, v115, s10, 4
	s_mov_b64 s[10:11], 0
	v_mov_b32_e32 v121, v0
.LBB120_955:                            ; =>This Inner Loop Header: Depth=1
	buffer_load_dword v122, v120, s[0:3], 0 offen
	ds_read_b32 v123, v119
	v_add_u32_e32 v121, 1, v121
	v_cmp_lt_u32_e32 vcc, 39, v121
	v_add_u32_e32 v119, 4, v119
	v_add_u32_e32 v120, 4, v120
	s_or_b64 s[10:11], vcc, s[10:11]
	s_waitcnt vmcnt(0) lgkmcnt(0)
	v_fmac_f32_e32 v118, v122, v123
	s_andn2_b64 exec, exec, s[10:11]
	s_cbranch_execnz .LBB120_955
; %bb.956:
	s_or_b64 exec, exec, s[10:11]
.LBB120_957:
	s_or_b64 exec, exec, s[8:9]
	v_mov_b32_e32 v119, 0
	ds_read_b32 v119, v119 offset:164
	s_waitcnt lgkmcnt(0)
	v_mul_f32_e32 v118, v118, v119
	buffer_store_dword v118, off, s[0:3], 0 offset:164
.LBB120_958:
	s_or_b64 exec, exec, s[6:7]
	buffer_load_dword v118, off, s[0:3], 0 offset:168
	v_cmp_gt_u32_e32 vcc, 42, v0
	s_waitcnt vmcnt(0)
	ds_write_b32 v116, v118
	s_waitcnt lgkmcnt(0)
	; wave barrier
	s_and_saveexec_b64 s[6:7], vcc
	s_cbranch_execz .LBB120_968
; %bb.959:
	s_and_b64 vcc, exec, s[4:5]
	s_cbranch_vccnz .LBB120_961
; %bb.960:
	buffer_load_dword v118, v117, s[0:3], 0 offen
	ds_read_b32 v119, v116
	s_waitcnt vmcnt(0) lgkmcnt(0)
	v_mul_f32_e32 v118, v118, v119
	s_cbranch_execz .LBB120_962
	s_branch .LBB120_963
.LBB120_961:
                                        ; implicit-def: $vgpr118
.LBB120_962:
	ds_read_b32 v118, v116
.LBB120_963:
	v_cmp_ne_u32_e32 vcc, 41, v0
	s_and_saveexec_b64 s[8:9], vcc
	s_cbranch_execz .LBB120_967
; %bb.964:
	s_mov_b32 s10, 0
	v_add_u32_e32 v119, 0xf4, v115
	v_add3_u32 v120, v115, s10, 4
	s_mov_b64 s[10:11], 0
	v_mov_b32_e32 v121, v0
.LBB120_965:                            ; =>This Inner Loop Header: Depth=1
	buffer_load_dword v122, v120, s[0:3], 0 offen
	ds_read_b32 v123, v119
	v_add_u32_e32 v121, 1, v121
	v_cmp_lt_u32_e32 vcc, 40, v121
	v_add_u32_e32 v119, 4, v119
	v_add_u32_e32 v120, 4, v120
	s_or_b64 s[10:11], vcc, s[10:11]
	s_waitcnt vmcnt(0) lgkmcnt(0)
	v_fmac_f32_e32 v118, v122, v123
	s_andn2_b64 exec, exec, s[10:11]
	s_cbranch_execnz .LBB120_965
; %bb.966:
	s_or_b64 exec, exec, s[10:11]
.LBB120_967:
	s_or_b64 exec, exec, s[8:9]
	v_mov_b32_e32 v119, 0
	ds_read_b32 v119, v119 offset:168
	s_waitcnt lgkmcnt(0)
	v_mul_f32_e32 v118, v118, v119
	buffer_store_dword v118, off, s[0:3], 0 offset:168
.LBB120_968:
	s_or_b64 exec, exec, s[6:7]
	buffer_load_dword v118, off, s[0:3], 0 offset:172
	v_cmp_gt_u32_e32 vcc, 43, v0
	s_waitcnt vmcnt(0)
	ds_write_b32 v116, v118
	s_waitcnt lgkmcnt(0)
	; wave barrier
	s_and_saveexec_b64 s[6:7], vcc
	s_cbranch_execz .LBB120_978
; %bb.969:
	s_and_b64 vcc, exec, s[4:5]
	s_cbranch_vccnz .LBB120_971
; %bb.970:
	buffer_load_dword v118, v117, s[0:3], 0 offen
	ds_read_b32 v119, v116
	s_waitcnt vmcnt(0) lgkmcnt(0)
	v_mul_f32_e32 v118, v118, v119
	s_cbranch_execz .LBB120_972
	s_branch .LBB120_973
.LBB120_971:
                                        ; implicit-def: $vgpr118
.LBB120_972:
	ds_read_b32 v118, v116
.LBB120_973:
	v_cmp_ne_u32_e32 vcc, 42, v0
	s_and_saveexec_b64 s[8:9], vcc
	s_cbranch_execz .LBB120_977
; %bb.974:
	s_mov_b32 s10, 0
	v_add_u32_e32 v119, 0xf4, v115
	v_add3_u32 v120, v115, s10, 4
	s_mov_b64 s[10:11], 0
	v_mov_b32_e32 v121, v0
.LBB120_975:                            ; =>This Inner Loop Header: Depth=1
	buffer_load_dword v122, v120, s[0:3], 0 offen
	ds_read_b32 v123, v119
	v_add_u32_e32 v121, 1, v121
	v_cmp_lt_u32_e32 vcc, 41, v121
	v_add_u32_e32 v119, 4, v119
	v_add_u32_e32 v120, 4, v120
	s_or_b64 s[10:11], vcc, s[10:11]
	s_waitcnt vmcnt(0) lgkmcnt(0)
	v_fmac_f32_e32 v118, v122, v123
	s_andn2_b64 exec, exec, s[10:11]
	s_cbranch_execnz .LBB120_975
; %bb.976:
	s_or_b64 exec, exec, s[10:11]
.LBB120_977:
	s_or_b64 exec, exec, s[8:9]
	v_mov_b32_e32 v119, 0
	ds_read_b32 v119, v119 offset:172
	s_waitcnt lgkmcnt(0)
	v_mul_f32_e32 v118, v118, v119
	buffer_store_dword v118, off, s[0:3], 0 offset:172
.LBB120_978:
	s_or_b64 exec, exec, s[6:7]
	buffer_load_dword v118, off, s[0:3], 0 offset:176
	v_cmp_gt_u32_e32 vcc, 44, v0
	s_waitcnt vmcnt(0)
	ds_write_b32 v116, v118
	s_waitcnt lgkmcnt(0)
	; wave barrier
	s_and_saveexec_b64 s[6:7], vcc
	s_cbranch_execz .LBB120_988
; %bb.979:
	s_and_b64 vcc, exec, s[4:5]
	s_cbranch_vccnz .LBB120_981
; %bb.980:
	buffer_load_dword v118, v117, s[0:3], 0 offen
	ds_read_b32 v119, v116
	s_waitcnt vmcnt(0) lgkmcnt(0)
	v_mul_f32_e32 v118, v118, v119
	s_cbranch_execz .LBB120_982
	s_branch .LBB120_983
.LBB120_981:
                                        ; implicit-def: $vgpr118
.LBB120_982:
	ds_read_b32 v118, v116
.LBB120_983:
	v_cmp_ne_u32_e32 vcc, 43, v0
	s_and_saveexec_b64 s[8:9], vcc
	s_cbranch_execz .LBB120_987
; %bb.984:
	s_mov_b32 s10, 0
	v_add_u32_e32 v119, 0xf4, v115
	v_add3_u32 v120, v115, s10, 4
	s_mov_b64 s[10:11], 0
	v_mov_b32_e32 v121, v0
.LBB120_985:                            ; =>This Inner Loop Header: Depth=1
	buffer_load_dword v122, v120, s[0:3], 0 offen
	ds_read_b32 v123, v119
	v_add_u32_e32 v121, 1, v121
	v_cmp_lt_u32_e32 vcc, 42, v121
	v_add_u32_e32 v119, 4, v119
	v_add_u32_e32 v120, 4, v120
	s_or_b64 s[10:11], vcc, s[10:11]
	s_waitcnt vmcnt(0) lgkmcnt(0)
	v_fmac_f32_e32 v118, v122, v123
	s_andn2_b64 exec, exec, s[10:11]
	s_cbranch_execnz .LBB120_985
; %bb.986:
	s_or_b64 exec, exec, s[10:11]
.LBB120_987:
	s_or_b64 exec, exec, s[8:9]
	v_mov_b32_e32 v119, 0
	ds_read_b32 v119, v119 offset:176
	s_waitcnt lgkmcnt(0)
	v_mul_f32_e32 v118, v118, v119
	buffer_store_dword v118, off, s[0:3], 0 offset:176
.LBB120_988:
	s_or_b64 exec, exec, s[6:7]
	buffer_load_dword v118, off, s[0:3], 0 offset:180
	v_cmp_gt_u32_e32 vcc, 45, v0
	s_waitcnt vmcnt(0)
	ds_write_b32 v116, v118
	s_waitcnt lgkmcnt(0)
	; wave barrier
	s_and_saveexec_b64 s[6:7], vcc
	s_cbranch_execz .LBB120_998
; %bb.989:
	s_and_b64 vcc, exec, s[4:5]
	s_cbranch_vccnz .LBB120_991
; %bb.990:
	buffer_load_dword v118, v117, s[0:3], 0 offen
	ds_read_b32 v119, v116
	s_waitcnt vmcnt(0) lgkmcnt(0)
	v_mul_f32_e32 v118, v118, v119
	s_cbranch_execz .LBB120_992
	s_branch .LBB120_993
.LBB120_991:
                                        ; implicit-def: $vgpr118
.LBB120_992:
	ds_read_b32 v118, v116
.LBB120_993:
	v_cmp_ne_u32_e32 vcc, 44, v0
	s_and_saveexec_b64 s[8:9], vcc
	s_cbranch_execz .LBB120_997
; %bb.994:
	s_mov_b32 s10, 0
	v_add_u32_e32 v119, 0xf4, v115
	v_add3_u32 v120, v115, s10, 4
	s_mov_b64 s[10:11], 0
	v_mov_b32_e32 v121, v0
.LBB120_995:                            ; =>This Inner Loop Header: Depth=1
	buffer_load_dword v122, v120, s[0:3], 0 offen
	ds_read_b32 v123, v119
	v_add_u32_e32 v121, 1, v121
	v_cmp_lt_u32_e32 vcc, 43, v121
	v_add_u32_e32 v119, 4, v119
	v_add_u32_e32 v120, 4, v120
	s_or_b64 s[10:11], vcc, s[10:11]
	s_waitcnt vmcnt(0) lgkmcnt(0)
	v_fmac_f32_e32 v118, v122, v123
	s_andn2_b64 exec, exec, s[10:11]
	s_cbranch_execnz .LBB120_995
; %bb.996:
	s_or_b64 exec, exec, s[10:11]
.LBB120_997:
	s_or_b64 exec, exec, s[8:9]
	v_mov_b32_e32 v119, 0
	ds_read_b32 v119, v119 offset:180
	s_waitcnt lgkmcnt(0)
	v_mul_f32_e32 v118, v118, v119
	buffer_store_dword v118, off, s[0:3], 0 offset:180
.LBB120_998:
	s_or_b64 exec, exec, s[6:7]
	buffer_load_dword v118, off, s[0:3], 0 offset:184
	v_cmp_gt_u32_e32 vcc, 46, v0
	s_waitcnt vmcnt(0)
	ds_write_b32 v116, v118
	s_waitcnt lgkmcnt(0)
	; wave barrier
	s_and_saveexec_b64 s[6:7], vcc
	s_cbranch_execz .LBB120_1008
; %bb.999:
	s_and_b64 vcc, exec, s[4:5]
	s_cbranch_vccnz .LBB120_1001
; %bb.1000:
	buffer_load_dword v118, v117, s[0:3], 0 offen
	ds_read_b32 v119, v116
	s_waitcnt vmcnt(0) lgkmcnt(0)
	v_mul_f32_e32 v118, v118, v119
	s_cbranch_execz .LBB120_1002
	s_branch .LBB120_1003
.LBB120_1001:
                                        ; implicit-def: $vgpr118
.LBB120_1002:
	ds_read_b32 v118, v116
.LBB120_1003:
	v_cmp_ne_u32_e32 vcc, 45, v0
	s_and_saveexec_b64 s[8:9], vcc
	s_cbranch_execz .LBB120_1007
; %bb.1004:
	s_mov_b32 s10, 0
	v_add_u32_e32 v119, 0xf4, v115
	v_add3_u32 v120, v115, s10, 4
	s_mov_b64 s[10:11], 0
	v_mov_b32_e32 v121, v0
.LBB120_1005:                           ; =>This Inner Loop Header: Depth=1
	buffer_load_dword v122, v120, s[0:3], 0 offen
	ds_read_b32 v123, v119
	v_add_u32_e32 v121, 1, v121
	v_cmp_lt_u32_e32 vcc, 44, v121
	v_add_u32_e32 v119, 4, v119
	v_add_u32_e32 v120, 4, v120
	s_or_b64 s[10:11], vcc, s[10:11]
	s_waitcnt vmcnt(0) lgkmcnt(0)
	v_fmac_f32_e32 v118, v122, v123
	s_andn2_b64 exec, exec, s[10:11]
	s_cbranch_execnz .LBB120_1005
; %bb.1006:
	s_or_b64 exec, exec, s[10:11]
.LBB120_1007:
	s_or_b64 exec, exec, s[8:9]
	v_mov_b32_e32 v119, 0
	ds_read_b32 v119, v119 offset:184
	s_waitcnt lgkmcnt(0)
	v_mul_f32_e32 v118, v118, v119
	buffer_store_dword v118, off, s[0:3], 0 offset:184
.LBB120_1008:
	s_or_b64 exec, exec, s[6:7]
	buffer_load_dword v118, off, s[0:3], 0 offset:188
	v_cmp_gt_u32_e32 vcc, 47, v0
	s_waitcnt vmcnt(0)
	ds_write_b32 v116, v118
	s_waitcnt lgkmcnt(0)
	; wave barrier
	s_and_saveexec_b64 s[6:7], vcc
	s_cbranch_execz .LBB120_1018
; %bb.1009:
	s_and_b64 vcc, exec, s[4:5]
	s_cbranch_vccnz .LBB120_1011
; %bb.1010:
	buffer_load_dword v118, v117, s[0:3], 0 offen
	ds_read_b32 v119, v116
	s_waitcnt vmcnt(0) lgkmcnt(0)
	v_mul_f32_e32 v118, v118, v119
	s_cbranch_execz .LBB120_1012
	s_branch .LBB120_1013
.LBB120_1011:
                                        ; implicit-def: $vgpr118
.LBB120_1012:
	ds_read_b32 v118, v116
.LBB120_1013:
	v_cmp_ne_u32_e32 vcc, 46, v0
	s_and_saveexec_b64 s[8:9], vcc
	s_cbranch_execz .LBB120_1017
; %bb.1014:
	s_mov_b32 s10, 0
	v_add_u32_e32 v119, 0xf4, v115
	v_add3_u32 v120, v115, s10, 4
	s_mov_b64 s[10:11], 0
	v_mov_b32_e32 v121, v0
.LBB120_1015:                           ; =>This Inner Loop Header: Depth=1
	buffer_load_dword v122, v120, s[0:3], 0 offen
	ds_read_b32 v123, v119
	v_add_u32_e32 v121, 1, v121
	v_cmp_lt_u32_e32 vcc, 45, v121
	v_add_u32_e32 v119, 4, v119
	v_add_u32_e32 v120, 4, v120
	s_or_b64 s[10:11], vcc, s[10:11]
	s_waitcnt vmcnt(0) lgkmcnt(0)
	v_fmac_f32_e32 v118, v122, v123
	s_andn2_b64 exec, exec, s[10:11]
	s_cbranch_execnz .LBB120_1015
; %bb.1016:
	s_or_b64 exec, exec, s[10:11]
.LBB120_1017:
	s_or_b64 exec, exec, s[8:9]
	v_mov_b32_e32 v119, 0
	ds_read_b32 v119, v119 offset:188
	s_waitcnt lgkmcnt(0)
	v_mul_f32_e32 v118, v118, v119
	buffer_store_dword v118, off, s[0:3], 0 offset:188
.LBB120_1018:
	;; [unrolled: 55-line block ×9, first 2 shown]
	s_or_b64 exec, exec, s[6:7]
	buffer_load_dword v118, off, s[0:3], 0 offset:220
	v_cmp_gt_u32_e64 s[6:7], 55, v0
	s_waitcnt vmcnt(0)
	ds_write_b32 v116, v118
	s_waitcnt lgkmcnt(0)
	; wave barrier
	s_and_saveexec_b64 s[8:9], s[6:7]
	s_cbranch_execz .LBB120_1098
; %bb.1089:
	s_and_b64 vcc, exec, s[4:5]
	s_cbranch_vccnz .LBB120_1091
; %bb.1090:
	buffer_load_dword v118, v117, s[0:3], 0 offen
	ds_read_b32 v119, v116
	s_waitcnt vmcnt(0) lgkmcnt(0)
	v_mul_f32_e32 v118, v118, v119
	s_cbranch_execz .LBB120_1092
	s_branch .LBB120_1093
.LBB120_1091:
                                        ; implicit-def: $vgpr118
.LBB120_1092:
	ds_read_b32 v118, v116
.LBB120_1093:
	v_cmp_ne_u32_e32 vcc, 54, v0
	s_and_saveexec_b64 s[10:11], vcc
	s_cbranch_execz .LBB120_1097
; %bb.1094:
	s_mov_b32 s12, 0
	v_add_u32_e32 v119, 0xf4, v115
	v_add3_u32 v120, v115, s12, 4
	s_mov_b64 s[12:13], 0
	v_mov_b32_e32 v121, v0
.LBB120_1095:                           ; =>This Inner Loop Header: Depth=1
	buffer_load_dword v122, v120, s[0:3], 0 offen
	ds_read_b32 v123, v119
	v_add_u32_e32 v121, 1, v121
	v_cmp_lt_u32_e32 vcc, 53, v121
	v_add_u32_e32 v119, 4, v119
	v_add_u32_e32 v120, 4, v120
	s_or_b64 s[12:13], vcc, s[12:13]
	s_waitcnt vmcnt(0) lgkmcnt(0)
	v_fmac_f32_e32 v118, v122, v123
	s_andn2_b64 exec, exec, s[12:13]
	s_cbranch_execnz .LBB120_1095
; %bb.1096:
	s_or_b64 exec, exec, s[12:13]
.LBB120_1097:
	s_or_b64 exec, exec, s[10:11]
	v_mov_b32_e32 v119, 0
	ds_read_b32 v119, v119 offset:220
	s_waitcnt lgkmcnt(0)
	v_mul_f32_e32 v118, v118, v119
	buffer_store_dword v118, off, s[0:3], 0 offset:220
.LBB120_1098:
	s_or_b64 exec, exec, s[8:9]
	buffer_load_dword v118, off, s[0:3], 0 offset:224
	v_cmp_ne_u32_e32 vcc, 56, v0
	s_waitcnt vmcnt(0)
	ds_write_b32 v116, v118
	s_waitcnt lgkmcnt(0)
	; wave barrier
	s_and_saveexec_b64 s[8:9], vcc
	s_cbranch_execz .LBB120_1108
; %bb.1099:
	s_and_b64 vcc, exec, s[4:5]
	s_cbranch_vccnz .LBB120_1101
; %bb.1100:
	buffer_load_dword v117, v117, s[0:3], 0 offen
	ds_read_b32 v118, v116
	s_waitcnt vmcnt(0) lgkmcnt(0)
	v_mul_f32_e32 v117, v117, v118
	s_cbranch_execz .LBB120_1102
	s_branch .LBB120_1103
.LBB120_1101:
                                        ; implicit-def: $vgpr117
.LBB120_1102:
	ds_read_b32 v117, v116
.LBB120_1103:
	s_and_saveexec_b64 s[4:5], s[6:7]
	s_cbranch_execz .LBB120_1107
; %bb.1104:
	s_mov_b32 s6, 0
	v_add_u32_e32 v116, 0xf4, v115
	v_add3_u32 v115, v115, s6, 4
	s_mov_b64 s[6:7], 0
.LBB120_1105:                           ; =>This Inner Loop Header: Depth=1
	buffer_load_dword v118, v115, s[0:3], 0 offen
	ds_read_b32 v119, v116
	v_add_u32_e32 v0, 1, v0
	v_cmp_lt_u32_e32 vcc, 54, v0
	v_add_u32_e32 v116, 4, v116
	v_add_u32_e32 v115, 4, v115
	s_or_b64 s[6:7], vcc, s[6:7]
	s_waitcnt vmcnt(0) lgkmcnt(0)
	v_fmac_f32_e32 v117, v118, v119
	s_andn2_b64 exec, exec, s[6:7]
	s_cbranch_execnz .LBB120_1105
; %bb.1106:
	s_or_b64 exec, exec, s[6:7]
.LBB120_1107:
	s_or_b64 exec, exec, s[4:5]
	v_mov_b32_e32 v0, 0
	ds_read_b32 v0, v0 offset:224
	s_waitcnt lgkmcnt(0)
	v_mul_f32_e32 v0, v117, v0
	buffer_store_dword v0, off, s[0:3], 0 offset:224
.LBB120_1108:
	s_or_b64 exec, exec, s[8:9]
.LBB120_1109:
	buffer_load_dword v0, off, s[0:3], 0
	s_waitcnt vmcnt(0)
	flat_store_dword v[1:2], v0
	buffer_load_dword v0, off, s[0:3], 0 offset:4
	s_waitcnt vmcnt(0)
	flat_store_dword v[3:4], v0
	buffer_load_dword v0, off, s[0:3], 0 offset:8
	;; [unrolled: 3-line block ×56, first 2 shown]
	s_waitcnt vmcnt(0)
	flat_store_dword v[113:114], v0
.LBB120_1110:
	s_endpgm
	.section	.rodata,"a",@progbits
	.p2align	6, 0x0
	.amdhsa_kernel _ZN9rocsolver6v33100L18trti2_kernel_smallILi57EfPKPfEEv13rocblas_fill_17rocblas_diagonal_T1_iil
		.amdhsa_group_segment_fixed_size 468
		.amdhsa_private_segment_fixed_size 240
		.amdhsa_kernarg_size 32
		.amdhsa_user_sgpr_count 6
		.amdhsa_user_sgpr_private_segment_buffer 1
		.amdhsa_user_sgpr_dispatch_ptr 0
		.amdhsa_user_sgpr_queue_ptr 0
		.amdhsa_user_sgpr_kernarg_segment_ptr 1
		.amdhsa_user_sgpr_dispatch_id 0
		.amdhsa_user_sgpr_flat_scratch_init 0
		.amdhsa_user_sgpr_private_segment_size 0
		.amdhsa_uses_dynamic_stack 0
		.amdhsa_system_sgpr_private_segment_wavefront_offset 1
		.amdhsa_system_sgpr_workgroup_id_x 1
		.amdhsa_system_sgpr_workgroup_id_y 0
		.amdhsa_system_sgpr_workgroup_id_z 0
		.amdhsa_system_sgpr_workgroup_info 0
		.amdhsa_system_vgpr_workitem_id 0
		.amdhsa_next_free_vgpr 124
		.amdhsa_next_free_sgpr 70
		.amdhsa_reserve_vcc 1
		.amdhsa_reserve_flat_scratch 0
		.amdhsa_float_round_mode_32 0
		.amdhsa_float_round_mode_16_64 0
		.amdhsa_float_denorm_mode_32 3
		.amdhsa_float_denorm_mode_16_64 3
		.amdhsa_dx10_clamp 1
		.amdhsa_ieee_mode 1
		.amdhsa_fp16_overflow 0
		.amdhsa_exception_fp_ieee_invalid_op 0
		.amdhsa_exception_fp_denorm_src 0
		.amdhsa_exception_fp_ieee_div_zero 0
		.amdhsa_exception_fp_ieee_overflow 0
		.amdhsa_exception_fp_ieee_underflow 0
		.amdhsa_exception_fp_ieee_inexact 0
		.amdhsa_exception_int_div_zero 0
	.end_amdhsa_kernel
	.section	.text._ZN9rocsolver6v33100L18trti2_kernel_smallILi57EfPKPfEEv13rocblas_fill_17rocblas_diagonal_T1_iil,"axG",@progbits,_ZN9rocsolver6v33100L18trti2_kernel_smallILi57EfPKPfEEv13rocblas_fill_17rocblas_diagonal_T1_iil,comdat
.Lfunc_end120:
	.size	_ZN9rocsolver6v33100L18trti2_kernel_smallILi57EfPKPfEEv13rocblas_fill_17rocblas_diagonal_T1_iil, .Lfunc_end120-_ZN9rocsolver6v33100L18trti2_kernel_smallILi57EfPKPfEEv13rocblas_fill_17rocblas_diagonal_T1_iil
                                        ; -- End function
	.set _ZN9rocsolver6v33100L18trti2_kernel_smallILi57EfPKPfEEv13rocblas_fill_17rocblas_diagonal_T1_iil.num_vgpr, 124
	.set _ZN9rocsolver6v33100L18trti2_kernel_smallILi57EfPKPfEEv13rocblas_fill_17rocblas_diagonal_T1_iil.num_agpr, 0
	.set _ZN9rocsolver6v33100L18trti2_kernel_smallILi57EfPKPfEEv13rocblas_fill_17rocblas_diagonal_T1_iil.numbered_sgpr, 70
	.set _ZN9rocsolver6v33100L18trti2_kernel_smallILi57EfPKPfEEv13rocblas_fill_17rocblas_diagonal_T1_iil.num_named_barrier, 0
	.set _ZN9rocsolver6v33100L18trti2_kernel_smallILi57EfPKPfEEv13rocblas_fill_17rocblas_diagonal_T1_iil.private_seg_size, 240
	.set _ZN9rocsolver6v33100L18trti2_kernel_smallILi57EfPKPfEEv13rocblas_fill_17rocblas_diagonal_T1_iil.uses_vcc, 1
	.set _ZN9rocsolver6v33100L18trti2_kernel_smallILi57EfPKPfEEv13rocblas_fill_17rocblas_diagonal_T1_iil.uses_flat_scratch, 0
	.set _ZN9rocsolver6v33100L18trti2_kernel_smallILi57EfPKPfEEv13rocblas_fill_17rocblas_diagonal_T1_iil.has_dyn_sized_stack, 0
	.set _ZN9rocsolver6v33100L18trti2_kernel_smallILi57EfPKPfEEv13rocblas_fill_17rocblas_diagonal_T1_iil.has_recursion, 0
	.set _ZN9rocsolver6v33100L18trti2_kernel_smallILi57EfPKPfEEv13rocblas_fill_17rocblas_diagonal_T1_iil.has_indirect_call, 0
	.section	.AMDGPU.csdata,"",@progbits
; Kernel info:
; codeLenInByte = 27760
; TotalNumSgprs: 74
; NumVgprs: 124
; ScratchSize: 240
; MemoryBound: 0
; FloatMode: 240
; IeeeMode: 1
; LDSByteSize: 468 bytes/workgroup (compile time only)
; SGPRBlocks: 9
; VGPRBlocks: 30
; NumSGPRsForWavesPerEU: 74
; NumVGPRsForWavesPerEU: 124
; Occupancy: 2
; WaveLimiterHint : 1
; COMPUTE_PGM_RSRC2:SCRATCH_EN: 1
; COMPUTE_PGM_RSRC2:USER_SGPR: 6
; COMPUTE_PGM_RSRC2:TRAP_HANDLER: 0
; COMPUTE_PGM_RSRC2:TGID_X_EN: 1
; COMPUTE_PGM_RSRC2:TGID_Y_EN: 0
; COMPUTE_PGM_RSRC2:TGID_Z_EN: 0
; COMPUTE_PGM_RSRC2:TIDIG_COMP_CNT: 0
	.section	.text._ZN9rocsolver6v33100L18trti2_kernel_smallILi58EfPKPfEEv13rocblas_fill_17rocblas_diagonal_T1_iil,"axG",@progbits,_ZN9rocsolver6v33100L18trti2_kernel_smallILi58EfPKPfEEv13rocblas_fill_17rocblas_diagonal_T1_iil,comdat
	.globl	_ZN9rocsolver6v33100L18trti2_kernel_smallILi58EfPKPfEEv13rocblas_fill_17rocblas_diagonal_T1_iil ; -- Begin function _ZN9rocsolver6v33100L18trti2_kernel_smallILi58EfPKPfEEv13rocblas_fill_17rocblas_diagonal_T1_iil
	.p2align	8
	.type	_ZN9rocsolver6v33100L18trti2_kernel_smallILi58EfPKPfEEv13rocblas_fill_17rocblas_diagonal_T1_iil,@function
_ZN9rocsolver6v33100L18trti2_kernel_smallILi58EfPKPfEEv13rocblas_fill_17rocblas_diagonal_T1_iil: ; @_ZN9rocsolver6v33100L18trti2_kernel_smallILi58EfPKPfEEv13rocblas_fill_17rocblas_diagonal_T1_iil
; %bb.0:
	s_add_u32 s0, s0, s7
	s_addc_u32 s1, s1, 0
	v_cmp_gt_u32_e32 vcc, 58, v0
	s_and_saveexec_b64 s[8:9], vcc
	s_cbranch_execz .LBB121_1130
; %bb.1:
	s_load_dwordx2 s[12:13], s[4:5], 0x10
	s_load_dwordx4 s[8:11], s[4:5], 0x0
	s_ashr_i32 s7, s6, 31
	s_lshl_b64 s[6:7], s[6:7], 3
	v_lshlrev_b32_e32 v117, 2, v0
	s_waitcnt lgkmcnt(0)
	s_ashr_i32 s5, s12, 31
	s_add_u32 s6, s10, s6
	s_addc_u32 s7, s11, s7
	s_load_dwordx2 s[6:7], s[6:7], 0x0
	s_mov_b32 s4, s12
	s_lshl_b64 s[4:5], s[4:5], 2
	s_movk_i32 s12, 0x84
	s_waitcnt lgkmcnt(0)
	s_add_u32 s4, s6, s4
	s_addc_u32 s5, s7, s5
	v_mov_b32_e32 v2, s5
	v_add_co_u32_e32 v1, vcc, s4, v117
	v_addc_co_u32_e32 v2, vcc, 0, v2, vcc
	flat_load_dword v5, v[1:2]
	s_mov_b32 s6, s13
	s_ashr_i32 s7, s13, 31
	s_lshl_b64 s[6:7], s[6:7], 2
	v_mov_b32_e32 v4, s7
	v_add_co_u32_e32 v3, vcc, s6, v1
	v_addc_co_u32_e32 v4, vcc, v2, v4, vcc
	s_add_i32 s6, s13, s13
	v_add_u32_e32 v7, s6, v0
	v_ashrrev_i32_e32 v8, 31, v7
	v_mov_b32_e32 v10, s5
	v_mov_b32_e32 v12, s5
	;; [unrolled: 1-line block ×55, first 2 shown]
	s_cmpk_lg_i32 s9, 0x84
	s_cselect_b64 s[10:11], -1, 0
	s_cmpk_eq_i32 s9, 0x84
	s_waitcnt vmcnt(0) lgkmcnt(0)
	buffer_store_dword v5, off, s[0:3], 0
	flat_load_dword v9, v[3:4]
	v_lshlrev_b64 v[5:6], 2, v[7:8]
	v_add_co_u32_e32 v5, vcc, s4, v5
	v_addc_co_u32_e32 v6, vcc, v10, v6, vcc
	s_waitcnt vmcnt(0) lgkmcnt(0)
	buffer_store_dword v9, off, s[0:3], 0 offset:4
	flat_load_dword v11, v[5:6]
	v_add_u32_e32 v9, s13, v7
	v_ashrrev_i32_e32 v10, 31, v9
	v_lshlrev_b64 v[7:8], 2, v[9:10]
	v_add_co_u32_e32 v7, vcc, s4, v7
	v_addc_co_u32_e32 v8, vcc, v12, v8, vcc
	s_waitcnt vmcnt(0) lgkmcnt(0)
	buffer_store_dword v11, off, s[0:3], 0 offset:8
	flat_load_dword v13, v[7:8]
	v_add_u32_e32 v11, s13, v9
	v_ashrrev_i32_e32 v12, 31, v11
	;; [unrolled: 8-line block ×54, first 2 shown]
	v_lshlrev_b64 v[113:114], 2, v[115:116]
	v_add_u32_e32 v115, s13, v115
	v_add_co_u32_e32 v113, vcc, s4, v113
	v_addc_co_u32_e32 v114, vcc, v119, v114, vcc
	v_ashrrev_i32_e32 v116, 31, v115
	v_lshlrev_b64 v[115:116], 2, v[115:116]
	v_add_co_u32_e32 v115, vcc, s4, v115
	v_addc_co_u32_e32 v116, vcc, v119, v116, vcc
	s_waitcnt vmcnt(0) lgkmcnt(0)
	buffer_store_dword v118, off, s[0:3], 0 offset:220
	flat_load_dword v118, v[113:114]
	s_waitcnt vmcnt(0) lgkmcnt(0)
	buffer_store_dword v118, off, s[0:3], 0 offset:224
	flat_load_dword v118, v[115:116]
	s_waitcnt vmcnt(0) lgkmcnt(0)
	buffer_store_dword v118, off, s[0:3], 0 offset:228
	v_mov_b32_e32 v118, -1.0
	s_cbranch_scc1 .LBB121_3
; %bb.2:
	v_mov_b32_e32 v118, 0
	v_lshl_add_u32 v118, v0, 2, v118
	buffer_load_dword v119, v118, s[0:3], 0 offen
	s_waitcnt vmcnt(0)
	v_div_scale_f32 v120, s[4:5], v119, v119, 1.0
	v_div_scale_f32 v121, vcc, 1.0, v119, 1.0
	v_rcp_f32_e32 v122, v120
	v_fma_f32 v123, -v120, v122, 1.0
	v_fmac_f32_e32 v122, v123, v122
	v_mul_f32_e32 v123, v121, v122
	v_fma_f32 v124, -v120, v123, v121
	v_fmac_f32_e32 v123, v124, v122
	v_fma_f32 v120, -v120, v123, v121
	v_div_fmas_f32 v120, v120, v122, v123
	v_div_fixup_f32 v119, v120, v119, 1.0
	buffer_store_dword v119, v118, s[0:3], 0 offen
	v_xor_b32_e32 v118, 0x80000000, v119
.LBB121_3:
	ds_write_b32 v117, v118
	s_cmpk_eq_i32 s8, 0x79
	v_add_u32_e32 v118, 0xf0, v117
	v_mov_b32_e32 v119, v117
	s_mov_b64 s[4:5], -1
	s_cbranch_scc1 .LBB121_567
; %bb.4:
	buffer_load_dword v120, off, s[0:3], 0 offset:224
	s_movk_i32 s30, 0x44
	s_movk_i32 s31, 0x48
	;; [unrolled: 1-line block ×38, first 2 shown]
	v_cmp_eq_u32_e64 s[4:5], 57, v0
	s_waitcnt vmcnt(0)
	ds_write_b32 v118, v120
	s_waitcnt lgkmcnt(0)
	; wave barrier
	s_and_saveexec_b64 s[6:7], s[4:5]
	s_cbranch_execz .LBB121_10
; %bb.5:
	s_and_b64 vcc, exec, s[10:11]
	s_cbranch_vccz .LBB121_7
; %bb.6:
	buffer_load_dword v120, v119, s[0:3], 0 offen
	ds_read_b32 v121, v118
	s_waitcnt vmcnt(0) lgkmcnt(0)
	v_mul_f32_e32 v120, v120, v121
	s_cbranch_execz .LBB121_8
	s_branch .LBB121_9
.LBB121_7:
                                        ; implicit-def: $vgpr120
.LBB121_8:
	ds_read_b32 v120, v118
.LBB121_9:
	v_mov_b32_e32 v121, 0
	ds_read_b32 v121, v121 offset:224
	s_waitcnt lgkmcnt(0)
	v_mul_f32_e32 v120, v120, v121
	buffer_store_dword v120, off, s[0:3], 0 offset:224
.LBB121_10:
	s_or_b64 exec, exec, s[6:7]
	buffer_load_dword v120, off, s[0:3], 0 offset:220
	s_or_b32 s14, 0, 4
	s_or_b32 s15, 0, 8
	;; [unrolled: 1-line block ×3, first 2 shown]
	s_mov_b32 s17, 16
	s_mov_b32 s18, 20
	;; [unrolled: 1-line block ×15, first 2 shown]
	v_cmp_lt_u32_e64 s[6:7], 55, v0
	s_waitcnt vmcnt(0)
	ds_write_b32 v118, v120
	s_waitcnt lgkmcnt(0)
	; wave barrier
	s_and_saveexec_b64 s[8:9], s[6:7]
	s_cbranch_execz .LBB121_16
; %bb.11:
	s_andn2_b64 vcc, exec, s[10:11]
	s_cbranch_vccnz .LBB121_13
; %bb.12:
	buffer_load_dword v120, v119, s[0:3], 0 offen
	ds_read_b32 v121, v118
	s_waitcnt vmcnt(0) lgkmcnt(0)
	v_mul_f32_e32 v120, v120, v121
	s_cbranch_execz .LBB121_14
	s_branch .LBB121_15
.LBB121_13:
                                        ; implicit-def: $vgpr120
.LBB121_14:
	ds_read_b32 v120, v118
.LBB121_15:
	buffer_load_dword v123, off, s[0:3], 0 offset:224
	v_mov_b32_e32 v121, 0
	ds_read2_b32 v[121:122], v121 offset0:55 offset1:116
	s_waitcnt vmcnt(0) lgkmcnt(0)
	v_fma_f32 v122, v123, v122, v120
	v_cndmask_b32_e64 v120, v120, v122, s[4:5]
	v_mul_f32_e32 v120, v120, v121
	buffer_store_dword v120, off, s[0:3], 0 offset:220
.LBB121_16:
	s_or_b64 exec, exec, s[8:9]
	buffer_load_dword v120, off, s[0:3], 0 offset:216
	v_cmp_lt_u32_e64 s[4:5], 54, v0
	s_waitcnt vmcnt(0)
	ds_write_b32 v118, v120
	s_waitcnt lgkmcnt(0)
	; wave barrier
	s_and_saveexec_b64 s[8:9], s[4:5]
	s_cbranch_execz .LBB121_26
; %bb.17:
	s_andn2_b64 vcc, exec, s[10:11]
	s_cbranch_vccnz .LBB121_19
; %bb.18:
	buffer_load_dword v120, v119, s[0:3], 0 offen
	ds_read_b32 v121, v118
	s_waitcnt vmcnt(0) lgkmcnt(0)
	v_mul_f32_e32 v120, v120, v121
	s_cbranch_execz .LBB121_20
	s_branch .LBB121_21
.LBB121_19:
                                        ; implicit-def: $vgpr120
.LBB121_20:
	ds_read_b32 v120, v118
.LBB121_21:
	s_and_saveexec_b64 s[12:13], s[6:7]
	s_cbranch_execz .LBB121_25
; %bb.22:
	v_subrev_u32_e32 v121, 55, v0
	s_movk_i32 s70, 0x1cc
	s_mov_b64 s[6:7], 0
.LBB121_23:                             ; =>This Inner Loop Header: Depth=1
	v_mov_b32_e32 v122, s69
	buffer_load_dword v122, v122, s[0:3], 0 offen
	v_mov_b32_e32 v123, s70
	ds_read_b32 v123, v123
	v_add_u32_e32 v121, -1, v121
	s_add_i32 s70, s70, 4
	s_add_i32 s69, s69, 4
	v_cmp_eq_u32_e32 vcc, 0, v121
	s_or_b64 s[6:7], vcc, s[6:7]
	s_waitcnt vmcnt(0) lgkmcnt(0)
	v_fmac_f32_e32 v120, v122, v123
	s_andn2_b64 exec, exec, s[6:7]
	s_cbranch_execnz .LBB121_23
; %bb.24:
	s_or_b64 exec, exec, s[6:7]
.LBB121_25:
	s_or_b64 exec, exec, s[12:13]
	v_mov_b32_e32 v121, 0
	ds_read_b32 v121, v121 offset:216
	s_waitcnt lgkmcnt(0)
	v_mul_f32_e32 v120, v120, v121
	buffer_store_dword v120, off, s[0:3], 0 offset:216
.LBB121_26:
	s_or_b64 exec, exec, s[8:9]
	buffer_load_dword v120, off, s[0:3], 0 offset:212
	v_cmp_lt_u32_e64 s[6:7], 53, v0
	s_waitcnt vmcnt(0)
	ds_write_b32 v118, v120
	s_waitcnt lgkmcnt(0)
	; wave barrier
	s_and_saveexec_b64 s[8:9], s[6:7]
	s_cbranch_execz .LBB121_36
; %bb.27:
	s_andn2_b64 vcc, exec, s[10:11]
	s_cbranch_vccnz .LBB121_29
; %bb.28:
	buffer_load_dword v120, v119, s[0:3], 0 offen
	ds_read_b32 v121, v118
	s_waitcnt vmcnt(0) lgkmcnt(0)
	v_mul_f32_e32 v120, v120, v121
	s_cbranch_execz .LBB121_30
	s_branch .LBB121_31
.LBB121_29:
                                        ; implicit-def: $vgpr120
.LBB121_30:
	ds_read_b32 v120, v118
.LBB121_31:
	s_and_saveexec_b64 s[12:13], s[4:5]
	s_cbranch_execz .LBB121_35
; %bb.32:
	v_subrev_u32_e32 v121, 54, v0
	s_movk_i32 s69, 0x1c8
	s_mov_b64 s[4:5], 0
.LBB121_33:                             ; =>This Inner Loop Header: Depth=1
	v_mov_b32_e32 v122, s68
	buffer_load_dword v122, v122, s[0:3], 0 offen
	v_mov_b32_e32 v123, s69
	ds_read_b32 v123, v123
	v_add_u32_e32 v121, -1, v121
	s_add_i32 s69, s69, 4
	s_add_i32 s68, s68, 4
	v_cmp_eq_u32_e32 vcc, 0, v121
	s_or_b64 s[4:5], vcc, s[4:5]
	s_waitcnt vmcnt(0) lgkmcnt(0)
	v_fmac_f32_e32 v120, v122, v123
	s_andn2_b64 exec, exec, s[4:5]
	s_cbranch_execnz .LBB121_33
; %bb.34:
	s_or_b64 exec, exec, s[4:5]
.LBB121_35:
	s_or_b64 exec, exec, s[12:13]
	v_mov_b32_e32 v121, 0
	ds_read_b32 v121, v121 offset:212
	s_waitcnt lgkmcnt(0)
	v_mul_f32_e32 v120, v120, v121
	buffer_store_dword v120, off, s[0:3], 0 offset:212
.LBB121_36:
	;; [unrolled: 54-line block ×8, first 2 shown]
	s_or_b64 exec, exec, s[8:9]
	buffer_load_dword v120, off, s[0:3], 0 offset:184
	v_cmp_lt_u32_e64 s[4:5], 46, v0
	s_waitcnt vmcnt(0)
	ds_write_b32 v118, v120
	s_waitcnt lgkmcnt(0)
	; wave barrier
	s_and_saveexec_b64 s[8:9], s[4:5]
	s_cbranch_execz .LBB121_106
; %bb.97:
	s_andn2_b64 vcc, exec, s[10:11]
	s_cbranch_vccnz .LBB121_99
; %bb.98:
	buffer_load_dword v120, v119, s[0:3], 0 offen
	ds_read_b32 v121, v118
	s_waitcnt vmcnt(0) lgkmcnt(0)
	v_mul_f32_e32 v120, v120, v121
	s_cbranch_execz .LBB121_100
	s_branch .LBB121_101
.LBB121_99:
                                        ; implicit-def: $vgpr120
.LBB121_100:
	ds_read_b32 v120, v118
.LBB121_101:
	s_and_saveexec_b64 s[12:13], s[6:7]
	s_cbranch_execz .LBB121_105
; %bb.102:
	v_subrev_u32_e32 v121, 47, v0
	s_movk_i32 s62, 0x1ac
	s_mov_b64 s[6:7], 0
.LBB121_103:                            ; =>This Inner Loop Header: Depth=1
	v_mov_b32_e32 v122, s61
	buffer_load_dword v122, v122, s[0:3], 0 offen
	v_mov_b32_e32 v123, s62
	ds_read_b32 v123, v123
	v_add_u32_e32 v121, -1, v121
	s_add_i32 s62, s62, 4
	s_add_i32 s61, s61, 4
	v_cmp_eq_u32_e32 vcc, 0, v121
	s_or_b64 s[6:7], vcc, s[6:7]
	s_waitcnt vmcnt(0) lgkmcnt(0)
	v_fmac_f32_e32 v120, v122, v123
	s_andn2_b64 exec, exec, s[6:7]
	s_cbranch_execnz .LBB121_103
; %bb.104:
	s_or_b64 exec, exec, s[6:7]
.LBB121_105:
	s_or_b64 exec, exec, s[12:13]
	v_mov_b32_e32 v121, 0
	ds_read_b32 v121, v121 offset:184
	s_waitcnt lgkmcnt(0)
	v_mul_f32_e32 v120, v120, v121
	buffer_store_dword v120, off, s[0:3], 0 offset:184
.LBB121_106:
	s_or_b64 exec, exec, s[8:9]
	buffer_load_dword v120, off, s[0:3], 0 offset:180
	v_cmp_lt_u32_e64 s[6:7], 45, v0
	s_waitcnt vmcnt(0)
	ds_write_b32 v118, v120
	s_waitcnt lgkmcnt(0)
	; wave barrier
	s_and_saveexec_b64 s[8:9], s[6:7]
	s_cbranch_execz .LBB121_116
; %bb.107:
	s_andn2_b64 vcc, exec, s[10:11]
	s_cbranch_vccnz .LBB121_109
; %bb.108:
	buffer_load_dword v120, v119, s[0:3], 0 offen
	ds_read_b32 v121, v118
	s_waitcnt vmcnt(0) lgkmcnt(0)
	v_mul_f32_e32 v120, v120, v121
	s_cbranch_execz .LBB121_110
	s_branch .LBB121_111
.LBB121_109:
                                        ; implicit-def: $vgpr120
.LBB121_110:
	ds_read_b32 v120, v118
.LBB121_111:
	s_and_saveexec_b64 s[12:13], s[4:5]
	s_cbranch_execz .LBB121_115
; %bb.112:
	v_subrev_u32_e32 v121, 46, v0
	s_movk_i32 s61, 0x1a8
	s_mov_b64 s[4:5], 0
.LBB121_113:                            ; =>This Inner Loop Header: Depth=1
	v_mov_b32_e32 v122, s60
	buffer_load_dword v122, v122, s[0:3], 0 offen
	v_mov_b32_e32 v123, s61
	ds_read_b32 v123, v123
	v_add_u32_e32 v121, -1, v121
	s_add_i32 s61, s61, 4
	s_add_i32 s60, s60, 4
	v_cmp_eq_u32_e32 vcc, 0, v121
	s_or_b64 s[4:5], vcc, s[4:5]
	s_waitcnt vmcnt(0) lgkmcnt(0)
	v_fmac_f32_e32 v120, v122, v123
	s_andn2_b64 exec, exec, s[4:5]
	s_cbranch_execnz .LBB121_113
; %bb.114:
	s_or_b64 exec, exec, s[4:5]
.LBB121_115:
	s_or_b64 exec, exec, s[12:13]
	v_mov_b32_e32 v121, 0
	ds_read_b32 v121, v121 offset:180
	s_waitcnt lgkmcnt(0)
	v_mul_f32_e32 v120, v120, v121
	buffer_store_dword v120, off, s[0:3], 0 offset:180
.LBB121_116:
	;; [unrolled: 54-line block ×31, first 2 shown]
	s_or_b64 exec, exec, s[8:9]
	buffer_load_dword v120, off, s[0:3], 0 offset:60
	v_cmp_lt_u32_e64 s[6:7], 15, v0
	s_waitcnt vmcnt(0)
	ds_write_b32 v118, v120
	s_waitcnt lgkmcnt(0)
	; wave barrier
	s_and_saveexec_b64 s[8:9], s[6:7]
	s_cbranch_execz .LBB121_416
; %bb.407:
	s_andn2_b64 vcc, exec, s[10:11]
	s_cbranch_vccnz .LBB121_409
; %bb.408:
	buffer_load_dword v120, v119, s[0:3], 0 offen
	ds_read_b32 v121, v118
	s_waitcnt vmcnt(0) lgkmcnt(0)
	v_mul_f32_e32 v120, v120, v121
	s_cbranch_execz .LBB121_410
	s_branch .LBB121_411
.LBB121_409:
                                        ; implicit-def: $vgpr120
.LBB121_410:
	ds_read_b32 v120, v118
.LBB121_411:
	s_and_saveexec_b64 s[12:13], s[4:5]
	s_cbranch_execz .LBB121_415
; %bb.412:
	v_add_u32_e32 v121, -16, v0
	s_movk_i32 s30, 0x130
	s_mov_b64 s[4:5], 0
.LBB121_413:                            ; =>This Inner Loop Header: Depth=1
	v_mov_b32_e32 v122, s29
	buffer_load_dword v122, v122, s[0:3], 0 offen
	v_mov_b32_e32 v123, s30
	ds_read_b32 v123, v123
	v_add_u32_e32 v121, -1, v121
	s_add_i32 s30, s30, 4
	s_add_i32 s29, s29, 4
	v_cmp_eq_u32_e32 vcc, 0, v121
	s_or_b64 s[4:5], vcc, s[4:5]
	s_waitcnt vmcnt(0) lgkmcnt(0)
	v_fmac_f32_e32 v120, v122, v123
	s_andn2_b64 exec, exec, s[4:5]
	s_cbranch_execnz .LBB121_413
; %bb.414:
	s_or_b64 exec, exec, s[4:5]
.LBB121_415:
	s_or_b64 exec, exec, s[12:13]
	v_mov_b32_e32 v121, 0
	ds_read_b32 v121, v121 offset:60
	s_waitcnt lgkmcnt(0)
	v_mul_f32_e32 v120, v120, v121
	buffer_store_dword v120, off, s[0:3], 0 offset:60
.LBB121_416:
	s_or_b64 exec, exec, s[8:9]
	buffer_load_dword v120, off, s[0:3], 0 offset:56
	v_cmp_lt_u32_e64 s[4:5], 14, v0
	s_waitcnt vmcnt(0)
	ds_write_b32 v118, v120
	s_waitcnt lgkmcnt(0)
	; wave barrier
	s_and_saveexec_b64 s[8:9], s[4:5]
	s_cbranch_execz .LBB121_426
; %bb.417:
	s_andn2_b64 vcc, exec, s[10:11]
	s_cbranch_vccnz .LBB121_419
; %bb.418:
	buffer_load_dword v120, v119, s[0:3], 0 offen
	ds_read_b32 v121, v118
	s_waitcnt vmcnt(0) lgkmcnt(0)
	v_mul_f32_e32 v120, v120, v121
	s_cbranch_execz .LBB121_420
	s_branch .LBB121_421
.LBB121_419:
                                        ; implicit-def: $vgpr120
.LBB121_420:
	ds_read_b32 v120, v118
.LBB121_421:
	s_and_saveexec_b64 s[12:13], s[6:7]
	s_cbranch_execz .LBB121_425
; %bb.422:
	v_add_u32_e32 v121, -15, v0
	s_movk_i32 s29, 0x12c
	s_mov_b64 s[6:7], 0
.LBB121_423:                            ; =>This Inner Loop Header: Depth=1
	v_mov_b32_e32 v122, s28
	buffer_load_dword v122, v122, s[0:3], 0 offen
	v_mov_b32_e32 v123, s29
	ds_read_b32 v123, v123
	v_add_u32_e32 v121, -1, v121
	s_add_i32 s29, s29, 4
	s_add_i32 s28, s28, 4
	v_cmp_eq_u32_e32 vcc, 0, v121
	s_or_b64 s[6:7], vcc, s[6:7]
	s_waitcnt vmcnt(0) lgkmcnt(0)
	v_fmac_f32_e32 v120, v122, v123
	s_andn2_b64 exec, exec, s[6:7]
	s_cbranch_execnz .LBB121_423
; %bb.424:
	s_or_b64 exec, exec, s[6:7]
.LBB121_425:
	s_or_b64 exec, exec, s[12:13]
	v_mov_b32_e32 v121, 0
	ds_read_b32 v121, v121 offset:56
	s_waitcnt lgkmcnt(0)
	v_mul_f32_e32 v120, v120, v121
	buffer_store_dword v120, off, s[0:3], 0 offset:56
.LBB121_426:
	;; [unrolled: 54-line block ×15, first 2 shown]
	s_or_b64 exec, exec, s[8:9]
	buffer_load_dword v120, off, s[0:3], 0
	v_cmp_ne_u32_e32 vcc, 0, v0
	s_waitcnt vmcnt(0)
	ds_write_b32 v118, v120
	s_waitcnt lgkmcnt(0)
	; wave barrier
	s_and_saveexec_b64 s[4:5], vcc
	s_cbranch_execz .LBB121_566
; %bb.557:
	s_andn2_b64 vcc, exec, s[10:11]
	s_cbranch_vccnz .LBB121_559
; %bb.558:
	buffer_load_dword v120, v119, s[0:3], 0 offen
	ds_read_b32 v121, v118
	s_waitcnt vmcnt(0) lgkmcnt(0)
	v_mul_f32_e32 v120, v120, v121
	s_cbranch_execz .LBB121_560
	s_branch .LBB121_561
.LBB121_559:
                                        ; implicit-def: $vgpr120
.LBB121_560:
	ds_read_b32 v120, v118
.LBB121_561:
	s_and_saveexec_b64 s[8:9], s[6:7]
	s_cbranch_execz .LBB121_565
; %bb.562:
	v_add_u32_e32 v121, -1, v0
	s_movk_i32 s12, 0xf4
	s_mov_b64 s[6:7], 0
.LBB121_563:                            ; =>This Inner Loop Header: Depth=1
	v_mov_b32_e32 v122, s14
	buffer_load_dword v122, v122, s[0:3], 0 offen
	v_mov_b32_e32 v123, s12
	ds_read_b32 v123, v123
	v_add_u32_e32 v121, -1, v121
	s_add_i32 s12, s12, 4
	s_add_i32 s14, s14, 4
	v_cmp_eq_u32_e32 vcc, 0, v121
	s_or_b64 s[6:7], vcc, s[6:7]
	s_waitcnt vmcnt(0) lgkmcnt(0)
	v_fmac_f32_e32 v120, v122, v123
	s_andn2_b64 exec, exec, s[6:7]
	s_cbranch_execnz .LBB121_563
; %bb.564:
	s_or_b64 exec, exec, s[6:7]
.LBB121_565:
	s_or_b64 exec, exec, s[8:9]
	v_mov_b32_e32 v121, 0
	ds_read_b32 v121, v121
	s_waitcnt lgkmcnt(0)
	v_mul_f32_e32 v120, v120, v121
	buffer_store_dword v120, off, s[0:3], 0
.LBB121_566:
	s_or_b64 exec, exec, s[4:5]
	s_mov_b64 s[4:5], 0
.LBB121_567:
	s_and_b64 vcc, exec, s[4:5]
	s_cbranch_vccz .LBB121_1129
; %bb.568:
	buffer_load_dword v120, off, s[0:3], 0 offset:4
	v_cmp_eq_u32_e64 s[6:7], 0, v0
	s_waitcnt vmcnt(0)
	ds_write_b32 v118, v120
	s_waitcnt lgkmcnt(0)
	; wave barrier
	s_and_saveexec_b64 s[4:5], s[6:7]
	s_cbranch_execz .LBB121_574
; %bb.569:
	s_and_b64 vcc, exec, s[10:11]
	s_cbranch_vccz .LBB121_571
; %bb.570:
	buffer_load_dword v120, v119, s[0:3], 0 offen
	ds_read_b32 v121, v118
	s_waitcnt vmcnt(0) lgkmcnt(0)
	v_mul_f32_e32 v120, v120, v121
	s_cbranch_execz .LBB121_572
	s_branch .LBB121_573
.LBB121_571:
                                        ; implicit-def: $vgpr120
.LBB121_572:
	ds_read_b32 v120, v118
.LBB121_573:
	v_mov_b32_e32 v121, 0
	ds_read_b32 v121, v121 offset:4
	s_waitcnt lgkmcnt(0)
	v_mul_f32_e32 v120, v120, v121
	buffer_store_dword v120, off, s[0:3], 0 offset:4
.LBB121_574:
	s_or_b64 exec, exec, s[4:5]
	buffer_load_dword v120, off, s[0:3], 0 offset:8
	v_cndmask_b32_e64 v121, 0, 1, s[10:11]
	v_cmp_gt_u32_e32 vcc, 2, v0
	v_cmp_ne_u32_e64 s[4:5], 1, v121
	s_waitcnt vmcnt(0)
	ds_write_b32 v118, v120
	s_waitcnt lgkmcnt(0)
	; wave barrier
	s_and_saveexec_b64 s[8:9], vcc
	s_cbranch_execz .LBB121_580
; %bb.575:
	s_and_b64 vcc, exec, s[4:5]
	s_cbranch_vccnz .LBB121_577
; %bb.576:
	buffer_load_dword v120, v119, s[0:3], 0 offen
	ds_read_b32 v121, v118
	s_waitcnt vmcnt(0) lgkmcnt(0)
	v_mul_f32_e32 v120, v120, v121
	s_cbranch_execz .LBB121_578
	s_branch .LBB121_579
.LBB121_577:
                                        ; implicit-def: $vgpr120
.LBB121_578:
	ds_read_b32 v120, v118
.LBB121_579:
	buffer_load_dword v123, off, s[0:3], 0 offset:4
	v_mov_b32_e32 v121, 0
	ds_read2_b32 v[121:122], v121 offset0:2 offset1:61
	s_waitcnt vmcnt(0) lgkmcnt(0)
	v_fma_f32 v122, v123, v122, v120
	v_cndmask_b32_e64 v120, v120, v122, s[6:7]
	v_mul_f32_e32 v120, v120, v121
	buffer_store_dword v120, off, s[0:3], 0 offset:8
.LBB121_580:
	s_or_b64 exec, exec, s[8:9]
	buffer_load_dword v120, off, s[0:3], 0 offset:12
	v_cmp_gt_u32_e32 vcc, 3, v0
	s_waitcnt vmcnt(0)
	ds_write_b32 v118, v120
	s_waitcnt lgkmcnt(0)
	; wave barrier
	s_and_saveexec_b64 s[8:9], vcc
	s_cbranch_execz .LBB121_588
; %bb.581:
	s_and_b64 vcc, exec, s[4:5]
	s_cbranch_vccnz .LBB121_583
; %bb.582:
	buffer_load_dword v120, v119, s[0:3], 0 offen
	ds_read_b32 v121, v118
	s_waitcnt vmcnt(0) lgkmcnt(0)
	v_mul_f32_e32 v120, v120, v121
	s_cbranch_execz .LBB121_584
	s_branch .LBB121_585
.LBB121_583:
                                        ; implicit-def: $vgpr120
.LBB121_584:
	ds_read_b32 v120, v118
.LBB121_585:
	v_cmp_ne_u32_e32 vcc, 2, v0
	s_and_saveexec_b64 s[10:11], vcc
	s_cbranch_execz .LBB121_587
; %bb.586:
	buffer_load_dword v121, v119, s[0:3], 0 offen offset:4
	buffer_load_dword v122, off, s[0:3], 0 offset:8
	v_mov_b32_e32 v123, 0
	ds_read_b32 v124, v118 offset:4
	ds_read_b32 v123, v123 offset:248
	s_waitcnt vmcnt(1) lgkmcnt(1)
	v_fmac_f32_e32 v120, v121, v124
	s_waitcnt vmcnt(0) lgkmcnt(0)
	v_fma_f32 v121, v122, v123, v120
	v_cndmask_b32_e64 v120, v120, v121, s[6:7]
.LBB121_587:
	s_or_b64 exec, exec, s[10:11]
	v_mov_b32_e32 v121, 0
	ds_read_b32 v121, v121 offset:12
	s_waitcnt lgkmcnt(0)
	v_mul_f32_e32 v120, v120, v121
	buffer_store_dword v120, off, s[0:3], 0 offset:12
.LBB121_588:
	s_or_b64 exec, exec, s[8:9]
	buffer_load_dword v120, off, s[0:3], 0 offset:16
	v_cmp_gt_u32_e32 vcc, 4, v0
	s_waitcnt vmcnt(0)
	ds_write_b32 v118, v120
	s_waitcnt lgkmcnt(0)
	; wave barrier
	s_and_saveexec_b64 s[6:7], vcc
	s_cbranch_execz .LBB121_598
; %bb.589:
	s_and_b64 vcc, exec, s[4:5]
	s_cbranch_vccnz .LBB121_591
; %bb.590:
	buffer_load_dword v120, v119, s[0:3], 0 offen
	ds_read_b32 v121, v118
	s_waitcnt vmcnt(0) lgkmcnt(0)
	v_mul_f32_e32 v120, v120, v121
	s_cbranch_execz .LBB121_592
	s_branch .LBB121_593
.LBB121_591:
                                        ; implicit-def: $vgpr120
.LBB121_592:
	ds_read_b32 v120, v118
.LBB121_593:
	v_cmp_ne_u32_e32 vcc, 3, v0
	s_and_saveexec_b64 s[8:9], vcc
	s_cbranch_execz .LBB121_597
; %bb.594:
	s_mov_b32 s10, 0
	v_add_u32_e32 v121, 0xf4, v117
	v_add3_u32 v122, v117, s10, 4
	s_mov_b64 s[10:11], 0
	v_mov_b32_e32 v123, v0
.LBB121_595:                            ; =>This Inner Loop Header: Depth=1
	buffer_load_dword v124, v122, s[0:3], 0 offen
	ds_read_b32 v125, v121
	v_add_u32_e32 v123, 1, v123
	v_cmp_lt_u32_e32 vcc, 2, v123
	v_add_u32_e32 v121, 4, v121
	v_add_u32_e32 v122, 4, v122
	s_or_b64 s[10:11], vcc, s[10:11]
	s_waitcnt vmcnt(0) lgkmcnt(0)
	v_fmac_f32_e32 v120, v124, v125
	s_andn2_b64 exec, exec, s[10:11]
	s_cbranch_execnz .LBB121_595
; %bb.596:
	s_or_b64 exec, exec, s[10:11]
.LBB121_597:
	s_or_b64 exec, exec, s[8:9]
	v_mov_b32_e32 v121, 0
	ds_read_b32 v121, v121 offset:16
	s_waitcnt lgkmcnt(0)
	v_mul_f32_e32 v120, v120, v121
	buffer_store_dword v120, off, s[0:3], 0 offset:16
.LBB121_598:
	s_or_b64 exec, exec, s[6:7]
	buffer_load_dword v120, off, s[0:3], 0 offset:20
	v_cmp_gt_u32_e32 vcc, 5, v0
	s_waitcnt vmcnt(0)
	ds_write_b32 v118, v120
	s_waitcnt lgkmcnt(0)
	; wave barrier
	s_and_saveexec_b64 s[6:7], vcc
	s_cbranch_execz .LBB121_608
; %bb.599:
	s_and_b64 vcc, exec, s[4:5]
	s_cbranch_vccnz .LBB121_601
; %bb.600:
	buffer_load_dword v120, v119, s[0:3], 0 offen
	ds_read_b32 v121, v118
	s_waitcnt vmcnt(0) lgkmcnt(0)
	v_mul_f32_e32 v120, v120, v121
	s_cbranch_execz .LBB121_602
	s_branch .LBB121_603
.LBB121_601:
                                        ; implicit-def: $vgpr120
.LBB121_602:
	ds_read_b32 v120, v118
.LBB121_603:
	v_cmp_ne_u32_e32 vcc, 4, v0
	s_and_saveexec_b64 s[8:9], vcc
	s_cbranch_execz .LBB121_607
; %bb.604:
	s_mov_b32 s10, 0
	v_add_u32_e32 v121, 0xf4, v117
	v_add3_u32 v122, v117, s10, 4
	s_mov_b64 s[10:11], 0
	v_mov_b32_e32 v123, v0
.LBB121_605:                            ; =>This Inner Loop Header: Depth=1
	buffer_load_dword v124, v122, s[0:3], 0 offen
	ds_read_b32 v125, v121
	v_add_u32_e32 v123, 1, v123
	v_cmp_lt_u32_e32 vcc, 3, v123
	v_add_u32_e32 v121, 4, v121
	v_add_u32_e32 v122, 4, v122
	s_or_b64 s[10:11], vcc, s[10:11]
	s_waitcnt vmcnt(0) lgkmcnt(0)
	v_fmac_f32_e32 v120, v124, v125
	s_andn2_b64 exec, exec, s[10:11]
	s_cbranch_execnz .LBB121_605
; %bb.606:
	s_or_b64 exec, exec, s[10:11]
.LBB121_607:
	s_or_b64 exec, exec, s[8:9]
	v_mov_b32_e32 v121, 0
	ds_read_b32 v121, v121 offset:20
	s_waitcnt lgkmcnt(0)
	v_mul_f32_e32 v120, v120, v121
	buffer_store_dword v120, off, s[0:3], 0 offset:20
.LBB121_608:
	;; [unrolled: 55-line block ×41, first 2 shown]
	s_or_b64 exec, exec, s[6:7]
	buffer_load_dword v120, off, s[0:3], 0 offset:180
	v_cmp_gt_u32_e32 vcc, 45, v0
	s_waitcnt vmcnt(0)
	ds_write_b32 v118, v120
	s_waitcnt lgkmcnt(0)
	; wave barrier
	s_and_saveexec_b64 s[6:7], vcc
	s_cbranch_execz .LBB121_1008
; %bb.999:
	s_and_b64 vcc, exec, s[4:5]
	s_cbranch_vccnz .LBB121_1001
; %bb.1000:
	buffer_load_dword v120, v119, s[0:3], 0 offen
	ds_read_b32 v121, v118
	s_waitcnt vmcnt(0) lgkmcnt(0)
	v_mul_f32_e32 v120, v120, v121
	s_cbranch_execz .LBB121_1002
	s_branch .LBB121_1003
.LBB121_1001:
                                        ; implicit-def: $vgpr120
.LBB121_1002:
	ds_read_b32 v120, v118
.LBB121_1003:
	v_cmp_ne_u32_e32 vcc, 44, v0
	s_and_saveexec_b64 s[8:9], vcc
	s_cbranch_execz .LBB121_1007
; %bb.1004:
	s_mov_b32 s10, 0
	v_add_u32_e32 v121, 0xf4, v117
	v_add3_u32 v122, v117, s10, 4
	s_mov_b64 s[10:11], 0
	v_mov_b32_e32 v123, v0
.LBB121_1005:                           ; =>This Inner Loop Header: Depth=1
	buffer_load_dword v124, v122, s[0:3], 0 offen
	ds_read_b32 v125, v121
	v_add_u32_e32 v123, 1, v123
	v_cmp_lt_u32_e32 vcc, 43, v123
	v_add_u32_e32 v121, 4, v121
	v_add_u32_e32 v122, 4, v122
	s_or_b64 s[10:11], vcc, s[10:11]
	s_waitcnt vmcnt(0) lgkmcnt(0)
	v_fmac_f32_e32 v120, v124, v125
	s_andn2_b64 exec, exec, s[10:11]
	s_cbranch_execnz .LBB121_1005
; %bb.1006:
	s_or_b64 exec, exec, s[10:11]
.LBB121_1007:
	s_or_b64 exec, exec, s[8:9]
	v_mov_b32_e32 v121, 0
	ds_read_b32 v121, v121 offset:180
	s_waitcnt lgkmcnt(0)
	v_mul_f32_e32 v120, v120, v121
	buffer_store_dword v120, off, s[0:3], 0 offset:180
.LBB121_1008:
	s_or_b64 exec, exec, s[6:7]
	buffer_load_dword v120, off, s[0:3], 0 offset:184
	v_cmp_gt_u32_e32 vcc, 46, v0
	s_waitcnt vmcnt(0)
	ds_write_b32 v118, v120
	s_waitcnt lgkmcnt(0)
	; wave barrier
	s_and_saveexec_b64 s[6:7], vcc
	s_cbranch_execz .LBB121_1018
; %bb.1009:
	s_and_b64 vcc, exec, s[4:5]
	s_cbranch_vccnz .LBB121_1011
; %bb.1010:
	buffer_load_dword v120, v119, s[0:3], 0 offen
	ds_read_b32 v121, v118
	s_waitcnt vmcnt(0) lgkmcnt(0)
	v_mul_f32_e32 v120, v120, v121
	s_cbranch_execz .LBB121_1012
	s_branch .LBB121_1013
.LBB121_1011:
                                        ; implicit-def: $vgpr120
.LBB121_1012:
	ds_read_b32 v120, v118
.LBB121_1013:
	v_cmp_ne_u32_e32 vcc, 45, v0
	s_and_saveexec_b64 s[8:9], vcc
	s_cbranch_execz .LBB121_1017
; %bb.1014:
	s_mov_b32 s10, 0
	v_add_u32_e32 v121, 0xf4, v117
	v_add3_u32 v122, v117, s10, 4
	s_mov_b64 s[10:11], 0
	v_mov_b32_e32 v123, v0
.LBB121_1015:                           ; =>This Inner Loop Header: Depth=1
	buffer_load_dword v124, v122, s[0:3], 0 offen
	ds_read_b32 v125, v121
	v_add_u32_e32 v123, 1, v123
	v_cmp_lt_u32_e32 vcc, 44, v123
	v_add_u32_e32 v121, 4, v121
	v_add_u32_e32 v122, 4, v122
	s_or_b64 s[10:11], vcc, s[10:11]
	s_waitcnt vmcnt(0) lgkmcnt(0)
	v_fmac_f32_e32 v120, v124, v125
	s_andn2_b64 exec, exec, s[10:11]
	s_cbranch_execnz .LBB121_1015
; %bb.1016:
	s_or_b64 exec, exec, s[10:11]
.LBB121_1017:
	s_or_b64 exec, exec, s[8:9]
	v_mov_b32_e32 v121, 0
	ds_read_b32 v121, v121 offset:184
	s_waitcnt lgkmcnt(0)
	v_mul_f32_e32 v120, v120, v121
	buffer_store_dword v120, off, s[0:3], 0 offset:184
.LBB121_1018:
	;; [unrolled: 55-line block ×11, first 2 shown]
	s_or_b64 exec, exec, s[6:7]
	buffer_load_dword v120, off, s[0:3], 0 offset:224
	v_cmp_gt_u32_e64 s[6:7], 56, v0
	s_waitcnt vmcnt(0)
	ds_write_b32 v118, v120
	s_waitcnt lgkmcnt(0)
	; wave barrier
	s_and_saveexec_b64 s[8:9], s[6:7]
	s_cbranch_execz .LBB121_1118
; %bb.1109:
	s_and_b64 vcc, exec, s[4:5]
	s_cbranch_vccnz .LBB121_1111
; %bb.1110:
	buffer_load_dword v120, v119, s[0:3], 0 offen
	ds_read_b32 v121, v118
	s_waitcnt vmcnt(0) lgkmcnt(0)
	v_mul_f32_e32 v120, v120, v121
	s_cbranch_execz .LBB121_1112
	s_branch .LBB121_1113
.LBB121_1111:
                                        ; implicit-def: $vgpr120
.LBB121_1112:
	ds_read_b32 v120, v118
.LBB121_1113:
	v_cmp_ne_u32_e32 vcc, 55, v0
	s_and_saveexec_b64 s[10:11], vcc
	s_cbranch_execz .LBB121_1117
; %bb.1114:
	s_mov_b32 s12, 0
	v_add_u32_e32 v121, 0xf4, v117
	v_add3_u32 v122, v117, s12, 4
	s_mov_b64 s[12:13], 0
	v_mov_b32_e32 v123, v0
.LBB121_1115:                           ; =>This Inner Loop Header: Depth=1
	buffer_load_dword v124, v122, s[0:3], 0 offen
	ds_read_b32 v125, v121
	v_add_u32_e32 v123, 1, v123
	v_cmp_lt_u32_e32 vcc, 54, v123
	v_add_u32_e32 v121, 4, v121
	v_add_u32_e32 v122, 4, v122
	s_or_b64 s[12:13], vcc, s[12:13]
	s_waitcnt vmcnt(0) lgkmcnt(0)
	v_fmac_f32_e32 v120, v124, v125
	s_andn2_b64 exec, exec, s[12:13]
	s_cbranch_execnz .LBB121_1115
; %bb.1116:
	s_or_b64 exec, exec, s[12:13]
.LBB121_1117:
	s_or_b64 exec, exec, s[10:11]
	v_mov_b32_e32 v121, 0
	ds_read_b32 v121, v121 offset:224
	s_waitcnt lgkmcnt(0)
	v_mul_f32_e32 v120, v120, v121
	buffer_store_dword v120, off, s[0:3], 0 offset:224
.LBB121_1118:
	s_or_b64 exec, exec, s[8:9]
	buffer_load_dword v120, off, s[0:3], 0 offset:228
	v_cmp_ne_u32_e32 vcc, 57, v0
	s_waitcnt vmcnt(0)
	ds_write_b32 v118, v120
	s_waitcnt lgkmcnt(0)
	; wave barrier
	s_and_saveexec_b64 s[8:9], vcc
	s_cbranch_execz .LBB121_1128
; %bb.1119:
	s_and_b64 vcc, exec, s[4:5]
	s_cbranch_vccnz .LBB121_1121
; %bb.1120:
	buffer_load_dword v119, v119, s[0:3], 0 offen
	ds_read_b32 v120, v118
	s_waitcnt vmcnt(0) lgkmcnt(0)
	v_mul_f32_e32 v119, v119, v120
	s_cbranch_execz .LBB121_1122
	s_branch .LBB121_1123
.LBB121_1121:
                                        ; implicit-def: $vgpr119
.LBB121_1122:
	ds_read_b32 v119, v118
.LBB121_1123:
	s_and_saveexec_b64 s[4:5], s[6:7]
	s_cbranch_execz .LBB121_1127
; %bb.1124:
	s_mov_b32 s6, 0
	v_add_u32_e32 v118, 0xf4, v117
	v_add3_u32 v117, v117, s6, 4
	s_mov_b64 s[6:7], 0
.LBB121_1125:                           ; =>This Inner Loop Header: Depth=1
	buffer_load_dword v120, v117, s[0:3], 0 offen
	ds_read_b32 v121, v118
	v_add_u32_e32 v0, 1, v0
	v_cmp_lt_u32_e32 vcc, 55, v0
	v_add_u32_e32 v118, 4, v118
	v_add_u32_e32 v117, 4, v117
	s_or_b64 s[6:7], vcc, s[6:7]
	s_waitcnt vmcnt(0) lgkmcnt(0)
	v_fmac_f32_e32 v119, v120, v121
	s_andn2_b64 exec, exec, s[6:7]
	s_cbranch_execnz .LBB121_1125
; %bb.1126:
	s_or_b64 exec, exec, s[6:7]
.LBB121_1127:
	s_or_b64 exec, exec, s[4:5]
	v_mov_b32_e32 v0, 0
	ds_read_b32 v0, v0 offset:228
	s_waitcnt lgkmcnt(0)
	v_mul_f32_e32 v0, v119, v0
	buffer_store_dword v0, off, s[0:3], 0 offset:228
.LBB121_1128:
	s_or_b64 exec, exec, s[8:9]
.LBB121_1129:
	buffer_load_dword v0, off, s[0:3], 0
	s_waitcnt vmcnt(0)
	flat_store_dword v[1:2], v0
	buffer_load_dword v0, off, s[0:3], 0 offset:4
	s_waitcnt vmcnt(0)
	flat_store_dword v[3:4], v0
	buffer_load_dword v0, off, s[0:3], 0 offset:8
	;; [unrolled: 3-line block ×57, first 2 shown]
	s_waitcnt vmcnt(0)
	flat_store_dword v[115:116], v0
.LBB121_1130:
	s_endpgm
	.section	.rodata,"a",@progbits
	.p2align	6, 0x0
	.amdhsa_kernel _ZN9rocsolver6v33100L18trti2_kernel_smallILi58EfPKPfEEv13rocblas_fill_17rocblas_diagonal_T1_iil
		.amdhsa_group_segment_fixed_size 472
		.amdhsa_private_segment_fixed_size 240
		.amdhsa_kernarg_size 32
		.amdhsa_user_sgpr_count 6
		.amdhsa_user_sgpr_private_segment_buffer 1
		.amdhsa_user_sgpr_dispatch_ptr 0
		.amdhsa_user_sgpr_queue_ptr 0
		.amdhsa_user_sgpr_kernarg_segment_ptr 1
		.amdhsa_user_sgpr_dispatch_id 0
		.amdhsa_user_sgpr_flat_scratch_init 0
		.amdhsa_user_sgpr_private_segment_size 0
		.amdhsa_uses_dynamic_stack 0
		.amdhsa_system_sgpr_private_segment_wavefront_offset 1
		.amdhsa_system_sgpr_workgroup_id_x 1
		.amdhsa_system_sgpr_workgroup_id_y 0
		.amdhsa_system_sgpr_workgroup_id_z 0
		.amdhsa_system_sgpr_workgroup_info 0
		.amdhsa_system_vgpr_workitem_id 0
		.amdhsa_next_free_vgpr 126
		.amdhsa_next_free_sgpr 71
		.amdhsa_reserve_vcc 1
		.amdhsa_reserve_flat_scratch 0
		.amdhsa_float_round_mode_32 0
		.amdhsa_float_round_mode_16_64 0
		.amdhsa_float_denorm_mode_32 3
		.amdhsa_float_denorm_mode_16_64 3
		.amdhsa_dx10_clamp 1
		.amdhsa_ieee_mode 1
		.amdhsa_fp16_overflow 0
		.amdhsa_exception_fp_ieee_invalid_op 0
		.amdhsa_exception_fp_denorm_src 0
		.amdhsa_exception_fp_ieee_div_zero 0
		.amdhsa_exception_fp_ieee_overflow 0
		.amdhsa_exception_fp_ieee_underflow 0
		.amdhsa_exception_fp_ieee_inexact 0
		.amdhsa_exception_int_div_zero 0
	.end_amdhsa_kernel
	.section	.text._ZN9rocsolver6v33100L18trti2_kernel_smallILi58EfPKPfEEv13rocblas_fill_17rocblas_diagonal_T1_iil,"axG",@progbits,_ZN9rocsolver6v33100L18trti2_kernel_smallILi58EfPKPfEEv13rocblas_fill_17rocblas_diagonal_T1_iil,comdat
.Lfunc_end121:
	.size	_ZN9rocsolver6v33100L18trti2_kernel_smallILi58EfPKPfEEv13rocblas_fill_17rocblas_diagonal_T1_iil, .Lfunc_end121-_ZN9rocsolver6v33100L18trti2_kernel_smallILi58EfPKPfEEv13rocblas_fill_17rocblas_diagonal_T1_iil
                                        ; -- End function
	.set _ZN9rocsolver6v33100L18trti2_kernel_smallILi58EfPKPfEEv13rocblas_fill_17rocblas_diagonal_T1_iil.num_vgpr, 126
	.set _ZN9rocsolver6v33100L18trti2_kernel_smallILi58EfPKPfEEv13rocblas_fill_17rocblas_diagonal_T1_iil.num_agpr, 0
	.set _ZN9rocsolver6v33100L18trti2_kernel_smallILi58EfPKPfEEv13rocblas_fill_17rocblas_diagonal_T1_iil.numbered_sgpr, 71
	.set _ZN9rocsolver6v33100L18trti2_kernel_smallILi58EfPKPfEEv13rocblas_fill_17rocblas_diagonal_T1_iil.num_named_barrier, 0
	.set _ZN9rocsolver6v33100L18trti2_kernel_smallILi58EfPKPfEEv13rocblas_fill_17rocblas_diagonal_T1_iil.private_seg_size, 240
	.set _ZN9rocsolver6v33100L18trti2_kernel_smallILi58EfPKPfEEv13rocblas_fill_17rocblas_diagonal_T1_iil.uses_vcc, 1
	.set _ZN9rocsolver6v33100L18trti2_kernel_smallILi58EfPKPfEEv13rocblas_fill_17rocblas_diagonal_T1_iil.uses_flat_scratch, 0
	.set _ZN9rocsolver6v33100L18trti2_kernel_smallILi58EfPKPfEEv13rocblas_fill_17rocblas_diagonal_T1_iil.has_dyn_sized_stack, 0
	.set _ZN9rocsolver6v33100L18trti2_kernel_smallILi58EfPKPfEEv13rocblas_fill_17rocblas_diagonal_T1_iil.has_recursion, 0
	.set _ZN9rocsolver6v33100L18trti2_kernel_smallILi58EfPKPfEEv13rocblas_fill_17rocblas_diagonal_T1_iil.has_indirect_call, 0
	.section	.AMDGPU.csdata,"",@progbits
; Kernel info:
; codeLenInByte = 28256
; TotalNumSgprs: 75
; NumVgprs: 126
; ScratchSize: 240
; MemoryBound: 0
; FloatMode: 240
; IeeeMode: 1
; LDSByteSize: 472 bytes/workgroup (compile time only)
; SGPRBlocks: 9
; VGPRBlocks: 31
; NumSGPRsForWavesPerEU: 75
; NumVGPRsForWavesPerEU: 126
; Occupancy: 2
; WaveLimiterHint : 1
; COMPUTE_PGM_RSRC2:SCRATCH_EN: 1
; COMPUTE_PGM_RSRC2:USER_SGPR: 6
; COMPUTE_PGM_RSRC2:TRAP_HANDLER: 0
; COMPUTE_PGM_RSRC2:TGID_X_EN: 1
; COMPUTE_PGM_RSRC2:TGID_Y_EN: 0
; COMPUTE_PGM_RSRC2:TGID_Z_EN: 0
; COMPUTE_PGM_RSRC2:TIDIG_COMP_CNT: 0
	.section	.text._ZN9rocsolver6v33100L18trti2_kernel_smallILi59EfPKPfEEv13rocblas_fill_17rocblas_diagonal_T1_iil,"axG",@progbits,_ZN9rocsolver6v33100L18trti2_kernel_smallILi59EfPKPfEEv13rocblas_fill_17rocblas_diagonal_T1_iil,comdat
	.globl	_ZN9rocsolver6v33100L18trti2_kernel_smallILi59EfPKPfEEv13rocblas_fill_17rocblas_diagonal_T1_iil ; -- Begin function _ZN9rocsolver6v33100L18trti2_kernel_smallILi59EfPKPfEEv13rocblas_fill_17rocblas_diagonal_T1_iil
	.p2align	8
	.type	_ZN9rocsolver6v33100L18trti2_kernel_smallILi59EfPKPfEEv13rocblas_fill_17rocblas_diagonal_T1_iil,@function
_ZN9rocsolver6v33100L18trti2_kernel_smallILi59EfPKPfEEv13rocblas_fill_17rocblas_diagonal_T1_iil: ; @_ZN9rocsolver6v33100L18trti2_kernel_smallILi59EfPKPfEEv13rocblas_fill_17rocblas_diagonal_T1_iil
; %bb.0:
	s_add_u32 s0, s0, s7
	s_addc_u32 s1, s1, 0
	v_cmp_gt_u32_e32 vcc, 59, v0
	s_and_saveexec_b64 s[8:9], vcc
	s_cbranch_execz .LBB122_1150
; %bb.1:
	s_load_dwordx2 s[12:13], s[4:5], 0x10
	s_load_dwordx4 s[8:11], s[4:5], 0x0
	s_ashr_i32 s7, s6, 31
	s_lshl_b64 s[6:7], s[6:7], 3
	v_lshlrev_b32_e32 v119, 2, v0
	s_waitcnt lgkmcnt(0)
	s_ashr_i32 s5, s12, 31
	s_add_u32 s6, s10, s6
	s_addc_u32 s7, s11, s7
	s_load_dwordx2 s[6:7], s[6:7], 0x0
	s_mov_b32 s4, s12
	s_lshl_b64 s[4:5], s[4:5], 2
	s_movk_i32 s12, 0x84
	s_waitcnt lgkmcnt(0)
	s_add_u32 s4, s6, s4
	s_addc_u32 s5, s7, s5
	v_mov_b32_e32 v2, s5
	v_add_co_u32_e32 v1, vcc, s4, v119
	v_addc_co_u32_e32 v2, vcc, 0, v2, vcc
	flat_load_dword v5, v[1:2]
	s_mov_b32 s6, s13
	s_ashr_i32 s7, s13, 31
	s_lshl_b64 s[6:7], s[6:7], 2
	v_mov_b32_e32 v4, s7
	v_add_co_u32_e32 v3, vcc, s6, v1
	v_addc_co_u32_e32 v4, vcc, v2, v4, vcc
	s_add_i32 s6, s13, s13
	v_add_u32_e32 v7, s6, v0
	v_ashrrev_i32_e32 v8, 31, v7
	v_mov_b32_e32 v10, s5
	v_mov_b32_e32 v12, s5
	;; [unrolled: 1-line block ×56, first 2 shown]
	s_cmpk_lg_i32 s9, 0x84
	s_cselect_b64 s[10:11], -1, 0
	s_cmpk_eq_i32 s9, 0x84
	s_waitcnt vmcnt(0) lgkmcnt(0)
	buffer_store_dword v5, off, s[0:3], 0
	flat_load_dword v9, v[3:4]
	v_lshlrev_b64 v[5:6], 2, v[7:8]
	v_add_co_u32_e32 v5, vcc, s4, v5
	v_addc_co_u32_e32 v6, vcc, v10, v6, vcc
	s_waitcnt vmcnt(0) lgkmcnt(0)
	buffer_store_dword v9, off, s[0:3], 0 offset:4
	flat_load_dword v11, v[5:6]
	v_add_u32_e32 v9, s13, v7
	v_ashrrev_i32_e32 v10, 31, v9
	v_lshlrev_b64 v[7:8], 2, v[9:10]
	v_add_co_u32_e32 v7, vcc, s4, v7
	v_addc_co_u32_e32 v8, vcc, v12, v8, vcc
	s_waitcnt vmcnt(0) lgkmcnt(0)
	buffer_store_dword v11, off, s[0:3], 0 offset:8
	flat_load_dword v13, v[7:8]
	v_add_u32_e32 v11, s13, v9
	v_ashrrev_i32_e32 v12, 31, v11
	;; [unrolled: 8-line block ×55, first 2 shown]
	v_lshlrev_b64 v[115:116], 2, v[117:118]
	v_add_u32_e32 v117, s13, v117
	v_add_co_u32_e32 v115, vcc, s4, v115
	v_addc_co_u32_e32 v116, vcc, v121, v116, vcc
	v_ashrrev_i32_e32 v118, 31, v117
	v_lshlrev_b64 v[117:118], 2, v[117:118]
	v_add_co_u32_e32 v117, vcc, s4, v117
	v_addc_co_u32_e32 v118, vcc, v121, v118, vcc
	s_waitcnt vmcnt(0) lgkmcnt(0)
	buffer_store_dword v120, off, s[0:3], 0 offset:224
	flat_load_dword v120, v[115:116]
	s_waitcnt vmcnt(0) lgkmcnt(0)
	buffer_store_dword v120, off, s[0:3], 0 offset:228
	flat_load_dword v120, v[117:118]
	s_waitcnt vmcnt(0) lgkmcnt(0)
	buffer_store_dword v120, off, s[0:3], 0 offset:232
	v_mov_b32_e32 v120, -1.0
	s_cbranch_scc1 .LBB122_3
; %bb.2:
	v_mov_b32_e32 v120, 0
	v_lshl_add_u32 v120, v0, 2, v120
	buffer_load_dword v121, v120, s[0:3], 0 offen
	s_waitcnt vmcnt(0)
	v_div_scale_f32 v122, s[4:5], v121, v121, 1.0
	v_div_scale_f32 v123, vcc, 1.0, v121, 1.0
	v_rcp_f32_e32 v124, v122
	v_fma_f32 v125, -v122, v124, 1.0
	v_fmac_f32_e32 v124, v125, v124
	v_mul_f32_e32 v125, v123, v124
	v_fma_f32 v126, -v122, v125, v123
	v_fmac_f32_e32 v125, v126, v124
	v_fma_f32 v122, -v122, v125, v123
	v_div_fmas_f32 v122, v122, v124, v125
	v_div_fixup_f32 v121, v122, v121, 1.0
	buffer_store_dword v121, v120, s[0:3], 0 offen
	v_xor_b32_e32 v120, 0x80000000, v121
.LBB122_3:
	ds_write_b32 v119, v120
	s_cmpk_eq_i32 s8, 0x79
	v_add_u32_e32 v120, 0xf0, v119
	v_mov_b32_e32 v121, v119
	s_mov_b64 s[4:5], -1
	s_cbranch_scc1 .LBB122_577
; %bb.4:
	buffer_load_dword v122, off, s[0:3], 0 offset:228
	s_movk_i32 s30, 0x44
	s_movk_i32 s31, 0x48
	;; [unrolled: 1-line block ×39, first 2 shown]
	v_cmp_eq_u32_e64 s[4:5], 58, v0
	s_waitcnt vmcnt(0)
	ds_write_b32 v120, v122
	s_waitcnt lgkmcnt(0)
	; wave barrier
	s_and_saveexec_b64 s[6:7], s[4:5]
	s_cbranch_execz .LBB122_10
; %bb.5:
	s_and_b64 vcc, exec, s[10:11]
	s_cbranch_vccz .LBB122_7
; %bb.6:
	buffer_load_dword v122, v121, s[0:3], 0 offen
	ds_read_b32 v123, v120
	s_waitcnt vmcnt(0) lgkmcnt(0)
	v_mul_f32_e32 v122, v122, v123
	s_cbranch_execz .LBB122_8
	s_branch .LBB122_9
.LBB122_7:
                                        ; implicit-def: $vgpr122
.LBB122_8:
	ds_read_b32 v122, v120
.LBB122_9:
	v_mov_b32_e32 v123, 0
	ds_read_b32 v123, v123 offset:228
	s_waitcnt lgkmcnt(0)
	v_mul_f32_e32 v122, v122, v123
	buffer_store_dword v122, off, s[0:3], 0 offset:228
.LBB122_10:
	s_or_b64 exec, exec, s[6:7]
	buffer_load_dword v122, off, s[0:3], 0 offset:224
	s_or_b32 s14, 0, 4
	s_or_b32 s15, 0, 8
	s_or_b32 s16, 0, 12
	s_mov_b32 s17, 16
	s_mov_b32 s18, 20
	;; [unrolled: 1-line block ×15, first 2 shown]
	v_cmp_lt_u32_e64 s[6:7], 56, v0
	s_waitcnt vmcnt(0)
	ds_write_b32 v120, v122
	s_waitcnt lgkmcnt(0)
	; wave barrier
	s_and_saveexec_b64 s[8:9], s[6:7]
	s_cbranch_execz .LBB122_16
; %bb.11:
	s_andn2_b64 vcc, exec, s[10:11]
	s_cbranch_vccnz .LBB122_13
; %bb.12:
	buffer_load_dword v122, v121, s[0:3], 0 offen
	ds_read_b32 v123, v120
	s_waitcnt vmcnt(0) lgkmcnt(0)
	v_mul_f32_e32 v122, v122, v123
	s_cbranch_execz .LBB122_14
	s_branch .LBB122_15
.LBB122_13:
                                        ; implicit-def: $vgpr122
.LBB122_14:
	ds_read_b32 v122, v120
.LBB122_15:
	buffer_load_dword v125, off, s[0:3], 0 offset:228
	v_mov_b32_e32 v123, 0
	ds_read2_b32 v[123:124], v123 offset0:56 offset1:117
	s_waitcnt vmcnt(0) lgkmcnt(0)
	v_fma_f32 v124, v125, v124, v122
	v_cndmask_b32_e64 v122, v122, v124, s[4:5]
	v_mul_f32_e32 v122, v122, v123
	buffer_store_dword v122, off, s[0:3], 0 offset:224
.LBB122_16:
	s_or_b64 exec, exec, s[8:9]
	buffer_load_dword v122, off, s[0:3], 0 offset:220
	v_cmp_lt_u32_e64 s[4:5], 55, v0
	s_waitcnt vmcnt(0)
	ds_write_b32 v120, v122
	s_waitcnt lgkmcnt(0)
	; wave barrier
	s_and_saveexec_b64 s[8:9], s[4:5]
	s_cbranch_execz .LBB122_26
; %bb.17:
	s_andn2_b64 vcc, exec, s[10:11]
	s_cbranch_vccnz .LBB122_19
; %bb.18:
	buffer_load_dword v122, v121, s[0:3], 0 offen
	ds_read_b32 v123, v120
	s_waitcnt vmcnt(0) lgkmcnt(0)
	v_mul_f32_e32 v122, v122, v123
	s_cbranch_execz .LBB122_20
	s_branch .LBB122_21
.LBB122_19:
                                        ; implicit-def: $vgpr122
.LBB122_20:
	ds_read_b32 v122, v120
.LBB122_21:
	s_and_saveexec_b64 s[12:13], s[6:7]
	s_cbranch_execz .LBB122_25
; %bb.22:
	v_subrev_u32_e32 v123, 56, v0
	s_movk_i32 s71, 0x1d0
	s_mov_b64 s[6:7], 0
.LBB122_23:                             ; =>This Inner Loop Header: Depth=1
	v_mov_b32_e32 v124, s70
	buffer_load_dword v124, v124, s[0:3], 0 offen
	v_mov_b32_e32 v125, s71
	ds_read_b32 v125, v125
	v_add_u32_e32 v123, -1, v123
	s_add_i32 s71, s71, 4
	s_add_i32 s70, s70, 4
	v_cmp_eq_u32_e32 vcc, 0, v123
	s_or_b64 s[6:7], vcc, s[6:7]
	s_waitcnt vmcnt(0) lgkmcnt(0)
	v_fmac_f32_e32 v122, v124, v125
	s_andn2_b64 exec, exec, s[6:7]
	s_cbranch_execnz .LBB122_23
; %bb.24:
	s_or_b64 exec, exec, s[6:7]
.LBB122_25:
	s_or_b64 exec, exec, s[12:13]
	v_mov_b32_e32 v123, 0
	ds_read_b32 v123, v123 offset:220
	s_waitcnt lgkmcnt(0)
	v_mul_f32_e32 v122, v122, v123
	buffer_store_dword v122, off, s[0:3], 0 offset:220
.LBB122_26:
	s_or_b64 exec, exec, s[8:9]
	buffer_load_dword v122, off, s[0:3], 0 offset:216
	v_cmp_lt_u32_e64 s[6:7], 54, v0
	s_waitcnt vmcnt(0)
	ds_write_b32 v120, v122
	s_waitcnt lgkmcnt(0)
	; wave barrier
	s_and_saveexec_b64 s[8:9], s[6:7]
	s_cbranch_execz .LBB122_36
; %bb.27:
	s_andn2_b64 vcc, exec, s[10:11]
	s_cbranch_vccnz .LBB122_29
; %bb.28:
	buffer_load_dword v122, v121, s[0:3], 0 offen
	ds_read_b32 v123, v120
	s_waitcnt vmcnt(0) lgkmcnt(0)
	v_mul_f32_e32 v122, v122, v123
	s_cbranch_execz .LBB122_30
	s_branch .LBB122_31
.LBB122_29:
                                        ; implicit-def: $vgpr122
.LBB122_30:
	ds_read_b32 v122, v120
.LBB122_31:
	s_and_saveexec_b64 s[12:13], s[4:5]
	s_cbranch_execz .LBB122_35
; %bb.32:
	v_subrev_u32_e32 v123, 55, v0
	s_movk_i32 s70, 0x1cc
	s_mov_b64 s[4:5], 0
.LBB122_33:                             ; =>This Inner Loop Header: Depth=1
	v_mov_b32_e32 v124, s69
	buffer_load_dword v124, v124, s[0:3], 0 offen
	v_mov_b32_e32 v125, s70
	ds_read_b32 v125, v125
	v_add_u32_e32 v123, -1, v123
	s_add_i32 s70, s70, 4
	s_add_i32 s69, s69, 4
	v_cmp_eq_u32_e32 vcc, 0, v123
	s_or_b64 s[4:5], vcc, s[4:5]
	s_waitcnt vmcnt(0) lgkmcnt(0)
	v_fmac_f32_e32 v122, v124, v125
	s_andn2_b64 exec, exec, s[4:5]
	s_cbranch_execnz .LBB122_33
; %bb.34:
	s_or_b64 exec, exec, s[4:5]
.LBB122_35:
	s_or_b64 exec, exec, s[12:13]
	v_mov_b32_e32 v123, 0
	ds_read_b32 v123, v123 offset:216
	s_waitcnt lgkmcnt(0)
	v_mul_f32_e32 v122, v122, v123
	buffer_store_dword v122, off, s[0:3], 0 offset:216
.LBB122_36:
	s_or_b64 exec, exec, s[8:9]
	buffer_load_dword v122, off, s[0:3], 0 offset:212
	v_cmp_lt_u32_e64 s[4:5], 53, v0
	s_waitcnt vmcnt(0)
	ds_write_b32 v120, v122
	s_waitcnt lgkmcnt(0)
	; wave barrier
	s_and_saveexec_b64 s[8:9], s[4:5]
	s_cbranch_execz .LBB122_46
; %bb.37:
	s_andn2_b64 vcc, exec, s[10:11]
	s_cbranch_vccnz .LBB122_39
; %bb.38:
	buffer_load_dword v122, v121, s[0:3], 0 offen
	ds_read_b32 v123, v120
	s_waitcnt vmcnt(0) lgkmcnt(0)
	v_mul_f32_e32 v122, v122, v123
	s_cbranch_execz .LBB122_40
	s_branch .LBB122_41
.LBB122_39:
                                        ; implicit-def: $vgpr122
.LBB122_40:
	ds_read_b32 v122, v120
.LBB122_41:
	s_and_saveexec_b64 s[12:13], s[6:7]
	s_cbranch_execz .LBB122_45
; %bb.42:
	v_subrev_u32_e32 v123, 54, v0
	s_movk_i32 s69, 0x1c8
	s_mov_b64 s[6:7], 0
.LBB122_43:                             ; =>This Inner Loop Header: Depth=1
	v_mov_b32_e32 v124, s68
	buffer_load_dword v124, v124, s[0:3], 0 offen
	v_mov_b32_e32 v125, s69
	ds_read_b32 v125, v125
	v_add_u32_e32 v123, -1, v123
	s_add_i32 s69, s69, 4
	s_add_i32 s68, s68, 4
	v_cmp_eq_u32_e32 vcc, 0, v123
	s_or_b64 s[6:7], vcc, s[6:7]
	s_waitcnt vmcnt(0) lgkmcnt(0)
	v_fmac_f32_e32 v122, v124, v125
	s_andn2_b64 exec, exec, s[6:7]
	s_cbranch_execnz .LBB122_43
; %bb.44:
	s_or_b64 exec, exec, s[6:7]
.LBB122_45:
	s_or_b64 exec, exec, s[12:13]
	v_mov_b32_e32 v123, 0
	ds_read_b32 v123, v123 offset:212
	s_waitcnt lgkmcnt(0)
	v_mul_f32_e32 v122, v122, v123
	buffer_store_dword v122, off, s[0:3], 0 offset:212
.LBB122_46:
	s_or_b64 exec, exec, s[8:9]
	buffer_load_dword v122, off, s[0:3], 0 offset:208
	v_cmp_lt_u32_e64 s[6:7], 52, v0
	s_waitcnt vmcnt(0)
	ds_write_b32 v120, v122
	s_waitcnt lgkmcnt(0)
	; wave barrier
	s_and_saveexec_b64 s[8:9], s[6:7]
	s_cbranch_execz .LBB122_56
; %bb.47:
	s_andn2_b64 vcc, exec, s[10:11]
	s_cbranch_vccnz .LBB122_49
; %bb.48:
	buffer_load_dword v122, v121, s[0:3], 0 offen
	ds_read_b32 v123, v120
	s_waitcnt vmcnt(0) lgkmcnt(0)
	v_mul_f32_e32 v122, v122, v123
	s_cbranch_execz .LBB122_50
	s_branch .LBB122_51
.LBB122_49:
                                        ; implicit-def: $vgpr122
.LBB122_50:
	ds_read_b32 v122, v120
.LBB122_51:
	s_and_saveexec_b64 s[12:13], s[4:5]
	s_cbranch_execz .LBB122_55
; %bb.52:
	v_subrev_u32_e32 v123, 53, v0
	s_movk_i32 s68, 0x1c4
	s_mov_b64 s[4:5], 0
.LBB122_53:                             ; =>This Inner Loop Header: Depth=1
	v_mov_b32_e32 v124, s67
	buffer_load_dword v124, v124, s[0:3], 0 offen
	v_mov_b32_e32 v125, s68
	ds_read_b32 v125, v125
	v_add_u32_e32 v123, -1, v123
	s_add_i32 s68, s68, 4
	s_add_i32 s67, s67, 4
	v_cmp_eq_u32_e32 vcc, 0, v123
	s_or_b64 s[4:5], vcc, s[4:5]
	s_waitcnt vmcnt(0) lgkmcnt(0)
	v_fmac_f32_e32 v122, v124, v125
	s_andn2_b64 exec, exec, s[4:5]
	s_cbranch_execnz .LBB122_53
; %bb.54:
	s_or_b64 exec, exec, s[4:5]
.LBB122_55:
	s_or_b64 exec, exec, s[12:13]
	v_mov_b32_e32 v123, 0
	ds_read_b32 v123, v123 offset:208
	s_waitcnt lgkmcnt(0)
	v_mul_f32_e32 v122, v122, v123
	buffer_store_dword v122, off, s[0:3], 0 offset:208
.LBB122_56:
	s_or_b64 exec, exec, s[8:9]
	buffer_load_dword v122, off, s[0:3], 0 offset:204
	v_cmp_lt_u32_e64 s[4:5], 51, v0
	s_waitcnt vmcnt(0)
	ds_write_b32 v120, v122
	s_waitcnt lgkmcnt(0)
	; wave barrier
	s_and_saveexec_b64 s[8:9], s[4:5]
	s_cbranch_execz .LBB122_66
; %bb.57:
	s_andn2_b64 vcc, exec, s[10:11]
	s_cbranch_vccnz .LBB122_59
; %bb.58:
	buffer_load_dword v122, v121, s[0:3], 0 offen
	ds_read_b32 v123, v120
	s_waitcnt vmcnt(0) lgkmcnt(0)
	v_mul_f32_e32 v122, v122, v123
	s_cbranch_execz .LBB122_60
	s_branch .LBB122_61
.LBB122_59:
                                        ; implicit-def: $vgpr122
.LBB122_60:
	ds_read_b32 v122, v120
.LBB122_61:
	s_and_saveexec_b64 s[12:13], s[6:7]
	s_cbranch_execz .LBB122_65
; %bb.62:
	v_subrev_u32_e32 v123, 52, v0
	s_movk_i32 s67, 0x1c0
	s_mov_b64 s[6:7], 0
.LBB122_63:                             ; =>This Inner Loop Header: Depth=1
	v_mov_b32_e32 v124, s66
	buffer_load_dword v124, v124, s[0:3], 0 offen
	v_mov_b32_e32 v125, s67
	ds_read_b32 v125, v125
	v_add_u32_e32 v123, -1, v123
	s_add_i32 s67, s67, 4
	s_add_i32 s66, s66, 4
	v_cmp_eq_u32_e32 vcc, 0, v123
	s_or_b64 s[6:7], vcc, s[6:7]
	s_waitcnt vmcnt(0) lgkmcnt(0)
	v_fmac_f32_e32 v122, v124, v125
	s_andn2_b64 exec, exec, s[6:7]
	s_cbranch_execnz .LBB122_63
; %bb.64:
	s_or_b64 exec, exec, s[6:7]
.LBB122_65:
	s_or_b64 exec, exec, s[12:13]
	v_mov_b32_e32 v123, 0
	ds_read_b32 v123, v123 offset:204
	s_waitcnt lgkmcnt(0)
	v_mul_f32_e32 v122, v122, v123
	buffer_store_dword v122, off, s[0:3], 0 offset:204
.LBB122_66:
	s_or_b64 exec, exec, s[8:9]
	buffer_load_dword v122, off, s[0:3], 0 offset:200
	v_cmp_lt_u32_e64 s[6:7], 50, v0
	s_waitcnt vmcnt(0)
	ds_write_b32 v120, v122
	s_waitcnt lgkmcnt(0)
	; wave barrier
	s_and_saveexec_b64 s[8:9], s[6:7]
	s_cbranch_execz .LBB122_76
; %bb.67:
	s_andn2_b64 vcc, exec, s[10:11]
	s_cbranch_vccnz .LBB122_69
; %bb.68:
	buffer_load_dword v122, v121, s[0:3], 0 offen
	ds_read_b32 v123, v120
	s_waitcnt vmcnt(0) lgkmcnt(0)
	v_mul_f32_e32 v122, v122, v123
	s_cbranch_execz .LBB122_70
	s_branch .LBB122_71
.LBB122_69:
                                        ; implicit-def: $vgpr122
.LBB122_70:
	ds_read_b32 v122, v120
.LBB122_71:
	s_and_saveexec_b64 s[12:13], s[4:5]
	s_cbranch_execz .LBB122_75
; %bb.72:
	v_subrev_u32_e32 v123, 51, v0
	s_movk_i32 s66, 0x1bc
	s_mov_b64 s[4:5], 0
.LBB122_73:                             ; =>This Inner Loop Header: Depth=1
	v_mov_b32_e32 v124, s65
	buffer_load_dword v124, v124, s[0:3], 0 offen
	v_mov_b32_e32 v125, s66
	ds_read_b32 v125, v125
	v_add_u32_e32 v123, -1, v123
	s_add_i32 s66, s66, 4
	s_add_i32 s65, s65, 4
	v_cmp_eq_u32_e32 vcc, 0, v123
	s_or_b64 s[4:5], vcc, s[4:5]
	s_waitcnt vmcnt(0) lgkmcnt(0)
	v_fmac_f32_e32 v122, v124, v125
	s_andn2_b64 exec, exec, s[4:5]
	s_cbranch_execnz .LBB122_73
; %bb.74:
	s_or_b64 exec, exec, s[4:5]
.LBB122_75:
	s_or_b64 exec, exec, s[12:13]
	v_mov_b32_e32 v123, 0
	ds_read_b32 v123, v123 offset:200
	s_waitcnt lgkmcnt(0)
	v_mul_f32_e32 v122, v122, v123
	buffer_store_dword v122, off, s[0:3], 0 offset:200
.LBB122_76:
	s_or_b64 exec, exec, s[8:9]
	buffer_load_dword v122, off, s[0:3], 0 offset:196
	v_cmp_lt_u32_e64 s[4:5], 49, v0
	s_waitcnt vmcnt(0)
	ds_write_b32 v120, v122
	s_waitcnt lgkmcnt(0)
	; wave barrier
	s_and_saveexec_b64 s[8:9], s[4:5]
	s_cbranch_execz .LBB122_86
; %bb.77:
	s_andn2_b64 vcc, exec, s[10:11]
	s_cbranch_vccnz .LBB122_79
; %bb.78:
	buffer_load_dword v122, v121, s[0:3], 0 offen
	ds_read_b32 v123, v120
	s_waitcnt vmcnt(0) lgkmcnt(0)
	v_mul_f32_e32 v122, v122, v123
	s_cbranch_execz .LBB122_80
	s_branch .LBB122_81
.LBB122_79:
                                        ; implicit-def: $vgpr122
.LBB122_80:
	ds_read_b32 v122, v120
.LBB122_81:
	s_and_saveexec_b64 s[12:13], s[6:7]
	s_cbranch_execz .LBB122_85
; %bb.82:
	v_subrev_u32_e32 v123, 50, v0
	s_movk_i32 s65, 0x1b8
	s_mov_b64 s[6:7], 0
.LBB122_83:                             ; =>This Inner Loop Header: Depth=1
	v_mov_b32_e32 v124, s64
	buffer_load_dword v124, v124, s[0:3], 0 offen
	v_mov_b32_e32 v125, s65
	ds_read_b32 v125, v125
	v_add_u32_e32 v123, -1, v123
	s_add_i32 s65, s65, 4
	s_add_i32 s64, s64, 4
	v_cmp_eq_u32_e32 vcc, 0, v123
	s_or_b64 s[6:7], vcc, s[6:7]
	s_waitcnt vmcnt(0) lgkmcnt(0)
	v_fmac_f32_e32 v122, v124, v125
	s_andn2_b64 exec, exec, s[6:7]
	s_cbranch_execnz .LBB122_83
; %bb.84:
	s_or_b64 exec, exec, s[6:7]
.LBB122_85:
	s_or_b64 exec, exec, s[12:13]
	v_mov_b32_e32 v123, 0
	ds_read_b32 v123, v123 offset:196
	s_waitcnt lgkmcnt(0)
	v_mul_f32_e32 v122, v122, v123
	buffer_store_dword v122, off, s[0:3], 0 offset:196
.LBB122_86:
	s_or_b64 exec, exec, s[8:9]
	buffer_load_dword v122, off, s[0:3], 0 offset:192
	v_cmp_lt_u32_e64 s[6:7], 48, v0
	s_waitcnt vmcnt(0)
	ds_write_b32 v120, v122
	s_waitcnt lgkmcnt(0)
	; wave barrier
	s_and_saveexec_b64 s[8:9], s[6:7]
	s_cbranch_execz .LBB122_96
; %bb.87:
	s_andn2_b64 vcc, exec, s[10:11]
	s_cbranch_vccnz .LBB122_89
; %bb.88:
	buffer_load_dword v122, v121, s[0:3], 0 offen
	ds_read_b32 v123, v120
	s_waitcnt vmcnt(0) lgkmcnt(0)
	v_mul_f32_e32 v122, v122, v123
	s_cbranch_execz .LBB122_90
	s_branch .LBB122_91
.LBB122_89:
                                        ; implicit-def: $vgpr122
.LBB122_90:
	ds_read_b32 v122, v120
.LBB122_91:
	s_and_saveexec_b64 s[12:13], s[4:5]
	s_cbranch_execz .LBB122_95
; %bb.92:
	v_subrev_u32_e32 v123, 49, v0
	s_movk_i32 s64, 0x1b4
	s_mov_b64 s[4:5], 0
.LBB122_93:                             ; =>This Inner Loop Header: Depth=1
	v_mov_b32_e32 v124, s63
	buffer_load_dword v124, v124, s[0:3], 0 offen
	v_mov_b32_e32 v125, s64
	ds_read_b32 v125, v125
	v_add_u32_e32 v123, -1, v123
	s_add_i32 s64, s64, 4
	s_add_i32 s63, s63, 4
	v_cmp_eq_u32_e32 vcc, 0, v123
	s_or_b64 s[4:5], vcc, s[4:5]
	s_waitcnt vmcnt(0) lgkmcnt(0)
	v_fmac_f32_e32 v122, v124, v125
	s_andn2_b64 exec, exec, s[4:5]
	s_cbranch_execnz .LBB122_93
; %bb.94:
	s_or_b64 exec, exec, s[4:5]
.LBB122_95:
	s_or_b64 exec, exec, s[12:13]
	v_mov_b32_e32 v123, 0
	ds_read_b32 v123, v123 offset:192
	s_waitcnt lgkmcnt(0)
	v_mul_f32_e32 v122, v122, v123
	buffer_store_dword v122, off, s[0:3], 0 offset:192
.LBB122_96:
	s_or_b64 exec, exec, s[8:9]
	buffer_load_dword v122, off, s[0:3], 0 offset:188
	v_cmp_lt_u32_e64 s[4:5], 47, v0
	s_waitcnt vmcnt(0)
	ds_write_b32 v120, v122
	s_waitcnt lgkmcnt(0)
	; wave barrier
	s_and_saveexec_b64 s[8:9], s[4:5]
	s_cbranch_execz .LBB122_106
; %bb.97:
	s_andn2_b64 vcc, exec, s[10:11]
	s_cbranch_vccnz .LBB122_99
; %bb.98:
	buffer_load_dword v122, v121, s[0:3], 0 offen
	ds_read_b32 v123, v120
	s_waitcnt vmcnt(0) lgkmcnt(0)
	v_mul_f32_e32 v122, v122, v123
	s_cbranch_execz .LBB122_100
	s_branch .LBB122_101
.LBB122_99:
                                        ; implicit-def: $vgpr122
.LBB122_100:
	ds_read_b32 v122, v120
.LBB122_101:
	s_and_saveexec_b64 s[12:13], s[6:7]
	s_cbranch_execz .LBB122_105
; %bb.102:
	v_subrev_u32_e32 v123, 48, v0
	s_movk_i32 s63, 0x1b0
	s_mov_b64 s[6:7], 0
.LBB122_103:                            ; =>This Inner Loop Header: Depth=1
	v_mov_b32_e32 v124, s62
	buffer_load_dword v124, v124, s[0:3], 0 offen
	v_mov_b32_e32 v125, s63
	ds_read_b32 v125, v125
	v_add_u32_e32 v123, -1, v123
	s_add_i32 s63, s63, 4
	s_add_i32 s62, s62, 4
	v_cmp_eq_u32_e32 vcc, 0, v123
	s_or_b64 s[6:7], vcc, s[6:7]
	s_waitcnt vmcnt(0) lgkmcnt(0)
	v_fmac_f32_e32 v122, v124, v125
	s_andn2_b64 exec, exec, s[6:7]
	s_cbranch_execnz .LBB122_103
; %bb.104:
	s_or_b64 exec, exec, s[6:7]
.LBB122_105:
	s_or_b64 exec, exec, s[12:13]
	v_mov_b32_e32 v123, 0
	ds_read_b32 v123, v123 offset:188
	s_waitcnt lgkmcnt(0)
	v_mul_f32_e32 v122, v122, v123
	buffer_store_dword v122, off, s[0:3], 0 offset:188
.LBB122_106:
	s_or_b64 exec, exec, s[8:9]
	buffer_load_dword v122, off, s[0:3], 0 offset:184
	v_cmp_lt_u32_e64 s[6:7], 46, v0
	s_waitcnt vmcnt(0)
	ds_write_b32 v120, v122
	s_waitcnt lgkmcnt(0)
	; wave barrier
	s_and_saveexec_b64 s[8:9], s[6:7]
	s_cbranch_execz .LBB122_116
; %bb.107:
	s_andn2_b64 vcc, exec, s[10:11]
	s_cbranch_vccnz .LBB122_109
; %bb.108:
	buffer_load_dword v122, v121, s[0:3], 0 offen
	ds_read_b32 v123, v120
	s_waitcnt vmcnt(0) lgkmcnt(0)
	v_mul_f32_e32 v122, v122, v123
	s_cbranch_execz .LBB122_110
	s_branch .LBB122_111
.LBB122_109:
                                        ; implicit-def: $vgpr122
.LBB122_110:
	ds_read_b32 v122, v120
.LBB122_111:
	s_and_saveexec_b64 s[12:13], s[4:5]
	s_cbranch_execz .LBB122_115
; %bb.112:
	v_subrev_u32_e32 v123, 47, v0
	s_movk_i32 s62, 0x1ac
	s_mov_b64 s[4:5], 0
.LBB122_113:                            ; =>This Inner Loop Header: Depth=1
	v_mov_b32_e32 v124, s61
	buffer_load_dword v124, v124, s[0:3], 0 offen
	v_mov_b32_e32 v125, s62
	ds_read_b32 v125, v125
	v_add_u32_e32 v123, -1, v123
	s_add_i32 s62, s62, 4
	s_add_i32 s61, s61, 4
	v_cmp_eq_u32_e32 vcc, 0, v123
	s_or_b64 s[4:5], vcc, s[4:5]
	s_waitcnt vmcnt(0) lgkmcnt(0)
	v_fmac_f32_e32 v122, v124, v125
	s_andn2_b64 exec, exec, s[4:5]
	s_cbranch_execnz .LBB122_113
; %bb.114:
	s_or_b64 exec, exec, s[4:5]
.LBB122_115:
	s_or_b64 exec, exec, s[12:13]
	v_mov_b32_e32 v123, 0
	ds_read_b32 v123, v123 offset:184
	s_waitcnt lgkmcnt(0)
	v_mul_f32_e32 v122, v122, v123
	buffer_store_dword v122, off, s[0:3], 0 offset:184
.LBB122_116:
	;; [unrolled: 54-line block ×32, first 2 shown]
	s_or_b64 exec, exec, s[8:9]
	buffer_load_dword v122, off, s[0:3], 0 offset:60
	v_cmp_lt_u32_e64 s[4:5], 15, v0
	s_waitcnt vmcnt(0)
	ds_write_b32 v120, v122
	s_waitcnt lgkmcnt(0)
	; wave barrier
	s_and_saveexec_b64 s[8:9], s[4:5]
	s_cbranch_execz .LBB122_426
; %bb.417:
	s_andn2_b64 vcc, exec, s[10:11]
	s_cbranch_vccnz .LBB122_419
; %bb.418:
	buffer_load_dword v122, v121, s[0:3], 0 offen
	ds_read_b32 v123, v120
	s_waitcnt vmcnt(0) lgkmcnt(0)
	v_mul_f32_e32 v122, v122, v123
	s_cbranch_execz .LBB122_420
	s_branch .LBB122_421
.LBB122_419:
                                        ; implicit-def: $vgpr122
.LBB122_420:
	ds_read_b32 v122, v120
.LBB122_421:
	s_and_saveexec_b64 s[12:13], s[6:7]
	s_cbranch_execz .LBB122_425
; %bb.422:
	v_add_u32_e32 v123, -16, v0
	s_movk_i32 s30, 0x130
	s_mov_b64 s[6:7], 0
.LBB122_423:                            ; =>This Inner Loop Header: Depth=1
	v_mov_b32_e32 v124, s29
	buffer_load_dword v124, v124, s[0:3], 0 offen
	v_mov_b32_e32 v125, s30
	ds_read_b32 v125, v125
	v_add_u32_e32 v123, -1, v123
	s_add_i32 s30, s30, 4
	s_add_i32 s29, s29, 4
	v_cmp_eq_u32_e32 vcc, 0, v123
	s_or_b64 s[6:7], vcc, s[6:7]
	s_waitcnt vmcnt(0) lgkmcnt(0)
	v_fmac_f32_e32 v122, v124, v125
	s_andn2_b64 exec, exec, s[6:7]
	s_cbranch_execnz .LBB122_423
; %bb.424:
	s_or_b64 exec, exec, s[6:7]
.LBB122_425:
	s_or_b64 exec, exec, s[12:13]
	v_mov_b32_e32 v123, 0
	ds_read_b32 v123, v123 offset:60
	s_waitcnt lgkmcnt(0)
	v_mul_f32_e32 v122, v122, v123
	buffer_store_dword v122, off, s[0:3], 0 offset:60
.LBB122_426:
	s_or_b64 exec, exec, s[8:9]
	buffer_load_dword v122, off, s[0:3], 0 offset:56
	v_cmp_lt_u32_e64 s[6:7], 14, v0
	s_waitcnt vmcnt(0)
	ds_write_b32 v120, v122
	s_waitcnt lgkmcnt(0)
	; wave barrier
	s_and_saveexec_b64 s[8:9], s[6:7]
	s_cbranch_execz .LBB122_436
; %bb.427:
	s_andn2_b64 vcc, exec, s[10:11]
	s_cbranch_vccnz .LBB122_429
; %bb.428:
	buffer_load_dword v122, v121, s[0:3], 0 offen
	ds_read_b32 v123, v120
	s_waitcnt vmcnt(0) lgkmcnt(0)
	v_mul_f32_e32 v122, v122, v123
	s_cbranch_execz .LBB122_430
	s_branch .LBB122_431
.LBB122_429:
                                        ; implicit-def: $vgpr122
.LBB122_430:
	ds_read_b32 v122, v120
.LBB122_431:
	s_and_saveexec_b64 s[12:13], s[4:5]
	s_cbranch_execz .LBB122_435
; %bb.432:
	v_add_u32_e32 v123, -15, v0
	s_movk_i32 s29, 0x12c
	s_mov_b64 s[4:5], 0
.LBB122_433:                            ; =>This Inner Loop Header: Depth=1
	v_mov_b32_e32 v124, s28
	buffer_load_dword v124, v124, s[0:3], 0 offen
	v_mov_b32_e32 v125, s29
	ds_read_b32 v125, v125
	v_add_u32_e32 v123, -1, v123
	s_add_i32 s29, s29, 4
	s_add_i32 s28, s28, 4
	v_cmp_eq_u32_e32 vcc, 0, v123
	s_or_b64 s[4:5], vcc, s[4:5]
	s_waitcnt vmcnt(0) lgkmcnt(0)
	v_fmac_f32_e32 v122, v124, v125
	s_andn2_b64 exec, exec, s[4:5]
	s_cbranch_execnz .LBB122_433
; %bb.434:
	s_or_b64 exec, exec, s[4:5]
.LBB122_435:
	s_or_b64 exec, exec, s[12:13]
	v_mov_b32_e32 v123, 0
	ds_read_b32 v123, v123 offset:56
	s_waitcnt lgkmcnt(0)
	v_mul_f32_e32 v122, v122, v123
	buffer_store_dword v122, off, s[0:3], 0 offset:56
.LBB122_436:
	;; [unrolled: 54-line block ×15, first 2 shown]
	s_or_b64 exec, exec, s[8:9]
	buffer_load_dword v122, off, s[0:3], 0
	v_cmp_ne_u32_e32 vcc, 0, v0
	s_waitcnt vmcnt(0)
	ds_write_b32 v120, v122
	s_waitcnt lgkmcnt(0)
	; wave barrier
	s_and_saveexec_b64 s[6:7], vcc
	s_cbranch_execz .LBB122_576
; %bb.567:
	s_andn2_b64 vcc, exec, s[10:11]
	s_cbranch_vccnz .LBB122_569
; %bb.568:
	buffer_load_dword v122, v121, s[0:3], 0 offen
	ds_read_b32 v123, v120
	s_waitcnt vmcnt(0) lgkmcnt(0)
	v_mul_f32_e32 v122, v122, v123
	s_cbranch_execz .LBB122_570
	s_branch .LBB122_571
.LBB122_569:
                                        ; implicit-def: $vgpr122
.LBB122_570:
	ds_read_b32 v122, v120
.LBB122_571:
	s_and_saveexec_b64 s[8:9], s[4:5]
	s_cbranch_execz .LBB122_575
; %bb.572:
	v_add_u32_e32 v123, -1, v0
	s_movk_i32 s12, 0xf4
	s_mov_b64 s[4:5], 0
.LBB122_573:                            ; =>This Inner Loop Header: Depth=1
	v_mov_b32_e32 v124, s14
	buffer_load_dword v124, v124, s[0:3], 0 offen
	v_mov_b32_e32 v125, s12
	ds_read_b32 v125, v125
	v_add_u32_e32 v123, -1, v123
	s_add_i32 s12, s12, 4
	s_add_i32 s14, s14, 4
	v_cmp_eq_u32_e32 vcc, 0, v123
	s_or_b64 s[4:5], vcc, s[4:5]
	s_waitcnt vmcnt(0) lgkmcnt(0)
	v_fmac_f32_e32 v122, v124, v125
	s_andn2_b64 exec, exec, s[4:5]
	s_cbranch_execnz .LBB122_573
; %bb.574:
	s_or_b64 exec, exec, s[4:5]
.LBB122_575:
	s_or_b64 exec, exec, s[8:9]
	v_mov_b32_e32 v123, 0
	ds_read_b32 v123, v123
	s_waitcnt lgkmcnt(0)
	v_mul_f32_e32 v122, v122, v123
	buffer_store_dword v122, off, s[0:3], 0
.LBB122_576:
	s_or_b64 exec, exec, s[6:7]
	s_mov_b64 s[4:5], 0
.LBB122_577:
	s_and_b64 vcc, exec, s[4:5]
	s_cbranch_vccz .LBB122_1149
; %bb.578:
	buffer_load_dword v122, off, s[0:3], 0 offset:4
	v_cmp_eq_u32_e64 s[6:7], 0, v0
	s_waitcnt vmcnt(0)
	ds_write_b32 v120, v122
	s_waitcnt lgkmcnt(0)
	; wave barrier
	s_and_saveexec_b64 s[4:5], s[6:7]
	s_cbranch_execz .LBB122_584
; %bb.579:
	s_and_b64 vcc, exec, s[10:11]
	s_cbranch_vccz .LBB122_581
; %bb.580:
	buffer_load_dword v122, v121, s[0:3], 0 offen
	ds_read_b32 v123, v120
	s_waitcnt vmcnt(0) lgkmcnt(0)
	v_mul_f32_e32 v122, v122, v123
	s_cbranch_execz .LBB122_582
	s_branch .LBB122_583
.LBB122_581:
                                        ; implicit-def: $vgpr122
.LBB122_582:
	ds_read_b32 v122, v120
.LBB122_583:
	v_mov_b32_e32 v123, 0
	ds_read_b32 v123, v123 offset:4
	s_waitcnt lgkmcnt(0)
	v_mul_f32_e32 v122, v122, v123
	buffer_store_dword v122, off, s[0:3], 0 offset:4
.LBB122_584:
	s_or_b64 exec, exec, s[4:5]
	buffer_load_dword v122, off, s[0:3], 0 offset:8
	v_cndmask_b32_e64 v123, 0, 1, s[10:11]
	v_cmp_gt_u32_e32 vcc, 2, v0
	v_cmp_ne_u32_e64 s[4:5], 1, v123
	s_waitcnt vmcnt(0)
	ds_write_b32 v120, v122
	s_waitcnt lgkmcnt(0)
	; wave barrier
	s_and_saveexec_b64 s[8:9], vcc
	s_cbranch_execz .LBB122_590
; %bb.585:
	s_and_b64 vcc, exec, s[4:5]
	s_cbranch_vccnz .LBB122_587
; %bb.586:
	buffer_load_dword v122, v121, s[0:3], 0 offen
	ds_read_b32 v123, v120
	s_waitcnt vmcnt(0) lgkmcnt(0)
	v_mul_f32_e32 v122, v122, v123
	s_cbranch_execz .LBB122_588
	s_branch .LBB122_589
.LBB122_587:
                                        ; implicit-def: $vgpr122
.LBB122_588:
	ds_read_b32 v122, v120
.LBB122_589:
	buffer_load_dword v125, off, s[0:3], 0 offset:4
	v_mov_b32_e32 v123, 0
	ds_read2_b32 v[123:124], v123 offset0:2 offset1:61
	s_waitcnt vmcnt(0) lgkmcnt(0)
	v_fma_f32 v124, v125, v124, v122
	v_cndmask_b32_e64 v122, v122, v124, s[6:7]
	v_mul_f32_e32 v122, v122, v123
	buffer_store_dword v122, off, s[0:3], 0 offset:8
.LBB122_590:
	s_or_b64 exec, exec, s[8:9]
	buffer_load_dword v122, off, s[0:3], 0 offset:12
	v_cmp_gt_u32_e32 vcc, 3, v0
	s_waitcnt vmcnt(0)
	ds_write_b32 v120, v122
	s_waitcnt lgkmcnt(0)
	; wave barrier
	s_and_saveexec_b64 s[8:9], vcc
	s_cbranch_execz .LBB122_598
; %bb.591:
	s_and_b64 vcc, exec, s[4:5]
	s_cbranch_vccnz .LBB122_593
; %bb.592:
	buffer_load_dword v122, v121, s[0:3], 0 offen
	ds_read_b32 v123, v120
	s_waitcnt vmcnt(0) lgkmcnt(0)
	v_mul_f32_e32 v122, v122, v123
	s_cbranch_execz .LBB122_594
	s_branch .LBB122_595
.LBB122_593:
                                        ; implicit-def: $vgpr122
.LBB122_594:
	ds_read_b32 v122, v120
.LBB122_595:
	v_cmp_ne_u32_e32 vcc, 2, v0
	s_and_saveexec_b64 s[10:11], vcc
	s_cbranch_execz .LBB122_597
; %bb.596:
	buffer_load_dword v123, v121, s[0:3], 0 offen offset:4
	buffer_load_dword v124, off, s[0:3], 0 offset:8
	v_mov_b32_e32 v125, 0
	ds_read_b32 v126, v120 offset:4
	ds_read_b32 v125, v125 offset:248
	s_waitcnt vmcnt(1) lgkmcnt(1)
	v_fmac_f32_e32 v122, v123, v126
	s_waitcnt vmcnt(0) lgkmcnt(0)
	v_fma_f32 v123, v124, v125, v122
	v_cndmask_b32_e64 v122, v122, v123, s[6:7]
.LBB122_597:
	s_or_b64 exec, exec, s[10:11]
	v_mov_b32_e32 v123, 0
	ds_read_b32 v123, v123 offset:12
	s_waitcnt lgkmcnt(0)
	v_mul_f32_e32 v122, v122, v123
	buffer_store_dword v122, off, s[0:3], 0 offset:12
.LBB122_598:
	s_or_b64 exec, exec, s[8:9]
	buffer_load_dword v122, off, s[0:3], 0 offset:16
	v_cmp_gt_u32_e32 vcc, 4, v0
	s_waitcnt vmcnt(0)
	ds_write_b32 v120, v122
	s_waitcnt lgkmcnt(0)
	; wave barrier
	s_and_saveexec_b64 s[6:7], vcc
	s_cbranch_execz .LBB122_608
; %bb.599:
	s_and_b64 vcc, exec, s[4:5]
	s_cbranch_vccnz .LBB122_601
; %bb.600:
	buffer_load_dword v122, v121, s[0:3], 0 offen
	ds_read_b32 v123, v120
	s_waitcnt vmcnt(0) lgkmcnt(0)
	v_mul_f32_e32 v122, v122, v123
	s_cbranch_execz .LBB122_602
	s_branch .LBB122_603
.LBB122_601:
                                        ; implicit-def: $vgpr122
.LBB122_602:
	ds_read_b32 v122, v120
.LBB122_603:
	v_cmp_ne_u32_e32 vcc, 3, v0
	s_and_saveexec_b64 s[8:9], vcc
	s_cbranch_execz .LBB122_607
; %bb.604:
	s_mov_b32 s10, 0
	v_add_u32_e32 v123, 0xf4, v119
	v_add3_u32 v124, v119, s10, 4
	s_mov_b64 s[10:11], 0
	v_mov_b32_e32 v125, v0
.LBB122_605:                            ; =>This Inner Loop Header: Depth=1
	buffer_load_dword v126, v124, s[0:3], 0 offen
	ds_read_b32 v127, v123
	v_add_u32_e32 v125, 1, v125
	v_cmp_lt_u32_e32 vcc, 2, v125
	v_add_u32_e32 v123, 4, v123
	v_add_u32_e32 v124, 4, v124
	s_or_b64 s[10:11], vcc, s[10:11]
	s_waitcnt vmcnt(0) lgkmcnt(0)
	v_fmac_f32_e32 v122, v126, v127
	s_andn2_b64 exec, exec, s[10:11]
	s_cbranch_execnz .LBB122_605
; %bb.606:
	s_or_b64 exec, exec, s[10:11]
.LBB122_607:
	s_or_b64 exec, exec, s[8:9]
	v_mov_b32_e32 v123, 0
	ds_read_b32 v123, v123 offset:16
	s_waitcnt lgkmcnt(0)
	v_mul_f32_e32 v122, v122, v123
	buffer_store_dword v122, off, s[0:3], 0 offset:16
.LBB122_608:
	s_or_b64 exec, exec, s[6:7]
	buffer_load_dword v122, off, s[0:3], 0 offset:20
	v_cmp_gt_u32_e32 vcc, 5, v0
	s_waitcnt vmcnt(0)
	ds_write_b32 v120, v122
	s_waitcnt lgkmcnt(0)
	; wave barrier
	s_and_saveexec_b64 s[6:7], vcc
	s_cbranch_execz .LBB122_618
; %bb.609:
	s_and_b64 vcc, exec, s[4:5]
	s_cbranch_vccnz .LBB122_611
; %bb.610:
	buffer_load_dword v122, v121, s[0:3], 0 offen
	ds_read_b32 v123, v120
	s_waitcnt vmcnt(0) lgkmcnt(0)
	v_mul_f32_e32 v122, v122, v123
	s_cbranch_execz .LBB122_612
	s_branch .LBB122_613
.LBB122_611:
                                        ; implicit-def: $vgpr122
.LBB122_612:
	ds_read_b32 v122, v120
.LBB122_613:
	v_cmp_ne_u32_e32 vcc, 4, v0
	s_and_saveexec_b64 s[8:9], vcc
	s_cbranch_execz .LBB122_617
; %bb.614:
	s_mov_b32 s10, 0
	v_add_u32_e32 v123, 0xf4, v119
	v_add3_u32 v124, v119, s10, 4
	s_mov_b64 s[10:11], 0
	v_mov_b32_e32 v125, v0
.LBB122_615:                            ; =>This Inner Loop Header: Depth=1
	buffer_load_dword v126, v124, s[0:3], 0 offen
	ds_read_b32 v127, v123
	v_add_u32_e32 v125, 1, v125
	v_cmp_lt_u32_e32 vcc, 3, v125
	v_add_u32_e32 v123, 4, v123
	v_add_u32_e32 v124, 4, v124
	s_or_b64 s[10:11], vcc, s[10:11]
	s_waitcnt vmcnt(0) lgkmcnt(0)
	v_fmac_f32_e32 v122, v126, v127
	s_andn2_b64 exec, exec, s[10:11]
	s_cbranch_execnz .LBB122_615
; %bb.616:
	s_or_b64 exec, exec, s[10:11]
.LBB122_617:
	s_or_b64 exec, exec, s[8:9]
	v_mov_b32_e32 v123, 0
	ds_read_b32 v123, v123 offset:20
	s_waitcnt lgkmcnt(0)
	v_mul_f32_e32 v122, v122, v123
	buffer_store_dword v122, off, s[0:3], 0 offset:20
.LBB122_618:
	;; [unrolled: 55-line block ×40, first 2 shown]
	s_or_b64 exec, exec, s[6:7]
	buffer_load_dword v122, off, s[0:3], 0 offset:176
	v_cmp_gt_u32_e32 vcc, 44, v0
	s_waitcnt vmcnt(0)
	ds_write_b32 v120, v122
	s_waitcnt lgkmcnt(0)
	; wave barrier
	s_and_saveexec_b64 s[6:7], vcc
	s_cbranch_execz .LBB122_1008
; %bb.999:
	s_and_b64 vcc, exec, s[4:5]
	s_cbranch_vccnz .LBB122_1001
; %bb.1000:
	buffer_load_dword v122, v121, s[0:3], 0 offen
	ds_read_b32 v123, v120
	s_waitcnt vmcnt(0) lgkmcnt(0)
	v_mul_f32_e32 v122, v122, v123
	s_cbranch_execz .LBB122_1002
	s_branch .LBB122_1003
.LBB122_1001:
                                        ; implicit-def: $vgpr122
.LBB122_1002:
	ds_read_b32 v122, v120
.LBB122_1003:
	v_cmp_ne_u32_e32 vcc, 43, v0
	s_and_saveexec_b64 s[8:9], vcc
	s_cbranch_execz .LBB122_1007
; %bb.1004:
	s_mov_b32 s10, 0
	v_add_u32_e32 v123, 0xf4, v119
	v_add3_u32 v124, v119, s10, 4
	s_mov_b64 s[10:11], 0
	v_mov_b32_e32 v125, v0
.LBB122_1005:                           ; =>This Inner Loop Header: Depth=1
	buffer_load_dword v126, v124, s[0:3], 0 offen
	ds_read_b32 v127, v123
	v_add_u32_e32 v125, 1, v125
	v_cmp_lt_u32_e32 vcc, 42, v125
	v_add_u32_e32 v123, 4, v123
	v_add_u32_e32 v124, 4, v124
	s_or_b64 s[10:11], vcc, s[10:11]
	s_waitcnt vmcnt(0) lgkmcnt(0)
	v_fmac_f32_e32 v122, v126, v127
	s_andn2_b64 exec, exec, s[10:11]
	s_cbranch_execnz .LBB122_1005
; %bb.1006:
	s_or_b64 exec, exec, s[10:11]
.LBB122_1007:
	s_or_b64 exec, exec, s[8:9]
	v_mov_b32_e32 v123, 0
	ds_read_b32 v123, v123 offset:176
	s_waitcnt lgkmcnt(0)
	v_mul_f32_e32 v122, v122, v123
	buffer_store_dword v122, off, s[0:3], 0 offset:176
.LBB122_1008:
	s_or_b64 exec, exec, s[6:7]
	buffer_load_dword v122, off, s[0:3], 0 offset:180
	v_cmp_gt_u32_e32 vcc, 45, v0
	s_waitcnt vmcnt(0)
	ds_write_b32 v120, v122
	s_waitcnt lgkmcnt(0)
	; wave barrier
	s_and_saveexec_b64 s[6:7], vcc
	s_cbranch_execz .LBB122_1018
; %bb.1009:
	s_and_b64 vcc, exec, s[4:5]
	s_cbranch_vccnz .LBB122_1011
; %bb.1010:
	buffer_load_dword v122, v121, s[0:3], 0 offen
	ds_read_b32 v123, v120
	s_waitcnt vmcnt(0) lgkmcnt(0)
	v_mul_f32_e32 v122, v122, v123
	s_cbranch_execz .LBB122_1012
	s_branch .LBB122_1013
.LBB122_1011:
                                        ; implicit-def: $vgpr122
.LBB122_1012:
	ds_read_b32 v122, v120
.LBB122_1013:
	v_cmp_ne_u32_e32 vcc, 44, v0
	s_and_saveexec_b64 s[8:9], vcc
	s_cbranch_execz .LBB122_1017
; %bb.1014:
	s_mov_b32 s10, 0
	v_add_u32_e32 v123, 0xf4, v119
	v_add3_u32 v124, v119, s10, 4
	s_mov_b64 s[10:11], 0
	v_mov_b32_e32 v125, v0
.LBB122_1015:                           ; =>This Inner Loop Header: Depth=1
	buffer_load_dword v126, v124, s[0:3], 0 offen
	ds_read_b32 v127, v123
	v_add_u32_e32 v125, 1, v125
	v_cmp_lt_u32_e32 vcc, 43, v125
	v_add_u32_e32 v123, 4, v123
	v_add_u32_e32 v124, 4, v124
	s_or_b64 s[10:11], vcc, s[10:11]
	s_waitcnt vmcnt(0) lgkmcnt(0)
	v_fmac_f32_e32 v122, v126, v127
	s_andn2_b64 exec, exec, s[10:11]
	s_cbranch_execnz .LBB122_1015
; %bb.1016:
	s_or_b64 exec, exec, s[10:11]
.LBB122_1017:
	s_or_b64 exec, exec, s[8:9]
	v_mov_b32_e32 v123, 0
	ds_read_b32 v123, v123 offset:180
	s_waitcnt lgkmcnt(0)
	v_mul_f32_e32 v122, v122, v123
	buffer_store_dword v122, off, s[0:3], 0 offset:180
.LBB122_1018:
	;; [unrolled: 55-line block ×13, first 2 shown]
	s_or_b64 exec, exec, s[6:7]
	buffer_load_dword v122, off, s[0:3], 0 offset:228
	v_cmp_gt_u32_e64 s[6:7], 57, v0
	s_waitcnt vmcnt(0)
	ds_write_b32 v120, v122
	s_waitcnt lgkmcnt(0)
	; wave barrier
	s_and_saveexec_b64 s[8:9], s[6:7]
	s_cbranch_execz .LBB122_1138
; %bb.1129:
	s_and_b64 vcc, exec, s[4:5]
	s_cbranch_vccnz .LBB122_1131
; %bb.1130:
	buffer_load_dword v122, v121, s[0:3], 0 offen
	ds_read_b32 v123, v120
	s_waitcnt vmcnt(0) lgkmcnt(0)
	v_mul_f32_e32 v122, v122, v123
	s_cbranch_execz .LBB122_1132
	s_branch .LBB122_1133
.LBB122_1131:
                                        ; implicit-def: $vgpr122
.LBB122_1132:
	ds_read_b32 v122, v120
.LBB122_1133:
	v_cmp_ne_u32_e32 vcc, 56, v0
	s_and_saveexec_b64 s[10:11], vcc
	s_cbranch_execz .LBB122_1137
; %bb.1134:
	s_mov_b32 s12, 0
	v_add_u32_e32 v123, 0xf4, v119
	v_add3_u32 v124, v119, s12, 4
	s_mov_b64 s[12:13], 0
	v_mov_b32_e32 v125, v0
.LBB122_1135:                           ; =>This Inner Loop Header: Depth=1
	buffer_load_dword v126, v124, s[0:3], 0 offen
	ds_read_b32 v127, v123
	v_add_u32_e32 v125, 1, v125
	v_cmp_lt_u32_e32 vcc, 55, v125
	v_add_u32_e32 v123, 4, v123
	v_add_u32_e32 v124, 4, v124
	s_or_b64 s[12:13], vcc, s[12:13]
	s_waitcnt vmcnt(0) lgkmcnt(0)
	v_fmac_f32_e32 v122, v126, v127
	s_andn2_b64 exec, exec, s[12:13]
	s_cbranch_execnz .LBB122_1135
; %bb.1136:
	s_or_b64 exec, exec, s[12:13]
.LBB122_1137:
	s_or_b64 exec, exec, s[10:11]
	v_mov_b32_e32 v123, 0
	ds_read_b32 v123, v123 offset:228
	s_waitcnt lgkmcnt(0)
	v_mul_f32_e32 v122, v122, v123
	buffer_store_dword v122, off, s[0:3], 0 offset:228
.LBB122_1138:
	s_or_b64 exec, exec, s[8:9]
	buffer_load_dword v122, off, s[0:3], 0 offset:232
	v_cmp_ne_u32_e32 vcc, 58, v0
	s_waitcnt vmcnt(0)
	ds_write_b32 v120, v122
	s_waitcnt lgkmcnt(0)
	; wave barrier
	s_and_saveexec_b64 s[8:9], vcc
	s_cbranch_execz .LBB122_1148
; %bb.1139:
	s_and_b64 vcc, exec, s[4:5]
	s_cbranch_vccnz .LBB122_1141
; %bb.1140:
	buffer_load_dword v121, v121, s[0:3], 0 offen
	ds_read_b32 v122, v120
	s_waitcnt vmcnt(0) lgkmcnt(0)
	v_mul_f32_e32 v121, v121, v122
	s_cbranch_execz .LBB122_1142
	s_branch .LBB122_1143
.LBB122_1141:
                                        ; implicit-def: $vgpr121
.LBB122_1142:
	ds_read_b32 v121, v120
.LBB122_1143:
	s_and_saveexec_b64 s[4:5], s[6:7]
	s_cbranch_execz .LBB122_1147
; %bb.1144:
	s_mov_b32 s6, 0
	v_add_u32_e32 v120, 0xf4, v119
	v_add3_u32 v119, v119, s6, 4
	s_mov_b64 s[6:7], 0
.LBB122_1145:                           ; =>This Inner Loop Header: Depth=1
	buffer_load_dword v122, v119, s[0:3], 0 offen
	ds_read_b32 v123, v120
	v_add_u32_e32 v0, 1, v0
	v_cmp_lt_u32_e32 vcc, 56, v0
	v_add_u32_e32 v120, 4, v120
	v_add_u32_e32 v119, 4, v119
	s_or_b64 s[6:7], vcc, s[6:7]
	s_waitcnt vmcnt(0) lgkmcnt(0)
	v_fmac_f32_e32 v121, v122, v123
	s_andn2_b64 exec, exec, s[6:7]
	s_cbranch_execnz .LBB122_1145
; %bb.1146:
	s_or_b64 exec, exec, s[6:7]
.LBB122_1147:
	s_or_b64 exec, exec, s[4:5]
	v_mov_b32_e32 v0, 0
	ds_read_b32 v0, v0 offset:232
	s_waitcnt lgkmcnt(0)
	v_mul_f32_e32 v0, v121, v0
	buffer_store_dword v0, off, s[0:3], 0 offset:232
.LBB122_1148:
	s_or_b64 exec, exec, s[8:9]
.LBB122_1149:
	buffer_load_dword v0, off, s[0:3], 0
	s_waitcnt vmcnt(0)
	flat_store_dword v[1:2], v0
	buffer_load_dword v0, off, s[0:3], 0 offset:4
	s_waitcnt vmcnt(0)
	flat_store_dword v[3:4], v0
	buffer_load_dword v0, off, s[0:3], 0 offset:8
	;; [unrolled: 3-line block ×58, first 2 shown]
	s_waitcnt vmcnt(0)
	flat_store_dword v[117:118], v0
.LBB122_1150:
	s_endpgm
	.section	.rodata,"a",@progbits
	.p2align	6, 0x0
	.amdhsa_kernel _ZN9rocsolver6v33100L18trti2_kernel_smallILi59EfPKPfEEv13rocblas_fill_17rocblas_diagonal_T1_iil
		.amdhsa_group_segment_fixed_size 476
		.amdhsa_private_segment_fixed_size 240
		.amdhsa_kernarg_size 32
		.amdhsa_user_sgpr_count 6
		.amdhsa_user_sgpr_private_segment_buffer 1
		.amdhsa_user_sgpr_dispatch_ptr 0
		.amdhsa_user_sgpr_queue_ptr 0
		.amdhsa_user_sgpr_kernarg_segment_ptr 1
		.amdhsa_user_sgpr_dispatch_id 0
		.amdhsa_user_sgpr_flat_scratch_init 0
		.amdhsa_user_sgpr_private_segment_size 0
		.amdhsa_uses_dynamic_stack 0
		.amdhsa_system_sgpr_private_segment_wavefront_offset 1
		.amdhsa_system_sgpr_workgroup_id_x 1
		.amdhsa_system_sgpr_workgroup_id_y 0
		.amdhsa_system_sgpr_workgroup_id_z 0
		.amdhsa_system_sgpr_workgroup_info 0
		.amdhsa_system_vgpr_workitem_id 0
		.amdhsa_next_free_vgpr 128
		.amdhsa_next_free_sgpr 72
		.amdhsa_reserve_vcc 1
		.amdhsa_reserve_flat_scratch 0
		.amdhsa_float_round_mode_32 0
		.amdhsa_float_round_mode_16_64 0
		.amdhsa_float_denorm_mode_32 3
		.amdhsa_float_denorm_mode_16_64 3
		.amdhsa_dx10_clamp 1
		.amdhsa_ieee_mode 1
		.amdhsa_fp16_overflow 0
		.amdhsa_exception_fp_ieee_invalid_op 0
		.amdhsa_exception_fp_denorm_src 0
		.amdhsa_exception_fp_ieee_div_zero 0
		.amdhsa_exception_fp_ieee_overflow 0
		.amdhsa_exception_fp_ieee_underflow 0
		.amdhsa_exception_fp_ieee_inexact 0
		.amdhsa_exception_int_div_zero 0
	.end_amdhsa_kernel
	.section	.text._ZN9rocsolver6v33100L18trti2_kernel_smallILi59EfPKPfEEv13rocblas_fill_17rocblas_diagonal_T1_iil,"axG",@progbits,_ZN9rocsolver6v33100L18trti2_kernel_smallILi59EfPKPfEEv13rocblas_fill_17rocblas_diagonal_T1_iil,comdat
.Lfunc_end122:
	.size	_ZN9rocsolver6v33100L18trti2_kernel_smallILi59EfPKPfEEv13rocblas_fill_17rocblas_diagonal_T1_iil, .Lfunc_end122-_ZN9rocsolver6v33100L18trti2_kernel_smallILi59EfPKPfEEv13rocblas_fill_17rocblas_diagonal_T1_iil
                                        ; -- End function
	.set _ZN9rocsolver6v33100L18trti2_kernel_smallILi59EfPKPfEEv13rocblas_fill_17rocblas_diagonal_T1_iil.num_vgpr, 128
	.set _ZN9rocsolver6v33100L18trti2_kernel_smallILi59EfPKPfEEv13rocblas_fill_17rocblas_diagonal_T1_iil.num_agpr, 0
	.set _ZN9rocsolver6v33100L18trti2_kernel_smallILi59EfPKPfEEv13rocblas_fill_17rocblas_diagonal_T1_iil.numbered_sgpr, 72
	.set _ZN9rocsolver6v33100L18trti2_kernel_smallILi59EfPKPfEEv13rocblas_fill_17rocblas_diagonal_T1_iil.num_named_barrier, 0
	.set _ZN9rocsolver6v33100L18trti2_kernel_smallILi59EfPKPfEEv13rocblas_fill_17rocblas_diagonal_T1_iil.private_seg_size, 240
	.set _ZN9rocsolver6v33100L18trti2_kernel_smallILi59EfPKPfEEv13rocblas_fill_17rocblas_diagonal_T1_iil.uses_vcc, 1
	.set _ZN9rocsolver6v33100L18trti2_kernel_smallILi59EfPKPfEEv13rocblas_fill_17rocblas_diagonal_T1_iil.uses_flat_scratch, 0
	.set _ZN9rocsolver6v33100L18trti2_kernel_smallILi59EfPKPfEEv13rocblas_fill_17rocblas_diagonal_T1_iil.has_dyn_sized_stack, 0
	.set _ZN9rocsolver6v33100L18trti2_kernel_smallILi59EfPKPfEEv13rocblas_fill_17rocblas_diagonal_T1_iil.has_recursion, 0
	.set _ZN9rocsolver6v33100L18trti2_kernel_smallILi59EfPKPfEEv13rocblas_fill_17rocblas_diagonal_T1_iil.has_indirect_call, 0
	.section	.AMDGPU.csdata,"",@progbits
; Kernel info:
; codeLenInByte = 28752
; TotalNumSgprs: 76
; NumVgprs: 128
; ScratchSize: 240
; MemoryBound: 0
; FloatMode: 240
; IeeeMode: 1
; LDSByteSize: 476 bytes/workgroup (compile time only)
; SGPRBlocks: 9
; VGPRBlocks: 31
; NumSGPRsForWavesPerEU: 76
; NumVGPRsForWavesPerEU: 128
; Occupancy: 2
; WaveLimiterHint : 1
; COMPUTE_PGM_RSRC2:SCRATCH_EN: 1
; COMPUTE_PGM_RSRC2:USER_SGPR: 6
; COMPUTE_PGM_RSRC2:TRAP_HANDLER: 0
; COMPUTE_PGM_RSRC2:TGID_X_EN: 1
; COMPUTE_PGM_RSRC2:TGID_Y_EN: 0
; COMPUTE_PGM_RSRC2:TGID_Z_EN: 0
; COMPUTE_PGM_RSRC2:TIDIG_COMP_CNT: 0
	.section	.text._ZN9rocsolver6v33100L18trti2_kernel_smallILi60EfPKPfEEv13rocblas_fill_17rocblas_diagonal_T1_iil,"axG",@progbits,_ZN9rocsolver6v33100L18trti2_kernel_smallILi60EfPKPfEEv13rocblas_fill_17rocblas_diagonal_T1_iil,comdat
	.globl	_ZN9rocsolver6v33100L18trti2_kernel_smallILi60EfPKPfEEv13rocblas_fill_17rocblas_diagonal_T1_iil ; -- Begin function _ZN9rocsolver6v33100L18trti2_kernel_smallILi60EfPKPfEEv13rocblas_fill_17rocblas_diagonal_T1_iil
	.p2align	8
	.type	_ZN9rocsolver6v33100L18trti2_kernel_smallILi60EfPKPfEEv13rocblas_fill_17rocblas_diagonal_T1_iil,@function
_ZN9rocsolver6v33100L18trti2_kernel_smallILi60EfPKPfEEv13rocblas_fill_17rocblas_diagonal_T1_iil: ; @_ZN9rocsolver6v33100L18trti2_kernel_smallILi60EfPKPfEEv13rocblas_fill_17rocblas_diagonal_T1_iil
; %bb.0:
	s_add_u32 s0, s0, s7
	s_addc_u32 s1, s1, 0
	v_cmp_gt_u32_e32 vcc, 60, v0
	s_and_saveexec_b64 s[8:9], vcc
	s_cbranch_execz .LBB123_1170
; %bb.1:
	s_load_dwordx2 s[12:13], s[4:5], 0x10
	s_load_dwordx4 s[8:11], s[4:5], 0x0
	s_ashr_i32 s7, s6, 31
	s_lshl_b64 s[6:7], s[6:7], 3
	v_lshlrev_b32_e32 v121, 2, v0
	s_waitcnt lgkmcnt(0)
	s_ashr_i32 s5, s12, 31
	s_add_u32 s6, s10, s6
	s_addc_u32 s7, s11, s7
	s_load_dwordx2 s[6:7], s[6:7], 0x0
	s_mov_b32 s4, s12
	s_lshl_b64 s[4:5], s[4:5], 2
	s_movk_i32 s12, 0x84
	s_waitcnt lgkmcnt(0)
	s_add_u32 s4, s6, s4
	s_addc_u32 s5, s7, s5
	v_mov_b32_e32 v2, s5
	v_add_co_u32_e32 v1, vcc, s4, v121
	v_addc_co_u32_e32 v2, vcc, 0, v2, vcc
	flat_load_dword v5, v[1:2]
	s_mov_b32 s6, s13
	s_ashr_i32 s7, s13, 31
	s_lshl_b64 s[6:7], s[6:7], 2
	v_mov_b32_e32 v4, s7
	v_add_co_u32_e32 v3, vcc, s6, v1
	v_addc_co_u32_e32 v4, vcc, v2, v4, vcc
	s_add_i32 s6, s13, s13
	v_add_u32_e32 v7, s6, v0
	v_ashrrev_i32_e32 v8, 31, v7
	v_mov_b32_e32 v10, s5
	v_mov_b32_e32 v12, s5
	;; [unrolled: 1-line block ×57, first 2 shown]
	s_cmpk_lg_i32 s9, 0x84
	s_cselect_b64 s[10:11], -1, 0
	s_cmpk_eq_i32 s9, 0x84
	s_waitcnt vmcnt(0) lgkmcnt(0)
	buffer_store_dword v5, off, s[0:3], 0
	flat_load_dword v9, v[3:4]
	v_lshlrev_b64 v[5:6], 2, v[7:8]
	v_add_co_u32_e32 v5, vcc, s4, v5
	v_addc_co_u32_e32 v6, vcc, v10, v6, vcc
	s_waitcnt vmcnt(0) lgkmcnt(0)
	buffer_store_dword v9, off, s[0:3], 0 offset:4
	flat_load_dword v11, v[5:6]
	v_add_u32_e32 v9, s13, v7
	v_ashrrev_i32_e32 v10, 31, v9
	v_lshlrev_b64 v[7:8], 2, v[9:10]
	v_add_co_u32_e32 v7, vcc, s4, v7
	v_addc_co_u32_e32 v8, vcc, v12, v8, vcc
	s_waitcnt vmcnt(0) lgkmcnt(0)
	buffer_store_dword v11, off, s[0:3], 0 offset:8
	flat_load_dword v13, v[7:8]
	v_add_u32_e32 v11, s13, v9
	v_ashrrev_i32_e32 v12, 31, v11
	;; [unrolled: 8-line block ×56, first 2 shown]
	v_lshlrev_b64 v[117:118], 2, v[119:120]
	v_add_u32_e32 v119, s13, v119
	v_add_co_u32_e32 v117, vcc, s4, v117
	v_addc_co_u32_e32 v118, vcc, v123, v118, vcc
	v_ashrrev_i32_e32 v120, 31, v119
	v_lshlrev_b64 v[119:120], 2, v[119:120]
	v_add_co_u32_e32 v119, vcc, s4, v119
	v_addc_co_u32_e32 v120, vcc, v123, v120, vcc
	s_waitcnt vmcnt(0) lgkmcnt(0)
	buffer_store_dword v122, off, s[0:3], 0 offset:228
	flat_load_dword v122, v[117:118]
	s_waitcnt vmcnt(0) lgkmcnt(0)
	buffer_store_dword v122, off, s[0:3], 0 offset:232
	flat_load_dword v122, v[119:120]
	s_waitcnt vmcnt(0) lgkmcnt(0)
	buffer_store_dword v122, off, s[0:3], 0 offset:236
	v_mov_b32_e32 v122, -1.0
	s_cbranch_scc1 .LBB123_3
; %bb.2:
	v_mov_b32_e32 v122, 0
	v_lshl_add_u32 v122, v0, 2, v122
	buffer_load_dword v123, v122, s[0:3], 0 offen
	s_waitcnt vmcnt(0)
	v_div_scale_f32 v124, s[4:5], v123, v123, 1.0
	v_div_scale_f32 v125, vcc, 1.0, v123, 1.0
	v_rcp_f32_e32 v126, v124
	v_fma_f32 v127, -v124, v126, 1.0
	v_fmac_f32_e32 v126, v127, v126
	v_mul_f32_e32 v127, v125, v126
	v_fma_f32 v128, -v124, v127, v125
	v_fmac_f32_e32 v127, v128, v126
	v_fma_f32 v124, -v124, v127, v125
	v_div_fmas_f32 v124, v124, v126, v127
	v_div_fixup_f32 v123, v124, v123, 1.0
	buffer_store_dword v123, v122, s[0:3], 0 offen
	v_xor_b32_e32 v122, 0x80000000, v123
.LBB123_3:
	ds_write_b32 v121, v122
	s_cmpk_eq_i32 s8, 0x79
	v_add_u32_e32 v122, 0xf0, v121
	v_mov_b32_e32 v123, v121
	s_mov_b64 s[4:5], -1
	s_cbranch_scc1 .LBB123_587
; %bb.4:
	buffer_load_dword v124, off, s[0:3], 0 offset:232
	s_movk_i32 s30, 0x44
	s_movk_i32 s31, 0x48
	;; [unrolled: 1-line block ×40, first 2 shown]
	v_cmp_eq_u32_e64 s[4:5], 59, v0
	s_waitcnt vmcnt(0)
	ds_write_b32 v122, v124
	s_waitcnt lgkmcnt(0)
	; wave barrier
	s_and_saveexec_b64 s[6:7], s[4:5]
	s_cbranch_execz .LBB123_10
; %bb.5:
	s_and_b64 vcc, exec, s[10:11]
	s_cbranch_vccz .LBB123_7
; %bb.6:
	buffer_load_dword v124, v123, s[0:3], 0 offen
	ds_read_b32 v125, v122
	s_waitcnt vmcnt(0) lgkmcnt(0)
	v_mul_f32_e32 v124, v124, v125
	s_cbranch_execz .LBB123_8
	s_branch .LBB123_9
.LBB123_7:
                                        ; implicit-def: $vgpr124
.LBB123_8:
	ds_read_b32 v124, v122
.LBB123_9:
	v_mov_b32_e32 v125, 0
	ds_read_b32 v125, v125 offset:232
	s_waitcnt lgkmcnt(0)
	v_mul_f32_e32 v124, v124, v125
	buffer_store_dword v124, off, s[0:3], 0 offset:232
.LBB123_10:
	s_or_b64 exec, exec, s[6:7]
	buffer_load_dword v124, off, s[0:3], 0 offset:228
	s_or_b32 s14, 0, 4
	s_or_b32 s15, 0, 8
	;; [unrolled: 1-line block ×3, first 2 shown]
	s_mov_b32 s17, 16
	s_mov_b32 s18, 20
	;; [unrolled: 1-line block ×15, first 2 shown]
	v_cmp_lt_u32_e64 s[6:7], 57, v0
	s_waitcnt vmcnt(0)
	ds_write_b32 v122, v124
	s_waitcnt lgkmcnt(0)
	; wave barrier
	s_and_saveexec_b64 s[8:9], s[6:7]
	s_cbranch_execz .LBB123_16
; %bb.11:
	s_andn2_b64 vcc, exec, s[10:11]
	s_cbranch_vccnz .LBB123_13
; %bb.12:
	buffer_load_dword v124, v123, s[0:3], 0 offen
	ds_read_b32 v125, v122
	s_waitcnt vmcnt(0) lgkmcnt(0)
	v_mul_f32_e32 v124, v124, v125
	s_cbranch_execz .LBB123_14
	s_branch .LBB123_15
.LBB123_13:
                                        ; implicit-def: $vgpr124
.LBB123_14:
	ds_read_b32 v124, v122
.LBB123_15:
	buffer_load_dword v127, off, s[0:3], 0 offset:232
	v_mov_b32_e32 v125, 0
	ds_read2_b32 v[125:126], v125 offset0:57 offset1:118
	s_waitcnt vmcnt(0) lgkmcnt(0)
	v_fma_f32 v126, v127, v126, v124
	v_cndmask_b32_e64 v124, v124, v126, s[4:5]
	v_mul_f32_e32 v124, v124, v125
	buffer_store_dword v124, off, s[0:3], 0 offset:228
.LBB123_16:
	s_or_b64 exec, exec, s[8:9]
	buffer_load_dword v124, off, s[0:3], 0 offset:224
	v_cmp_lt_u32_e64 s[4:5], 56, v0
	s_waitcnt vmcnt(0)
	ds_write_b32 v122, v124
	s_waitcnt lgkmcnt(0)
	; wave barrier
	s_and_saveexec_b64 s[8:9], s[4:5]
	s_cbranch_execz .LBB123_26
; %bb.17:
	s_andn2_b64 vcc, exec, s[10:11]
	s_cbranch_vccnz .LBB123_19
; %bb.18:
	buffer_load_dword v124, v123, s[0:3], 0 offen
	ds_read_b32 v125, v122
	s_waitcnt vmcnt(0) lgkmcnt(0)
	v_mul_f32_e32 v124, v124, v125
	s_cbranch_execz .LBB123_20
	s_branch .LBB123_21
.LBB123_19:
                                        ; implicit-def: $vgpr124
.LBB123_20:
	ds_read_b32 v124, v122
.LBB123_21:
	s_and_saveexec_b64 s[12:13], s[6:7]
	s_cbranch_execz .LBB123_25
; %bb.22:
	v_subrev_u32_e32 v125, 57, v0
	s_movk_i32 s72, 0x1d4
	s_mov_b64 s[6:7], 0
.LBB123_23:                             ; =>This Inner Loop Header: Depth=1
	v_mov_b32_e32 v126, s71
	buffer_load_dword v126, v126, s[0:3], 0 offen
	v_mov_b32_e32 v127, s72
	ds_read_b32 v127, v127
	v_add_u32_e32 v125, -1, v125
	s_add_i32 s72, s72, 4
	s_add_i32 s71, s71, 4
	v_cmp_eq_u32_e32 vcc, 0, v125
	s_or_b64 s[6:7], vcc, s[6:7]
	s_waitcnt vmcnt(0) lgkmcnt(0)
	v_fmac_f32_e32 v124, v126, v127
	s_andn2_b64 exec, exec, s[6:7]
	s_cbranch_execnz .LBB123_23
; %bb.24:
	s_or_b64 exec, exec, s[6:7]
.LBB123_25:
	s_or_b64 exec, exec, s[12:13]
	v_mov_b32_e32 v125, 0
	ds_read_b32 v125, v125 offset:224
	s_waitcnt lgkmcnt(0)
	v_mul_f32_e32 v124, v124, v125
	buffer_store_dword v124, off, s[0:3], 0 offset:224
.LBB123_26:
	s_or_b64 exec, exec, s[8:9]
	buffer_load_dword v124, off, s[0:3], 0 offset:220
	v_cmp_lt_u32_e64 s[6:7], 55, v0
	s_waitcnt vmcnt(0)
	ds_write_b32 v122, v124
	s_waitcnt lgkmcnt(0)
	; wave barrier
	s_and_saveexec_b64 s[8:9], s[6:7]
	s_cbranch_execz .LBB123_36
; %bb.27:
	s_andn2_b64 vcc, exec, s[10:11]
	s_cbranch_vccnz .LBB123_29
; %bb.28:
	buffer_load_dword v124, v123, s[0:3], 0 offen
	ds_read_b32 v125, v122
	s_waitcnt vmcnt(0) lgkmcnt(0)
	v_mul_f32_e32 v124, v124, v125
	s_cbranch_execz .LBB123_30
	s_branch .LBB123_31
.LBB123_29:
                                        ; implicit-def: $vgpr124
.LBB123_30:
	ds_read_b32 v124, v122
.LBB123_31:
	s_and_saveexec_b64 s[12:13], s[4:5]
	s_cbranch_execz .LBB123_35
; %bb.32:
	v_subrev_u32_e32 v125, 56, v0
	s_movk_i32 s71, 0x1d0
	s_mov_b64 s[4:5], 0
.LBB123_33:                             ; =>This Inner Loop Header: Depth=1
	v_mov_b32_e32 v126, s70
	buffer_load_dword v126, v126, s[0:3], 0 offen
	v_mov_b32_e32 v127, s71
	ds_read_b32 v127, v127
	v_add_u32_e32 v125, -1, v125
	s_add_i32 s71, s71, 4
	s_add_i32 s70, s70, 4
	v_cmp_eq_u32_e32 vcc, 0, v125
	s_or_b64 s[4:5], vcc, s[4:5]
	s_waitcnt vmcnt(0) lgkmcnt(0)
	v_fmac_f32_e32 v124, v126, v127
	s_andn2_b64 exec, exec, s[4:5]
	s_cbranch_execnz .LBB123_33
; %bb.34:
	s_or_b64 exec, exec, s[4:5]
.LBB123_35:
	s_or_b64 exec, exec, s[12:13]
	v_mov_b32_e32 v125, 0
	ds_read_b32 v125, v125 offset:220
	s_waitcnt lgkmcnt(0)
	v_mul_f32_e32 v124, v124, v125
	buffer_store_dword v124, off, s[0:3], 0 offset:220
.LBB123_36:
	;; [unrolled: 54-line block ×8, first 2 shown]
	s_or_b64 exec, exec, s[8:9]
	buffer_load_dword v124, off, s[0:3], 0 offset:192
	v_cmp_lt_u32_e64 s[4:5], 48, v0
	s_waitcnt vmcnt(0)
	ds_write_b32 v122, v124
	s_waitcnt lgkmcnt(0)
	; wave barrier
	s_and_saveexec_b64 s[8:9], s[4:5]
	s_cbranch_execz .LBB123_106
; %bb.97:
	s_andn2_b64 vcc, exec, s[10:11]
	s_cbranch_vccnz .LBB123_99
; %bb.98:
	buffer_load_dword v124, v123, s[0:3], 0 offen
	ds_read_b32 v125, v122
	s_waitcnt vmcnt(0) lgkmcnt(0)
	v_mul_f32_e32 v124, v124, v125
	s_cbranch_execz .LBB123_100
	s_branch .LBB123_101
.LBB123_99:
                                        ; implicit-def: $vgpr124
.LBB123_100:
	ds_read_b32 v124, v122
.LBB123_101:
	s_and_saveexec_b64 s[12:13], s[6:7]
	s_cbranch_execz .LBB123_105
; %bb.102:
	v_subrev_u32_e32 v125, 49, v0
	s_movk_i32 s64, 0x1b4
	s_mov_b64 s[6:7], 0
.LBB123_103:                            ; =>This Inner Loop Header: Depth=1
	v_mov_b32_e32 v126, s63
	buffer_load_dword v126, v126, s[0:3], 0 offen
	v_mov_b32_e32 v127, s64
	ds_read_b32 v127, v127
	v_add_u32_e32 v125, -1, v125
	s_add_i32 s64, s64, 4
	s_add_i32 s63, s63, 4
	v_cmp_eq_u32_e32 vcc, 0, v125
	s_or_b64 s[6:7], vcc, s[6:7]
	s_waitcnt vmcnt(0) lgkmcnt(0)
	v_fmac_f32_e32 v124, v126, v127
	s_andn2_b64 exec, exec, s[6:7]
	s_cbranch_execnz .LBB123_103
; %bb.104:
	s_or_b64 exec, exec, s[6:7]
.LBB123_105:
	s_or_b64 exec, exec, s[12:13]
	v_mov_b32_e32 v125, 0
	ds_read_b32 v125, v125 offset:192
	s_waitcnt lgkmcnt(0)
	v_mul_f32_e32 v124, v124, v125
	buffer_store_dword v124, off, s[0:3], 0 offset:192
.LBB123_106:
	s_or_b64 exec, exec, s[8:9]
	buffer_load_dword v124, off, s[0:3], 0 offset:188
	v_cmp_lt_u32_e64 s[6:7], 47, v0
	s_waitcnt vmcnt(0)
	ds_write_b32 v122, v124
	s_waitcnt lgkmcnt(0)
	; wave barrier
	s_and_saveexec_b64 s[8:9], s[6:7]
	s_cbranch_execz .LBB123_116
; %bb.107:
	s_andn2_b64 vcc, exec, s[10:11]
	s_cbranch_vccnz .LBB123_109
; %bb.108:
	buffer_load_dword v124, v123, s[0:3], 0 offen
	ds_read_b32 v125, v122
	s_waitcnt vmcnt(0) lgkmcnt(0)
	v_mul_f32_e32 v124, v124, v125
	s_cbranch_execz .LBB123_110
	s_branch .LBB123_111
.LBB123_109:
                                        ; implicit-def: $vgpr124
.LBB123_110:
	ds_read_b32 v124, v122
.LBB123_111:
	s_and_saveexec_b64 s[12:13], s[4:5]
	s_cbranch_execz .LBB123_115
; %bb.112:
	v_subrev_u32_e32 v125, 48, v0
	s_movk_i32 s63, 0x1b0
	s_mov_b64 s[4:5], 0
.LBB123_113:                            ; =>This Inner Loop Header: Depth=1
	v_mov_b32_e32 v126, s62
	buffer_load_dword v126, v126, s[0:3], 0 offen
	v_mov_b32_e32 v127, s63
	ds_read_b32 v127, v127
	v_add_u32_e32 v125, -1, v125
	s_add_i32 s63, s63, 4
	s_add_i32 s62, s62, 4
	v_cmp_eq_u32_e32 vcc, 0, v125
	s_or_b64 s[4:5], vcc, s[4:5]
	s_waitcnt vmcnt(0) lgkmcnt(0)
	v_fmac_f32_e32 v124, v126, v127
	s_andn2_b64 exec, exec, s[4:5]
	s_cbranch_execnz .LBB123_113
; %bb.114:
	s_or_b64 exec, exec, s[4:5]
.LBB123_115:
	s_or_b64 exec, exec, s[12:13]
	v_mov_b32_e32 v125, 0
	ds_read_b32 v125, v125 offset:188
	s_waitcnt lgkmcnt(0)
	v_mul_f32_e32 v124, v124, v125
	buffer_store_dword v124, off, s[0:3], 0 offset:188
.LBB123_116:
	;; [unrolled: 54-line block ×33, first 2 shown]
	s_or_b64 exec, exec, s[8:9]
	buffer_load_dword v124, off, s[0:3], 0 offset:60
	v_cmp_lt_u32_e64 s[6:7], 15, v0
	s_waitcnt vmcnt(0)
	ds_write_b32 v122, v124
	s_waitcnt lgkmcnt(0)
	; wave barrier
	s_and_saveexec_b64 s[8:9], s[6:7]
	s_cbranch_execz .LBB123_436
; %bb.427:
	s_andn2_b64 vcc, exec, s[10:11]
	s_cbranch_vccnz .LBB123_429
; %bb.428:
	buffer_load_dword v124, v123, s[0:3], 0 offen
	ds_read_b32 v125, v122
	s_waitcnt vmcnt(0) lgkmcnt(0)
	v_mul_f32_e32 v124, v124, v125
	s_cbranch_execz .LBB123_430
	s_branch .LBB123_431
.LBB123_429:
                                        ; implicit-def: $vgpr124
.LBB123_430:
	ds_read_b32 v124, v122
.LBB123_431:
	s_and_saveexec_b64 s[12:13], s[4:5]
	s_cbranch_execz .LBB123_435
; %bb.432:
	v_add_u32_e32 v125, -16, v0
	s_movk_i32 s30, 0x130
	s_mov_b64 s[4:5], 0
.LBB123_433:                            ; =>This Inner Loop Header: Depth=1
	v_mov_b32_e32 v126, s29
	buffer_load_dword v126, v126, s[0:3], 0 offen
	v_mov_b32_e32 v127, s30
	ds_read_b32 v127, v127
	v_add_u32_e32 v125, -1, v125
	s_add_i32 s30, s30, 4
	s_add_i32 s29, s29, 4
	v_cmp_eq_u32_e32 vcc, 0, v125
	s_or_b64 s[4:5], vcc, s[4:5]
	s_waitcnt vmcnt(0) lgkmcnt(0)
	v_fmac_f32_e32 v124, v126, v127
	s_andn2_b64 exec, exec, s[4:5]
	s_cbranch_execnz .LBB123_433
; %bb.434:
	s_or_b64 exec, exec, s[4:5]
.LBB123_435:
	s_or_b64 exec, exec, s[12:13]
	v_mov_b32_e32 v125, 0
	ds_read_b32 v125, v125 offset:60
	s_waitcnt lgkmcnt(0)
	v_mul_f32_e32 v124, v124, v125
	buffer_store_dword v124, off, s[0:3], 0 offset:60
.LBB123_436:
	s_or_b64 exec, exec, s[8:9]
	buffer_load_dword v124, off, s[0:3], 0 offset:56
	v_cmp_lt_u32_e64 s[4:5], 14, v0
	s_waitcnt vmcnt(0)
	ds_write_b32 v122, v124
	s_waitcnt lgkmcnt(0)
	; wave barrier
	s_and_saveexec_b64 s[8:9], s[4:5]
	s_cbranch_execz .LBB123_446
; %bb.437:
	s_andn2_b64 vcc, exec, s[10:11]
	s_cbranch_vccnz .LBB123_439
; %bb.438:
	buffer_load_dword v124, v123, s[0:3], 0 offen
	ds_read_b32 v125, v122
	s_waitcnt vmcnt(0) lgkmcnt(0)
	v_mul_f32_e32 v124, v124, v125
	s_cbranch_execz .LBB123_440
	s_branch .LBB123_441
.LBB123_439:
                                        ; implicit-def: $vgpr124
.LBB123_440:
	ds_read_b32 v124, v122
.LBB123_441:
	s_and_saveexec_b64 s[12:13], s[6:7]
	s_cbranch_execz .LBB123_445
; %bb.442:
	v_add_u32_e32 v125, -15, v0
	s_movk_i32 s29, 0x12c
	s_mov_b64 s[6:7], 0
.LBB123_443:                            ; =>This Inner Loop Header: Depth=1
	v_mov_b32_e32 v126, s28
	buffer_load_dword v126, v126, s[0:3], 0 offen
	v_mov_b32_e32 v127, s29
	ds_read_b32 v127, v127
	v_add_u32_e32 v125, -1, v125
	s_add_i32 s29, s29, 4
	s_add_i32 s28, s28, 4
	v_cmp_eq_u32_e32 vcc, 0, v125
	s_or_b64 s[6:7], vcc, s[6:7]
	s_waitcnt vmcnt(0) lgkmcnt(0)
	v_fmac_f32_e32 v124, v126, v127
	s_andn2_b64 exec, exec, s[6:7]
	s_cbranch_execnz .LBB123_443
; %bb.444:
	s_or_b64 exec, exec, s[6:7]
.LBB123_445:
	s_or_b64 exec, exec, s[12:13]
	v_mov_b32_e32 v125, 0
	ds_read_b32 v125, v125 offset:56
	s_waitcnt lgkmcnt(0)
	v_mul_f32_e32 v124, v124, v125
	buffer_store_dword v124, off, s[0:3], 0 offset:56
.LBB123_446:
	s_or_b64 exec, exec, s[8:9]
	buffer_load_dword v124, off, s[0:3], 0 offset:52
	v_cmp_lt_u32_e64 s[6:7], 13, v0
	s_waitcnt vmcnt(0)
	ds_write_b32 v122, v124
	s_waitcnt lgkmcnt(0)
	; wave barrier
	s_and_saveexec_b64 s[8:9], s[6:7]
	s_cbranch_execz .LBB123_456
; %bb.447:
	s_andn2_b64 vcc, exec, s[10:11]
	s_cbranch_vccnz .LBB123_449
; %bb.448:
	buffer_load_dword v124, v123, s[0:3], 0 offen
	ds_read_b32 v125, v122
	s_waitcnt vmcnt(0) lgkmcnt(0)
	v_mul_f32_e32 v124, v124, v125
	s_cbranch_execz .LBB123_450
	s_branch .LBB123_451
.LBB123_449:
                                        ; implicit-def: $vgpr124
.LBB123_450:
	ds_read_b32 v124, v122
.LBB123_451:
	s_and_saveexec_b64 s[12:13], s[4:5]
	s_cbranch_execz .LBB123_455
; %bb.452:
	v_add_u32_e32 v125, -14, v0
	s_movk_i32 s28, 0x128
	s_mov_b64 s[4:5], 0
.LBB123_453:                            ; =>This Inner Loop Header: Depth=1
	v_mov_b32_e32 v126, s27
	buffer_load_dword v126, v126, s[0:3], 0 offen
	v_mov_b32_e32 v127, s28
	ds_read_b32 v127, v127
	v_add_u32_e32 v125, -1, v125
	s_add_i32 s28, s28, 4
	s_add_i32 s27, s27, 4
	v_cmp_eq_u32_e32 vcc, 0, v125
	s_or_b64 s[4:5], vcc, s[4:5]
	s_waitcnt vmcnt(0) lgkmcnt(0)
	v_fmac_f32_e32 v124, v126, v127
	s_andn2_b64 exec, exec, s[4:5]
	s_cbranch_execnz .LBB123_453
; %bb.454:
	s_or_b64 exec, exec, s[4:5]
.LBB123_455:
	s_or_b64 exec, exec, s[12:13]
	v_mov_b32_e32 v125, 0
	ds_read_b32 v125, v125 offset:52
	s_waitcnt lgkmcnt(0)
	v_mul_f32_e32 v124, v124, v125
	buffer_store_dword v124, off, s[0:3], 0 offset:52
.LBB123_456:
	s_or_b64 exec, exec, s[8:9]
	buffer_load_dword v124, off, s[0:3], 0 offset:48
	v_cmp_lt_u32_e64 s[4:5], 12, v0
	s_waitcnt vmcnt(0)
	ds_write_b32 v122, v124
	s_waitcnt lgkmcnt(0)
	; wave barrier
	s_and_saveexec_b64 s[8:9], s[4:5]
	s_cbranch_execz .LBB123_466
; %bb.457:
	s_andn2_b64 vcc, exec, s[10:11]
	s_cbranch_vccnz .LBB123_459
; %bb.458:
	buffer_load_dword v124, v123, s[0:3], 0 offen
	ds_read_b32 v125, v122
	s_waitcnt vmcnt(0) lgkmcnt(0)
	v_mul_f32_e32 v124, v124, v125
	s_cbranch_execz .LBB123_460
	s_branch .LBB123_461
.LBB123_459:
                                        ; implicit-def: $vgpr124
.LBB123_460:
	ds_read_b32 v124, v122
.LBB123_461:
	s_and_saveexec_b64 s[12:13], s[6:7]
	s_cbranch_execz .LBB123_465
; %bb.462:
	v_add_u32_e32 v125, -13, v0
	s_movk_i32 s27, 0x124
	s_mov_b64 s[6:7], 0
.LBB123_463:                            ; =>This Inner Loop Header: Depth=1
	v_mov_b32_e32 v126, s26
	buffer_load_dword v126, v126, s[0:3], 0 offen
	v_mov_b32_e32 v127, s27
	ds_read_b32 v127, v127
	v_add_u32_e32 v125, -1, v125
	s_add_i32 s27, s27, 4
	s_add_i32 s26, s26, 4
	v_cmp_eq_u32_e32 vcc, 0, v125
	s_or_b64 s[6:7], vcc, s[6:7]
	s_waitcnt vmcnt(0) lgkmcnt(0)
	v_fmac_f32_e32 v124, v126, v127
	s_andn2_b64 exec, exec, s[6:7]
	s_cbranch_execnz .LBB123_463
; %bb.464:
	s_or_b64 exec, exec, s[6:7]
.LBB123_465:
	s_or_b64 exec, exec, s[12:13]
	v_mov_b32_e32 v125, 0
	ds_read_b32 v125, v125 offset:48
	s_waitcnt lgkmcnt(0)
	v_mul_f32_e32 v124, v124, v125
	buffer_store_dword v124, off, s[0:3], 0 offset:48
.LBB123_466:
	s_or_b64 exec, exec, s[8:9]
	buffer_load_dword v124, off, s[0:3], 0 offset:44
	v_cmp_lt_u32_e64 s[6:7], 11, v0
	s_waitcnt vmcnt(0)
	ds_write_b32 v122, v124
	s_waitcnt lgkmcnt(0)
	; wave barrier
	s_and_saveexec_b64 s[8:9], s[6:7]
	s_cbranch_execz .LBB123_476
; %bb.467:
	s_andn2_b64 vcc, exec, s[10:11]
	s_cbranch_vccnz .LBB123_469
; %bb.468:
	buffer_load_dword v124, v123, s[0:3], 0 offen
	ds_read_b32 v125, v122
	s_waitcnt vmcnt(0) lgkmcnt(0)
	v_mul_f32_e32 v124, v124, v125
	s_cbranch_execz .LBB123_470
	s_branch .LBB123_471
.LBB123_469:
                                        ; implicit-def: $vgpr124
.LBB123_470:
	ds_read_b32 v124, v122
.LBB123_471:
	s_and_saveexec_b64 s[12:13], s[4:5]
	s_cbranch_execz .LBB123_475
; %bb.472:
	v_add_u32_e32 v125, -12, v0
	s_movk_i32 s26, 0x120
	s_mov_b64 s[4:5], 0
.LBB123_473:                            ; =>This Inner Loop Header: Depth=1
	v_mov_b32_e32 v126, s25
	buffer_load_dword v126, v126, s[0:3], 0 offen
	v_mov_b32_e32 v127, s26
	ds_read_b32 v127, v127
	v_add_u32_e32 v125, -1, v125
	s_add_i32 s26, s26, 4
	s_add_i32 s25, s25, 4
	v_cmp_eq_u32_e32 vcc, 0, v125
	s_or_b64 s[4:5], vcc, s[4:5]
	s_waitcnt vmcnt(0) lgkmcnt(0)
	v_fmac_f32_e32 v124, v126, v127
	s_andn2_b64 exec, exec, s[4:5]
	s_cbranch_execnz .LBB123_473
; %bb.474:
	s_or_b64 exec, exec, s[4:5]
.LBB123_475:
	s_or_b64 exec, exec, s[12:13]
	v_mov_b32_e32 v125, 0
	ds_read_b32 v125, v125 offset:44
	s_waitcnt lgkmcnt(0)
	v_mul_f32_e32 v124, v124, v125
	buffer_store_dword v124, off, s[0:3], 0 offset:44
.LBB123_476:
	s_or_b64 exec, exec, s[8:9]
	buffer_load_dword v124, off, s[0:3], 0 offset:40
	v_cmp_lt_u32_e64 s[4:5], 10, v0
	s_waitcnt vmcnt(0)
	ds_write_b32 v122, v124
	s_waitcnt lgkmcnt(0)
	; wave barrier
	s_and_saveexec_b64 s[8:9], s[4:5]
	s_cbranch_execz .LBB123_486
; %bb.477:
	s_andn2_b64 vcc, exec, s[10:11]
	s_cbranch_vccnz .LBB123_479
; %bb.478:
	buffer_load_dword v124, v123, s[0:3], 0 offen
	ds_read_b32 v125, v122
	s_waitcnt vmcnt(0) lgkmcnt(0)
	v_mul_f32_e32 v124, v124, v125
	s_cbranch_execz .LBB123_480
	s_branch .LBB123_481
.LBB123_479:
                                        ; implicit-def: $vgpr124
.LBB123_480:
	ds_read_b32 v124, v122
.LBB123_481:
	s_and_saveexec_b64 s[12:13], s[6:7]
	s_cbranch_execz .LBB123_485
; %bb.482:
	v_add_u32_e32 v125, -11, v0
	s_movk_i32 s25, 0x11c
	s_mov_b64 s[6:7], 0
.LBB123_483:                            ; =>This Inner Loop Header: Depth=1
	v_mov_b32_e32 v126, s24
	buffer_load_dword v126, v126, s[0:3], 0 offen
	v_mov_b32_e32 v127, s25
	ds_read_b32 v127, v127
	v_add_u32_e32 v125, -1, v125
	s_add_i32 s25, s25, 4
	s_add_i32 s24, s24, 4
	v_cmp_eq_u32_e32 vcc, 0, v125
	s_or_b64 s[6:7], vcc, s[6:7]
	s_waitcnt vmcnt(0) lgkmcnt(0)
	v_fmac_f32_e32 v124, v126, v127
	s_andn2_b64 exec, exec, s[6:7]
	s_cbranch_execnz .LBB123_483
; %bb.484:
	s_or_b64 exec, exec, s[6:7]
.LBB123_485:
	s_or_b64 exec, exec, s[12:13]
	v_mov_b32_e32 v125, 0
	ds_read_b32 v125, v125 offset:40
	s_waitcnt lgkmcnt(0)
	v_mul_f32_e32 v124, v124, v125
	buffer_store_dword v124, off, s[0:3], 0 offset:40
.LBB123_486:
	s_or_b64 exec, exec, s[8:9]
	buffer_load_dword v124, off, s[0:3], 0 offset:36
	v_cmp_lt_u32_e64 s[6:7], 9, v0
	s_waitcnt vmcnt(0)
	ds_write_b32 v122, v124
	s_waitcnt lgkmcnt(0)
	; wave barrier
	s_and_saveexec_b64 s[8:9], s[6:7]
	s_cbranch_execz .LBB123_496
; %bb.487:
	s_andn2_b64 vcc, exec, s[10:11]
	s_cbranch_vccnz .LBB123_489
; %bb.488:
	buffer_load_dword v124, v123, s[0:3], 0 offen
	ds_read_b32 v125, v122
	s_waitcnt vmcnt(0) lgkmcnt(0)
	v_mul_f32_e32 v124, v124, v125
	s_cbranch_execz .LBB123_490
	s_branch .LBB123_491
.LBB123_489:
                                        ; implicit-def: $vgpr124
.LBB123_490:
	ds_read_b32 v124, v122
.LBB123_491:
	s_and_saveexec_b64 s[12:13], s[4:5]
	s_cbranch_execz .LBB123_495
; %bb.492:
	v_add_u32_e32 v125, -10, v0
	s_movk_i32 s24, 0x118
	s_mov_b64 s[4:5], 0
.LBB123_493:                            ; =>This Inner Loop Header: Depth=1
	v_mov_b32_e32 v126, s23
	buffer_load_dword v126, v126, s[0:3], 0 offen
	v_mov_b32_e32 v127, s24
	ds_read_b32 v127, v127
	v_add_u32_e32 v125, -1, v125
	s_add_i32 s24, s24, 4
	s_add_i32 s23, s23, 4
	v_cmp_eq_u32_e32 vcc, 0, v125
	s_or_b64 s[4:5], vcc, s[4:5]
	s_waitcnt vmcnt(0) lgkmcnt(0)
	v_fmac_f32_e32 v124, v126, v127
	s_andn2_b64 exec, exec, s[4:5]
	s_cbranch_execnz .LBB123_493
; %bb.494:
	s_or_b64 exec, exec, s[4:5]
.LBB123_495:
	s_or_b64 exec, exec, s[12:13]
	v_mov_b32_e32 v125, 0
	ds_read_b32 v125, v125 offset:36
	s_waitcnt lgkmcnt(0)
	v_mul_f32_e32 v124, v124, v125
	buffer_store_dword v124, off, s[0:3], 0 offset:36
.LBB123_496:
	s_or_b64 exec, exec, s[8:9]
	buffer_load_dword v124, off, s[0:3], 0 offset:32
	v_cmp_lt_u32_e64 s[4:5], 8, v0
	s_waitcnt vmcnt(0)
	ds_write_b32 v122, v124
	s_waitcnt lgkmcnt(0)
	; wave barrier
	s_and_saveexec_b64 s[8:9], s[4:5]
	s_cbranch_execz .LBB123_506
; %bb.497:
	s_andn2_b64 vcc, exec, s[10:11]
	s_cbranch_vccnz .LBB123_499
; %bb.498:
	buffer_load_dword v124, v123, s[0:3], 0 offen
	ds_read_b32 v125, v122
	s_waitcnt vmcnt(0) lgkmcnt(0)
	v_mul_f32_e32 v124, v124, v125
	s_cbranch_execz .LBB123_500
	s_branch .LBB123_501
.LBB123_499:
                                        ; implicit-def: $vgpr124
.LBB123_500:
	ds_read_b32 v124, v122
.LBB123_501:
	s_and_saveexec_b64 s[12:13], s[6:7]
	s_cbranch_execz .LBB123_505
; %bb.502:
	v_add_u32_e32 v125, -9, v0
	s_movk_i32 s23, 0x114
	s_mov_b64 s[6:7], 0
.LBB123_503:                            ; =>This Inner Loop Header: Depth=1
	v_mov_b32_e32 v126, s22
	buffer_load_dword v126, v126, s[0:3], 0 offen
	v_mov_b32_e32 v127, s23
	ds_read_b32 v127, v127
	v_add_u32_e32 v125, -1, v125
	s_add_i32 s23, s23, 4
	s_add_i32 s22, s22, 4
	v_cmp_eq_u32_e32 vcc, 0, v125
	s_or_b64 s[6:7], vcc, s[6:7]
	s_waitcnt vmcnt(0) lgkmcnt(0)
	v_fmac_f32_e32 v124, v126, v127
	s_andn2_b64 exec, exec, s[6:7]
	s_cbranch_execnz .LBB123_503
; %bb.504:
	s_or_b64 exec, exec, s[6:7]
.LBB123_505:
	s_or_b64 exec, exec, s[12:13]
	v_mov_b32_e32 v125, 0
	ds_read_b32 v125, v125 offset:32
	s_waitcnt lgkmcnt(0)
	v_mul_f32_e32 v124, v124, v125
	buffer_store_dword v124, off, s[0:3], 0 offset:32
.LBB123_506:
	s_or_b64 exec, exec, s[8:9]
	buffer_load_dword v124, off, s[0:3], 0 offset:28
	v_cmp_lt_u32_e64 s[6:7], 7, v0
	s_waitcnt vmcnt(0)
	ds_write_b32 v122, v124
	s_waitcnt lgkmcnt(0)
	; wave barrier
	s_and_saveexec_b64 s[8:9], s[6:7]
	s_cbranch_execz .LBB123_516
; %bb.507:
	s_andn2_b64 vcc, exec, s[10:11]
	s_cbranch_vccnz .LBB123_509
; %bb.508:
	buffer_load_dword v124, v123, s[0:3], 0 offen
	ds_read_b32 v125, v122
	s_waitcnt vmcnt(0) lgkmcnt(0)
	v_mul_f32_e32 v124, v124, v125
	s_cbranch_execz .LBB123_510
	s_branch .LBB123_511
.LBB123_509:
                                        ; implicit-def: $vgpr124
.LBB123_510:
	ds_read_b32 v124, v122
.LBB123_511:
	s_and_saveexec_b64 s[12:13], s[4:5]
	s_cbranch_execz .LBB123_515
; %bb.512:
	v_add_u32_e32 v125, -8, v0
	s_movk_i32 s22, 0x110
	s_mov_b64 s[4:5], 0
.LBB123_513:                            ; =>This Inner Loop Header: Depth=1
	v_mov_b32_e32 v126, s21
	buffer_load_dword v126, v126, s[0:3], 0 offen
	v_mov_b32_e32 v127, s22
	ds_read_b32 v127, v127
	v_add_u32_e32 v125, -1, v125
	s_add_i32 s22, s22, 4
	s_add_i32 s21, s21, 4
	v_cmp_eq_u32_e32 vcc, 0, v125
	s_or_b64 s[4:5], vcc, s[4:5]
	s_waitcnt vmcnt(0) lgkmcnt(0)
	v_fmac_f32_e32 v124, v126, v127
	s_andn2_b64 exec, exec, s[4:5]
	s_cbranch_execnz .LBB123_513
; %bb.514:
	s_or_b64 exec, exec, s[4:5]
.LBB123_515:
	s_or_b64 exec, exec, s[12:13]
	v_mov_b32_e32 v125, 0
	ds_read_b32 v125, v125 offset:28
	s_waitcnt lgkmcnt(0)
	v_mul_f32_e32 v124, v124, v125
	buffer_store_dword v124, off, s[0:3], 0 offset:28
.LBB123_516:
	s_or_b64 exec, exec, s[8:9]
	buffer_load_dword v124, off, s[0:3], 0 offset:24
	v_cmp_lt_u32_e64 s[4:5], 6, v0
	s_waitcnt vmcnt(0)
	ds_write_b32 v122, v124
	s_waitcnt lgkmcnt(0)
	; wave barrier
	s_and_saveexec_b64 s[8:9], s[4:5]
	s_cbranch_execz .LBB123_526
; %bb.517:
	s_andn2_b64 vcc, exec, s[10:11]
	s_cbranch_vccnz .LBB123_519
; %bb.518:
	buffer_load_dword v124, v123, s[0:3], 0 offen
	ds_read_b32 v125, v122
	s_waitcnt vmcnt(0) lgkmcnt(0)
	v_mul_f32_e32 v124, v124, v125
	s_cbranch_execz .LBB123_520
	s_branch .LBB123_521
.LBB123_519:
                                        ; implicit-def: $vgpr124
.LBB123_520:
	ds_read_b32 v124, v122
.LBB123_521:
	s_and_saveexec_b64 s[12:13], s[6:7]
	s_cbranch_execz .LBB123_525
; %bb.522:
	v_add_u32_e32 v125, -7, v0
	s_movk_i32 s21, 0x10c
	s_mov_b64 s[6:7], 0
.LBB123_523:                            ; =>This Inner Loop Header: Depth=1
	v_mov_b32_e32 v126, s20
	buffer_load_dword v126, v126, s[0:3], 0 offen
	v_mov_b32_e32 v127, s21
	ds_read_b32 v127, v127
	v_add_u32_e32 v125, -1, v125
	s_add_i32 s21, s21, 4
	s_add_i32 s20, s20, 4
	v_cmp_eq_u32_e32 vcc, 0, v125
	s_or_b64 s[6:7], vcc, s[6:7]
	s_waitcnt vmcnt(0) lgkmcnt(0)
	v_fmac_f32_e32 v124, v126, v127
	s_andn2_b64 exec, exec, s[6:7]
	s_cbranch_execnz .LBB123_523
; %bb.524:
	s_or_b64 exec, exec, s[6:7]
.LBB123_525:
	s_or_b64 exec, exec, s[12:13]
	v_mov_b32_e32 v125, 0
	ds_read_b32 v125, v125 offset:24
	s_waitcnt lgkmcnt(0)
	v_mul_f32_e32 v124, v124, v125
	buffer_store_dword v124, off, s[0:3], 0 offset:24
.LBB123_526:
	s_or_b64 exec, exec, s[8:9]
	buffer_load_dword v124, off, s[0:3], 0 offset:20
	v_cmp_lt_u32_e64 s[6:7], 5, v0
	s_waitcnt vmcnt(0)
	ds_write_b32 v122, v124
	s_waitcnt lgkmcnt(0)
	; wave barrier
	s_and_saveexec_b64 s[8:9], s[6:7]
	s_cbranch_execz .LBB123_536
; %bb.527:
	s_andn2_b64 vcc, exec, s[10:11]
	s_cbranch_vccnz .LBB123_529
; %bb.528:
	buffer_load_dword v124, v123, s[0:3], 0 offen
	ds_read_b32 v125, v122
	s_waitcnt vmcnt(0) lgkmcnt(0)
	v_mul_f32_e32 v124, v124, v125
	s_cbranch_execz .LBB123_530
	s_branch .LBB123_531
.LBB123_529:
                                        ; implicit-def: $vgpr124
.LBB123_530:
	ds_read_b32 v124, v122
.LBB123_531:
	s_and_saveexec_b64 s[12:13], s[4:5]
	s_cbranch_execz .LBB123_535
; %bb.532:
	v_add_u32_e32 v125, -6, v0
	s_movk_i32 s20, 0x108
	s_mov_b64 s[4:5], 0
.LBB123_533:                            ; =>This Inner Loop Header: Depth=1
	v_mov_b32_e32 v126, s19
	buffer_load_dword v126, v126, s[0:3], 0 offen
	v_mov_b32_e32 v127, s20
	ds_read_b32 v127, v127
	v_add_u32_e32 v125, -1, v125
	s_add_i32 s20, s20, 4
	s_add_i32 s19, s19, 4
	v_cmp_eq_u32_e32 vcc, 0, v125
	s_or_b64 s[4:5], vcc, s[4:5]
	s_waitcnt vmcnt(0) lgkmcnt(0)
	v_fmac_f32_e32 v124, v126, v127
	s_andn2_b64 exec, exec, s[4:5]
	s_cbranch_execnz .LBB123_533
; %bb.534:
	s_or_b64 exec, exec, s[4:5]
.LBB123_535:
	s_or_b64 exec, exec, s[12:13]
	v_mov_b32_e32 v125, 0
	ds_read_b32 v125, v125 offset:20
	s_waitcnt lgkmcnt(0)
	v_mul_f32_e32 v124, v124, v125
	buffer_store_dword v124, off, s[0:3], 0 offset:20
.LBB123_536:
	s_or_b64 exec, exec, s[8:9]
	buffer_load_dword v124, off, s[0:3], 0 offset:16
	v_cmp_lt_u32_e64 s[4:5], 4, v0
	s_waitcnt vmcnt(0)
	ds_write_b32 v122, v124
	s_waitcnt lgkmcnt(0)
	; wave barrier
	s_and_saveexec_b64 s[8:9], s[4:5]
	s_cbranch_execz .LBB123_546
; %bb.537:
	s_andn2_b64 vcc, exec, s[10:11]
	s_cbranch_vccnz .LBB123_539
; %bb.538:
	buffer_load_dword v124, v123, s[0:3], 0 offen
	ds_read_b32 v125, v122
	s_waitcnt vmcnt(0) lgkmcnt(0)
	v_mul_f32_e32 v124, v124, v125
	s_cbranch_execz .LBB123_540
	s_branch .LBB123_541
.LBB123_539:
                                        ; implicit-def: $vgpr124
.LBB123_540:
	ds_read_b32 v124, v122
.LBB123_541:
	s_and_saveexec_b64 s[12:13], s[6:7]
	s_cbranch_execz .LBB123_545
; %bb.542:
	v_add_u32_e32 v125, -5, v0
	s_movk_i32 s19, 0x104
	s_mov_b64 s[6:7], 0
.LBB123_543:                            ; =>This Inner Loop Header: Depth=1
	v_mov_b32_e32 v126, s18
	buffer_load_dword v126, v126, s[0:3], 0 offen
	v_mov_b32_e32 v127, s19
	ds_read_b32 v127, v127
	v_add_u32_e32 v125, -1, v125
	s_add_i32 s19, s19, 4
	s_add_i32 s18, s18, 4
	v_cmp_eq_u32_e32 vcc, 0, v125
	s_or_b64 s[6:7], vcc, s[6:7]
	s_waitcnt vmcnt(0) lgkmcnt(0)
	v_fmac_f32_e32 v124, v126, v127
	s_andn2_b64 exec, exec, s[6:7]
	s_cbranch_execnz .LBB123_543
; %bb.544:
	s_or_b64 exec, exec, s[6:7]
.LBB123_545:
	s_or_b64 exec, exec, s[12:13]
	v_mov_b32_e32 v125, 0
	ds_read_b32 v125, v125 offset:16
	s_waitcnt lgkmcnt(0)
	v_mul_f32_e32 v124, v124, v125
	buffer_store_dword v124, off, s[0:3], 0 offset:16
.LBB123_546:
	s_or_b64 exec, exec, s[8:9]
	buffer_load_dword v124, off, s[0:3], 0 offset:12
	v_cmp_lt_u32_e64 s[6:7], 3, v0
	s_waitcnt vmcnt(0)
	ds_write_b32 v122, v124
	s_waitcnt lgkmcnt(0)
	; wave barrier
	s_and_saveexec_b64 s[8:9], s[6:7]
	s_cbranch_execz .LBB123_556
; %bb.547:
	s_andn2_b64 vcc, exec, s[10:11]
	s_cbranch_vccnz .LBB123_549
; %bb.548:
	buffer_load_dword v124, v123, s[0:3], 0 offen
	ds_read_b32 v125, v122
	s_waitcnt vmcnt(0) lgkmcnt(0)
	v_mul_f32_e32 v124, v124, v125
	s_cbranch_execz .LBB123_550
	s_branch .LBB123_551
.LBB123_549:
                                        ; implicit-def: $vgpr124
.LBB123_550:
	ds_read_b32 v124, v122
.LBB123_551:
	s_and_saveexec_b64 s[12:13], s[4:5]
	s_cbranch_execz .LBB123_555
; %bb.552:
	v_add_u32_e32 v125, -4, v0
	s_movk_i32 s18, 0x100
	s_mov_b64 s[4:5], 0
.LBB123_553:                            ; =>This Inner Loop Header: Depth=1
	v_mov_b32_e32 v126, s17
	buffer_load_dword v126, v126, s[0:3], 0 offen
	v_mov_b32_e32 v127, s18
	ds_read_b32 v127, v127
	v_add_u32_e32 v125, -1, v125
	s_add_i32 s18, s18, 4
	s_add_i32 s17, s17, 4
	v_cmp_eq_u32_e32 vcc, 0, v125
	s_or_b64 s[4:5], vcc, s[4:5]
	s_waitcnt vmcnt(0) lgkmcnt(0)
	v_fmac_f32_e32 v124, v126, v127
	s_andn2_b64 exec, exec, s[4:5]
	s_cbranch_execnz .LBB123_553
; %bb.554:
	s_or_b64 exec, exec, s[4:5]
.LBB123_555:
	s_or_b64 exec, exec, s[12:13]
	v_mov_b32_e32 v125, 0
	ds_read_b32 v125, v125 offset:12
	s_waitcnt lgkmcnt(0)
	v_mul_f32_e32 v124, v124, v125
	buffer_store_dword v124, off, s[0:3], 0 offset:12
.LBB123_556:
	s_or_b64 exec, exec, s[8:9]
	buffer_load_dword v124, off, s[0:3], 0 offset:8
	v_cmp_lt_u32_e64 s[4:5], 2, v0
	s_waitcnt vmcnt(0)
	ds_write_b32 v122, v124
	s_waitcnt lgkmcnt(0)
	; wave barrier
	s_and_saveexec_b64 s[8:9], s[4:5]
	s_cbranch_execz .LBB123_566
; %bb.557:
	s_andn2_b64 vcc, exec, s[10:11]
	s_cbranch_vccnz .LBB123_559
; %bb.558:
	buffer_load_dword v124, v123, s[0:3], 0 offen
	ds_read_b32 v125, v122
	s_waitcnt vmcnt(0) lgkmcnt(0)
	v_mul_f32_e32 v124, v124, v125
	s_cbranch_execz .LBB123_560
	s_branch .LBB123_561
.LBB123_559:
                                        ; implicit-def: $vgpr124
.LBB123_560:
	ds_read_b32 v124, v122
.LBB123_561:
	s_and_saveexec_b64 s[12:13], s[6:7]
	s_cbranch_execz .LBB123_565
; %bb.562:
	v_add_u32_e32 v125, -3, v0
	s_movk_i32 s17, 0xfc
	s_mov_b64 s[6:7], 0
.LBB123_563:                            ; =>This Inner Loop Header: Depth=1
	v_mov_b32_e32 v126, s16
	buffer_load_dword v126, v126, s[0:3], 0 offen
	v_mov_b32_e32 v127, s17
	ds_read_b32 v127, v127
	v_add_u32_e32 v125, -1, v125
	s_add_i32 s17, s17, 4
	s_add_i32 s16, s16, 4
	v_cmp_eq_u32_e32 vcc, 0, v125
	s_or_b64 s[6:7], vcc, s[6:7]
	s_waitcnt vmcnt(0) lgkmcnt(0)
	v_fmac_f32_e32 v124, v126, v127
	s_andn2_b64 exec, exec, s[6:7]
	s_cbranch_execnz .LBB123_563
; %bb.564:
	s_or_b64 exec, exec, s[6:7]
.LBB123_565:
	s_or_b64 exec, exec, s[12:13]
	v_mov_b32_e32 v125, 0
	ds_read_b32 v125, v125 offset:8
	s_waitcnt lgkmcnt(0)
	v_mul_f32_e32 v124, v124, v125
	buffer_store_dword v124, off, s[0:3], 0 offset:8
.LBB123_566:
	s_or_b64 exec, exec, s[8:9]
	buffer_load_dword v124, off, s[0:3], 0 offset:4
	v_cmp_lt_u32_e64 s[6:7], 1, v0
	s_waitcnt vmcnt(0)
	ds_write_b32 v122, v124
	s_waitcnt lgkmcnt(0)
	; wave barrier
	s_and_saveexec_b64 s[8:9], s[6:7]
	s_cbranch_execz .LBB123_576
; %bb.567:
	s_andn2_b64 vcc, exec, s[10:11]
	s_cbranch_vccnz .LBB123_569
; %bb.568:
	buffer_load_dword v124, v123, s[0:3], 0 offen
	ds_read_b32 v125, v122
	s_waitcnt vmcnt(0) lgkmcnt(0)
	v_mul_f32_e32 v124, v124, v125
	s_cbranch_execz .LBB123_570
	s_branch .LBB123_571
.LBB123_569:
                                        ; implicit-def: $vgpr124
.LBB123_570:
	ds_read_b32 v124, v122
.LBB123_571:
	s_and_saveexec_b64 s[12:13], s[4:5]
	s_cbranch_execz .LBB123_575
; %bb.572:
	v_add_u32_e32 v125, -2, v0
	s_movk_i32 s16, 0xf8
	s_mov_b64 s[4:5], 0
.LBB123_573:                            ; =>This Inner Loop Header: Depth=1
	v_mov_b32_e32 v126, s15
	buffer_load_dword v126, v126, s[0:3], 0 offen
	v_mov_b32_e32 v127, s16
	ds_read_b32 v127, v127
	v_add_u32_e32 v125, -1, v125
	s_add_i32 s16, s16, 4
	s_add_i32 s15, s15, 4
	v_cmp_eq_u32_e32 vcc, 0, v125
	s_or_b64 s[4:5], vcc, s[4:5]
	s_waitcnt vmcnt(0) lgkmcnt(0)
	v_fmac_f32_e32 v124, v126, v127
	s_andn2_b64 exec, exec, s[4:5]
	s_cbranch_execnz .LBB123_573
; %bb.574:
	s_or_b64 exec, exec, s[4:5]
.LBB123_575:
	s_or_b64 exec, exec, s[12:13]
	v_mov_b32_e32 v125, 0
	ds_read_b32 v125, v125 offset:4
	s_waitcnt lgkmcnt(0)
	v_mul_f32_e32 v124, v124, v125
	buffer_store_dword v124, off, s[0:3], 0 offset:4
.LBB123_576:
	s_or_b64 exec, exec, s[8:9]
	buffer_load_dword v124, off, s[0:3], 0
	v_cmp_ne_u32_e32 vcc, 0, v0
	s_waitcnt vmcnt(0)
	ds_write_b32 v122, v124
	s_waitcnt lgkmcnt(0)
	; wave barrier
	s_and_saveexec_b64 s[4:5], vcc
	s_cbranch_execz .LBB123_586
; %bb.577:
	s_andn2_b64 vcc, exec, s[10:11]
	s_cbranch_vccnz .LBB123_579
; %bb.578:
	buffer_load_dword v124, v123, s[0:3], 0 offen
	ds_read_b32 v125, v122
	s_waitcnt vmcnt(0) lgkmcnt(0)
	v_mul_f32_e32 v124, v124, v125
	s_cbranch_execz .LBB123_580
	s_branch .LBB123_581
.LBB123_579:
                                        ; implicit-def: $vgpr124
.LBB123_580:
	ds_read_b32 v124, v122
.LBB123_581:
	s_and_saveexec_b64 s[8:9], s[6:7]
	s_cbranch_execz .LBB123_585
; %bb.582:
	v_add_u32_e32 v125, -1, v0
	s_movk_i32 s12, 0xf4
	s_mov_b64 s[6:7], 0
.LBB123_583:                            ; =>This Inner Loop Header: Depth=1
	v_mov_b32_e32 v126, s14
	buffer_load_dword v126, v126, s[0:3], 0 offen
	v_mov_b32_e32 v127, s12
	ds_read_b32 v127, v127
	v_add_u32_e32 v125, -1, v125
	s_add_i32 s12, s12, 4
	s_add_i32 s14, s14, 4
	v_cmp_eq_u32_e32 vcc, 0, v125
	s_or_b64 s[6:7], vcc, s[6:7]
	s_waitcnt vmcnt(0) lgkmcnt(0)
	v_fmac_f32_e32 v124, v126, v127
	s_andn2_b64 exec, exec, s[6:7]
	s_cbranch_execnz .LBB123_583
; %bb.584:
	s_or_b64 exec, exec, s[6:7]
.LBB123_585:
	s_or_b64 exec, exec, s[8:9]
	v_mov_b32_e32 v125, 0
	ds_read_b32 v125, v125
	s_waitcnt lgkmcnt(0)
	v_mul_f32_e32 v124, v124, v125
	buffer_store_dword v124, off, s[0:3], 0
.LBB123_586:
	s_or_b64 exec, exec, s[4:5]
	s_mov_b64 s[4:5], 0
.LBB123_587:
	s_and_b64 vcc, exec, s[4:5]
	s_cbranch_vccz .LBB123_1169
; %bb.588:
	buffer_load_dword v124, off, s[0:3], 0 offset:4
	v_cmp_eq_u32_e64 s[6:7], 0, v0
	s_waitcnt vmcnt(0)
	ds_write_b32 v122, v124
	s_waitcnt lgkmcnt(0)
	; wave barrier
	s_and_saveexec_b64 s[4:5], s[6:7]
	s_cbranch_execz .LBB123_594
; %bb.589:
	s_and_b64 vcc, exec, s[10:11]
	s_cbranch_vccz .LBB123_591
; %bb.590:
	buffer_load_dword v124, v123, s[0:3], 0 offen
	ds_read_b32 v125, v122
	s_waitcnt vmcnt(0) lgkmcnt(0)
	v_mul_f32_e32 v124, v124, v125
	s_cbranch_execz .LBB123_592
	s_branch .LBB123_593
.LBB123_591:
                                        ; implicit-def: $vgpr124
.LBB123_592:
	ds_read_b32 v124, v122
.LBB123_593:
	v_mov_b32_e32 v125, 0
	ds_read_b32 v125, v125 offset:4
	s_waitcnt lgkmcnt(0)
	v_mul_f32_e32 v124, v124, v125
	buffer_store_dword v124, off, s[0:3], 0 offset:4
.LBB123_594:
	s_or_b64 exec, exec, s[4:5]
	buffer_load_dword v124, off, s[0:3], 0 offset:8
	v_cndmask_b32_e64 v125, 0, 1, s[10:11]
	v_cmp_gt_u32_e32 vcc, 2, v0
	v_cmp_ne_u32_e64 s[4:5], 1, v125
	s_waitcnt vmcnt(0)
	ds_write_b32 v122, v124
	s_waitcnt lgkmcnt(0)
	; wave barrier
	s_and_saveexec_b64 s[8:9], vcc
	s_cbranch_execz .LBB123_600
; %bb.595:
	s_and_b64 vcc, exec, s[4:5]
	s_cbranch_vccnz .LBB123_597
; %bb.596:
	buffer_load_dword v124, v123, s[0:3], 0 offen
	ds_read_b32 v125, v122
	s_waitcnt vmcnt(0) lgkmcnt(0)
	v_mul_f32_e32 v124, v124, v125
	s_cbranch_execz .LBB123_598
	s_branch .LBB123_599
.LBB123_597:
                                        ; implicit-def: $vgpr124
.LBB123_598:
	ds_read_b32 v124, v122
.LBB123_599:
	buffer_load_dword v127, off, s[0:3], 0 offset:4
	v_mov_b32_e32 v125, 0
	ds_read2_b32 v[125:126], v125 offset0:2 offset1:61
	s_waitcnt vmcnt(0) lgkmcnt(0)
	v_fma_f32 v126, v127, v126, v124
	v_cndmask_b32_e64 v124, v124, v126, s[6:7]
	v_mul_f32_e32 v124, v124, v125
	buffer_store_dword v124, off, s[0:3], 0 offset:8
.LBB123_600:
	s_or_b64 exec, exec, s[8:9]
	buffer_load_dword v124, off, s[0:3], 0 offset:12
	v_cmp_gt_u32_e32 vcc, 3, v0
	s_waitcnt vmcnt(0)
	ds_write_b32 v122, v124
	s_waitcnt lgkmcnt(0)
	; wave barrier
	s_and_saveexec_b64 s[8:9], vcc
	s_cbranch_execz .LBB123_608
; %bb.601:
	s_and_b64 vcc, exec, s[4:5]
	s_cbranch_vccnz .LBB123_603
; %bb.602:
	buffer_load_dword v124, v123, s[0:3], 0 offen
	ds_read_b32 v125, v122
	s_waitcnt vmcnt(0) lgkmcnt(0)
	v_mul_f32_e32 v124, v124, v125
	s_cbranch_execz .LBB123_604
	s_branch .LBB123_605
.LBB123_603:
                                        ; implicit-def: $vgpr124
.LBB123_604:
	ds_read_b32 v124, v122
.LBB123_605:
	v_cmp_ne_u32_e32 vcc, 2, v0
	s_and_saveexec_b64 s[10:11], vcc
	s_cbranch_execz .LBB123_607
; %bb.606:
	buffer_load_dword v125, v123, s[0:3], 0 offen offset:4
	buffer_load_dword v126, off, s[0:3], 0 offset:8
	v_mov_b32_e32 v127, 0
	ds_read_b32 v128, v122 offset:4
	ds_read_b32 v127, v127 offset:248
	s_waitcnt vmcnt(1) lgkmcnt(1)
	v_fmac_f32_e32 v124, v125, v128
	s_waitcnt vmcnt(0) lgkmcnt(0)
	v_fma_f32 v125, v126, v127, v124
	v_cndmask_b32_e64 v124, v124, v125, s[6:7]
.LBB123_607:
	s_or_b64 exec, exec, s[10:11]
	v_mov_b32_e32 v125, 0
	ds_read_b32 v125, v125 offset:12
	s_waitcnt lgkmcnt(0)
	v_mul_f32_e32 v124, v124, v125
	buffer_store_dword v124, off, s[0:3], 0 offset:12
.LBB123_608:
	s_or_b64 exec, exec, s[8:9]
	buffer_load_dword v124, off, s[0:3], 0 offset:16
	v_cmp_gt_u32_e32 vcc, 4, v0
	s_waitcnt vmcnt(0)
	ds_write_b32 v122, v124
	s_waitcnt lgkmcnt(0)
	; wave barrier
	s_and_saveexec_b64 s[6:7], vcc
	s_cbranch_execz .LBB123_618
; %bb.609:
	s_and_b64 vcc, exec, s[4:5]
	s_cbranch_vccnz .LBB123_611
; %bb.610:
	buffer_load_dword v124, v123, s[0:3], 0 offen
	ds_read_b32 v125, v122
	s_waitcnt vmcnt(0) lgkmcnt(0)
	v_mul_f32_e32 v124, v124, v125
	s_cbranch_execz .LBB123_612
	s_branch .LBB123_613
.LBB123_611:
                                        ; implicit-def: $vgpr124
.LBB123_612:
	ds_read_b32 v124, v122
.LBB123_613:
	v_cmp_ne_u32_e32 vcc, 3, v0
	s_and_saveexec_b64 s[8:9], vcc
	s_cbranch_execz .LBB123_617
; %bb.614:
	s_mov_b32 s10, 0
	v_add_u32_e32 v125, 0xf4, v121
	v_add3_u32 v126, v121, s10, 4
	s_mov_b64 s[10:11], 0
	v_mov_b32_e32 v127, v0
.LBB123_615:                            ; =>This Inner Loop Header: Depth=1
	buffer_load_dword v128, v126, s[0:3], 0 offen
	ds_read_b32 v129, v125
	v_add_u32_e32 v127, 1, v127
	v_cmp_lt_u32_e32 vcc, 2, v127
	v_add_u32_e32 v125, 4, v125
	v_add_u32_e32 v126, 4, v126
	s_or_b64 s[10:11], vcc, s[10:11]
	s_waitcnt vmcnt(0) lgkmcnt(0)
	v_fmac_f32_e32 v124, v128, v129
	s_andn2_b64 exec, exec, s[10:11]
	s_cbranch_execnz .LBB123_615
; %bb.616:
	s_or_b64 exec, exec, s[10:11]
.LBB123_617:
	s_or_b64 exec, exec, s[8:9]
	v_mov_b32_e32 v125, 0
	ds_read_b32 v125, v125 offset:16
	s_waitcnt lgkmcnt(0)
	v_mul_f32_e32 v124, v124, v125
	buffer_store_dword v124, off, s[0:3], 0 offset:16
.LBB123_618:
	s_or_b64 exec, exec, s[6:7]
	buffer_load_dword v124, off, s[0:3], 0 offset:20
	v_cmp_gt_u32_e32 vcc, 5, v0
	s_waitcnt vmcnt(0)
	ds_write_b32 v122, v124
	s_waitcnt lgkmcnt(0)
	; wave barrier
	s_and_saveexec_b64 s[6:7], vcc
	s_cbranch_execz .LBB123_628
; %bb.619:
	s_and_b64 vcc, exec, s[4:5]
	s_cbranch_vccnz .LBB123_621
; %bb.620:
	buffer_load_dword v124, v123, s[0:3], 0 offen
	ds_read_b32 v125, v122
	s_waitcnt vmcnt(0) lgkmcnt(0)
	v_mul_f32_e32 v124, v124, v125
	s_cbranch_execz .LBB123_622
	s_branch .LBB123_623
.LBB123_621:
                                        ; implicit-def: $vgpr124
.LBB123_622:
	ds_read_b32 v124, v122
.LBB123_623:
	v_cmp_ne_u32_e32 vcc, 4, v0
	s_and_saveexec_b64 s[8:9], vcc
	s_cbranch_execz .LBB123_627
; %bb.624:
	s_mov_b32 s10, 0
	v_add_u32_e32 v125, 0xf4, v121
	v_add3_u32 v126, v121, s10, 4
	s_mov_b64 s[10:11], 0
	v_mov_b32_e32 v127, v0
.LBB123_625:                            ; =>This Inner Loop Header: Depth=1
	buffer_load_dword v128, v126, s[0:3], 0 offen
	ds_read_b32 v129, v125
	v_add_u32_e32 v127, 1, v127
	v_cmp_lt_u32_e32 vcc, 3, v127
	v_add_u32_e32 v125, 4, v125
	v_add_u32_e32 v126, 4, v126
	s_or_b64 s[10:11], vcc, s[10:11]
	s_waitcnt vmcnt(0) lgkmcnt(0)
	v_fmac_f32_e32 v124, v128, v129
	s_andn2_b64 exec, exec, s[10:11]
	s_cbranch_execnz .LBB123_625
; %bb.626:
	s_or_b64 exec, exec, s[10:11]
.LBB123_627:
	s_or_b64 exec, exec, s[8:9]
	v_mov_b32_e32 v125, 0
	ds_read_b32 v125, v125 offset:20
	s_waitcnt lgkmcnt(0)
	v_mul_f32_e32 v124, v124, v125
	buffer_store_dword v124, off, s[0:3], 0 offset:20
.LBB123_628:
	s_or_b64 exec, exec, s[6:7]
	buffer_load_dword v124, off, s[0:3], 0 offset:24
	v_cmp_gt_u32_e32 vcc, 6, v0
	s_waitcnt vmcnt(0)
	ds_write_b32 v122, v124
	s_waitcnt lgkmcnt(0)
	; wave barrier
	s_and_saveexec_b64 s[6:7], vcc
	s_cbranch_execz .LBB123_638
; %bb.629:
	s_and_b64 vcc, exec, s[4:5]
	s_cbranch_vccnz .LBB123_631
; %bb.630:
	buffer_load_dword v124, v123, s[0:3], 0 offen
	ds_read_b32 v125, v122
	s_waitcnt vmcnt(0) lgkmcnt(0)
	v_mul_f32_e32 v124, v124, v125
	s_cbranch_execz .LBB123_632
	s_branch .LBB123_633
.LBB123_631:
                                        ; implicit-def: $vgpr124
.LBB123_632:
	ds_read_b32 v124, v122
.LBB123_633:
	v_cmp_ne_u32_e32 vcc, 5, v0
	s_and_saveexec_b64 s[8:9], vcc
	s_cbranch_execz .LBB123_637
; %bb.634:
	s_mov_b32 s10, 0
	v_add_u32_e32 v125, 0xf4, v121
	v_add3_u32 v126, v121, s10, 4
	s_mov_b64 s[10:11], 0
	v_mov_b32_e32 v127, v0
.LBB123_635:                            ; =>This Inner Loop Header: Depth=1
	buffer_load_dword v128, v126, s[0:3], 0 offen
	ds_read_b32 v129, v125
	v_add_u32_e32 v127, 1, v127
	v_cmp_lt_u32_e32 vcc, 4, v127
	v_add_u32_e32 v125, 4, v125
	v_add_u32_e32 v126, 4, v126
	s_or_b64 s[10:11], vcc, s[10:11]
	s_waitcnt vmcnt(0) lgkmcnt(0)
	v_fmac_f32_e32 v124, v128, v129
	s_andn2_b64 exec, exec, s[10:11]
	s_cbranch_execnz .LBB123_635
; %bb.636:
	s_or_b64 exec, exec, s[10:11]
.LBB123_637:
	s_or_b64 exec, exec, s[8:9]
	v_mov_b32_e32 v125, 0
	ds_read_b32 v125, v125 offset:24
	s_waitcnt lgkmcnt(0)
	v_mul_f32_e32 v124, v124, v125
	buffer_store_dword v124, off, s[0:3], 0 offset:24
.LBB123_638:
	s_or_b64 exec, exec, s[6:7]
	buffer_load_dword v124, off, s[0:3], 0 offset:28
	v_cmp_gt_u32_e32 vcc, 7, v0
	s_waitcnt vmcnt(0)
	ds_write_b32 v122, v124
	s_waitcnt lgkmcnt(0)
	; wave barrier
	s_and_saveexec_b64 s[6:7], vcc
	s_cbranch_execz .LBB123_648
; %bb.639:
	s_and_b64 vcc, exec, s[4:5]
	s_cbranch_vccnz .LBB123_641
; %bb.640:
	buffer_load_dword v124, v123, s[0:3], 0 offen
	ds_read_b32 v125, v122
	s_waitcnt vmcnt(0) lgkmcnt(0)
	v_mul_f32_e32 v124, v124, v125
	s_cbranch_execz .LBB123_642
	s_branch .LBB123_643
.LBB123_641:
                                        ; implicit-def: $vgpr124
.LBB123_642:
	ds_read_b32 v124, v122
.LBB123_643:
	v_cmp_ne_u32_e32 vcc, 6, v0
	s_and_saveexec_b64 s[8:9], vcc
	s_cbranch_execz .LBB123_647
; %bb.644:
	s_mov_b32 s10, 0
	v_add_u32_e32 v125, 0xf4, v121
	v_add3_u32 v126, v121, s10, 4
	s_mov_b64 s[10:11], 0
	v_mov_b32_e32 v127, v0
.LBB123_645:                            ; =>This Inner Loop Header: Depth=1
	buffer_load_dword v128, v126, s[0:3], 0 offen
	ds_read_b32 v129, v125
	v_add_u32_e32 v127, 1, v127
	v_cmp_lt_u32_e32 vcc, 5, v127
	v_add_u32_e32 v125, 4, v125
	v_add_u32_e32 v126, 4, v126
	s_or_b64 s[10:11], vcc, s[10:11]
	s_waitcnt vmcnt(0) lgkmcnt(0)
	v_fmac_f32_e32 v124, v128, v129
	s_andn2_b64 exec, exec, s[10:11]
	s_cbranch_execnz .LBB123_645
; %bb.646:
	s_or_b64 exec, exec, s[10:11]
.LBB123_647:
	s_or_b64 exec, exec, s[8:9]
	v_mov_b32_e32 v125, 0
	ds_read_b32 v125, v125 offset:28
	s_waitcnt lgkmcnt(0)
	v_mul_f32_e32 v124, v124, v125
	buffer_store_dword v124, off, s[0:3], 0 offset:28
.LBB123_648:
	s_or_b64 exec, exec, s[6:7]
	buffer_load_dword v124, off, s[0:3], 0 offset:32
	v_cmp_gt_u32_e32 vcc, 8, v0
	s_waitcnt vmcnt(0)
	ds_write_b32 v122, v124
	s_waitcnt lgkmcnt(0)
	; wave barrier
	s_and_saveexec_b64 s[6:7], vcc
	s_cbranch_execz .LBB123_658
; %bb.649:
	s_and_b64 vcc, exec, s[4:5]
	s_cbranch_vccnz .LBB123_651
; %bb.650:
	buffer_load_dword v124, v123, s[0:3], 0 offen
	ds_read_b32 v125, v122
	s_waitcnt vmcnt(0) lgkmcnt(0)
	v_mul_f32_e32 v124, v124, v125
	s_cbranch_execz .LBB123_652
	s_branch .LBB123_653
.LBB123_651:
                                        ; implicit-def: $vgpr124
.LBB123_652:
	ds_read_b32 v124, v122
.LBB123_653:
	v_cmp_ne_u32_e32 vcc, 7, v0
	s_and_saveexec_b64 s[8:9], vcc
	s_cbranch_execz .LBB123_657
; %bb.654:
	s_mov_b32 s10, 0
	v_add_u32_e32 v125, 0xf4, v121
	v_add3_u32 v126, v121, s10, 4
	s_mov_b64 s[10:11], 0
	v_mov_b32_e32 v127, v0
.LBB123_655:                            ; =>This Inner Loop Header: Depth=1
	buffer_load_dword v128, v126, s[0:3], 0 offen
	ds_read_b32 v129, v125
	v_add_u32_e32 v127, 1, v127
	v_cmp_lt_u32_e32 vcc, 6, v127
	v_add_u32_e32 v125, 4, v125
	v_add_u32_e32 v126, 4, v126
	s_or_b64 s[10:11], vcc, s[10:11]
	s_waitcnt vmcnt(0) lgkmcnt(0)
	v_fmac_f32_e32 v124, v128, v129
	s_andn2_b64 exec, exec, s[10:11]
	s_cbranch_execnz .LBB123_655
; %bb.656:
	s_or_b64 exec, exec, s[10:11]
.LBB123_657:
	s_or_b64 exec, exec, s[8:9]
	v_mov_b32_e32 v125, 0
	ds_read_b32 v125, v125 offset:32
	s_waitcnt lgkmcnt(0)
	v_mul_f32_e32 v124, v124, v125
	buffer_store_dword v124, off, s[0:3], 0 offset:32
.LBB123_658:
	s_or_b64 exec, exec, s[6:7]
	buffer_load_dword v124, off, s[0:3], 0 offset:36
	v_cmp_gt_u32_e32 vcc, 9, v0
	s_waitcnt vmcnt(0)
	ds_write_b32 v122, v124
	s_waitcnt lgkmcnt(0)
	; wave barrier
	s_and_saveexec_b64 s[6:7], vcc
	s_cbranch_execz .LBB123_668
; %bb.659:
	s_and_b64 vcc, exec, s[4:5]
	s_cbranch_vccnz .LBB123_661
; %bb.660:
	buffer_load_dword v124, v123, s[0:3], 0 offen
	ds_read_b32 v125, v122
	s_waitcnt vmcnt(0) lgkmcnt(0)
	v_mul_f32_e32 v124, v124, v125
	s_cbranch_execz .LBB123_662
	s_branch .LBB123_663
.LBB123_661:
                                        ; implicit-def: $vgpr124
.LBB123_662:
	ds_read_b32 v124, v122
.LBB123_663:
	v_cmp_ne_u32_e32 vcc, 8, v0
	s_and_saveexec_b64 s[8:9], vcc
	s_cbranch_execz .LBB123_667
; %bb.664:
	s_mov_b32 s10, 0
	v_add_u32_e32 v125, 0xf4, v121
	v_add3_u32 v126, v121, s10, 4
	s_mov_b64 s[10:11], 0
	v_mov_b32_e32 v127, v0
.LBB123_665:                            ; =>This Inner Loop Header: Depth=1
	buffer_load_dword v128, v126, s[0:3], 0 offen
	ds_read_b32 v129, v125
	v_add_u32_e32 v127, 1, v127
	v_cmp_lt_u32_e32 vcc, 7, v127
	v_add_u32_e32 v125, 4, v125
	v_add_u32_e32 v126, 4, v126
	s_or_b64 s[10:11], vcc, s[10:11]
	s_waitcnt vmcnt(0) lgkmcnt(0)
	v_fmac_f32_e32 v124, v128, v129
	s_andn2_b64 exec, exec, s[10:11]
	s_cbranch_execnz .LBB123_665
; %bb.666:
	s_or_b64 exec, exec, s[10:11]
.LBB123_667:
	s_or_b64 exec, exec, s[8:9]
	v_mov_b32_e32 v125, 0
	ds_read_b32 v125, v125 offset:36
	s_waitcnt lgkmcnt(0)
	v_mul_f32_e32 v124, v124, v125
	buffer_store_dword v124, off, s[0:3], 0 offset:36
.LBB123_668:
	s_or_b64 exec, exec, s[6:7]
	buffer_load_dword v124, off, s[0:3], 0 offset:40
	v_cmp_gt_u32_e32 vcc, 10, v0
	s_waitcnt vmcnt(0)
	ds_write_b32 v122, v124
	s_waitcnt lgkmcnt(0)
	; wave barrier
	s_and_saveexec_b64 s[6:7], vcc
	s_cbranch_execz .LBB123_678
; %bb.669:
	s_and_b64 vcc, exec, s[4:5]
	s_cbranch_vccnz .LBB123_671
; %bb.670:
	buffer_load_dword v124, v123, s[0:3], 0 offen
	ds_read_b32 v125, v122
	s_waitcnt vmcnt(0) lgkmcnt(0)
	v_mul_f32_e32 v124, v124, v125
	s_cbranch_execz .LBB123_672
	s_branch .LBB123_673
.LBB123_671:
                                        ; implicit-def: $vgpr124
.LBB123_672:
	ds_read_b32 v124, v122
.LBB123_673:
	v_cmp_ne_u32_e32 vcc, 9, v0
	s_and_saveexec_b64 s[8:9], vcc
	s_cbranch_execz .LBB123_677
; %bb.674:
	s_mov_b32 s10, 0
	v_add_u32_e32 v125, 0xf4, v121
	v_add3_u32 v126, v121, s10, 4
	s_mov_b64 s[10:11], 0
	v_mov_b32_e32 v127, v0
.LBB123_675:                            ; =>This Inner Loop Header: Depth=1
	buffer_load_dword v128, v126, s[0:3], 0 offen
	ds_read_b32 v129, v125
	v_add_u32_e32 v127, 1, v127
	v_cmp_lt_u32_e32 vcc, 8, v127
	v_add_u32_e32 v125, 4, v125
	v_add_u32_e32 v126, 4, v126
	s_or_b64 s[10:11], vcc, s[10:11]
	s_waitcnt vmcnt(0) lgkmcnt(0)
	v_fmac_f32_e32 v124, v128, v129
	s_andn2_b64 exec, exec, s[10:11]
	s_cbranch_execnz .LBB123_675
; %bb.676:
	s_or_b64 exec, exec, s[10:11]
.LBB123_677:
	s_or_b64 exec, exec, s[8:9]
	v_mov_b32_e32 v125, 0
	ds_read_b32 v125, v125 offset:40
	s_waitcnt lgkmcnt(0)
	v_mul_f32_e32 v124, v124, v125
	buffer_store_dword v124, off, s[0:3], 0 offset:40
.LBB123_678:
	s_or_b64 exec, exec, s[6:7]
	buffer_load_dword v124, off, s[0:3], 0 offset:44
	v_cmp_gt_u32_e32 vcc, 11, v0
	s_waitcnt vmcnt(0)
	ds_write_b32 v122, v124
	s_waitcnt lgkmcnt(0)
	; wave barrier
	s_and_saveexec_b64 s[6:7], vcc
	s_cbranch_execz .LBB123_688
; %bb.679:
	s_and_b64 vcc, exec, s[4:5]
	s_cbranch_vccnz .LBB123_681
; %bb.680:
	buffer_load_dword v124, v123, s[0:3], 0 offen
	ds_read_b32 v125, v122
	s_waitcnt vmcnt(0) lgkmcnt(0)
	v_mul_f32_e32 v124, v124, v125
	s_cbranch_execz .LBB123_682
	s_branch .LBB123_683
.LBB123_681:
                                        ; implicit-def: $vgpr124
.LBB123_682:
	ds_read_b32 v124, v122
.LBB123_683:
	v_cmp_ne_u32_e32 vcc, 10, v0
	s_and_saveexec_b64 s[8:9], vcc
	s_cbranch_execz .LBB123_687
; %bb.684:
	s_mov_b32 s10, 0
	v_add_u32_e32 v125, 0xf4, v121
	v_add3_u32 v126, v121, s10, 4
	s_mov_b64 s[10:11], 0
	v_mov_b32_e32 v127, v0
.LBB123_685:                            ; =>This Inner Loop Header: Depth=1
	buffer_load_dword v128, v126, s[0:3], 0 offen
	ds_read_b32 v129, v125
	v_add_u32_e32 v127, 1, v127
	v_cmp_lt_u32_e32 vcc, 9, v127
	v_add_u32_e32 v125, 4, v125
	v_add_u32_e32 v126, 4, v126
	s_or_b64 s[10:11], vcc, s[10:11]
	s_waitcnt vmcnt(0) lgkmcnt(0)
	v_fmac_f32_e32 v124, v128, v129
	s_andn2_b64 exec, exec, s[10:11]
	s_cbranch_execnz .LBB123_685
; %bb.686:
	s_or_b64 exec, exec, s[10:11]
.LBB123_687:
	s_or_b64 exec, exec, s[8:9]
	v_mov_b32_e32 v125, 0
	ds_read_b32 v125, v125 offset:44
	s_waitcnt lgkmcnt(0)
	v_mul_f32_e32 v124, v124, v125
	buffer_store_dword v124, off, s[0:3], 0 offset:44
.LBB123_688:
	s_or_b64 exec, exec, s[6:7]
	buffer_load_dword v124, off, s[0:3], 0 offset:48
	v_cmp_gt_u32_e32 vcc, 12, v0
	s_waitcnt vmcnt(0)
	ds_write_b32 v122, v124
	s_waitcnt lgkmcnt(0)
	; wave barrier
	s_and_saveexec_b64 s[6:7], vcc
	s_cbranch_execz .LBB123_698
; %bb.689:
	s_and_b64 vcc, exec, s[4:5]
	s_cbranch_vccnz .LBB123_691
; %bb.690:
	buffer_load_dword v124, v123, s[0:3], 0 offen
	ds_read_b32 v125, v122
	s_waitcnt vmcnt(0) lgkmcnt(0)
	v_mul_f32_e32 v124, v124, v125
	s_cbranch_execz .LBB123_692
	s_branch .LBB123_693
.LBB123_691:
                                        ; implicit-def: $vgpr124
.LBB123_692:
	ds_read_b32 v124, v122
.LBB123_693:
	v_cmp_ne_u32_e32 vcc, 11, v0
	s_and_saveexec_b64 s[8:9], vcc
	s_cbranch_execz .LBB123_697
; %bb.694:
	s_mov_b32 s10, 0
	v_add_u32_e32 v125, 0xf4, v121
	v_add3_u32 v126, v121, s10, 4
	s_mov_b64 s[10:11], 0
	v_mov_b32_e32 v127, v0
.LBB123_695:                            ; =>This Inner Loop Header: Depth=1
	buffer_load_dword v128, v126, s[0:3], 0 offen
	ds_read_b32 v129, v125
	v_add_u32_e32 v127, 1, v127
	v_cmp_lt_u32_e32 vcc, 10, v127
	v_add_u32_e32 v125, 4, v125
	v_add_u32_e32 v126, 4, v126
	s_or_b64 s[10:11], vcc, s[10:11]
	s_waitcnt vmcnt(0) lgkmcnt(0)
	v_fmac_f32_e32 v124, v128, v129
	s_andn2_b64 exec, exec, s[10:11]
	s_cbranch_execnz .LBB123_695
; %bb.696:
	s_or_b64 exec, exec, s[10:11]
.LBB123_697:
	s_or_b64 exec, exec, s[8:9]
	v_mov_b32_e32 v125, 0
	ds_read_b32 v125, v125 offset:48
	s_waitcnt lgkmcnt(0)
	v_mul_f32_e32 v124, v124, v125
	buffer_store_dword v124, off, s[0:3], 0 offset:48
.LBB123_698:
	s_or_b64 exec, exec, s[6:7]
	buffer_load_dword v124, off, s[0:3], 0 offset:52
	v_cmp_gt_u32_e32 vcc, 13, v0
	s_waitcnt vmcnt(0)
	ds_write_b32 v122, v124
	s_waitcnt lgkmcnt(0)
	; wave barrier
	s_and_saveexec_b64 s[6:7], vcc
	s_cbranch_execz .LBB123_708
; %bb.699:
	s_and_b64 vcc, exec, s[4:5]
	s_cbranch_vccnz .LBB123_701
; %bb.700:
	buffer_load_dword v124, v123, s[0:3], 0 offen
	ds_read_b32 v125, v122
	s_waitcnt vmcnt(0) lgkmcnt(0)
	v_mul_f32_e32 v124, v124, v125
	s_cbranch_execz .LBB123_702
	s_branch .LBB123_703
.LBB123_701:
                                        ; implicit-def: $vgpr124
.LBB123_702:
	ds_read_b32 v124, v122
.LBB123_703:
	v_cmp_ne_u32_e32 vcc, 12, v0
	s_and_saveexec_b64 s[8:9], vcc
	s_cbranch_execz .LBB123_707
; %bb.704:
	s_mov_b32 s10, 0
	v_add_u32_e32 v125, 0xf4, v121
	v_add3_u32 v126, v121, s10, 4
	s_mov_b64 s[10:11], 0
	v_mov_b32_e32 v127, v0
.LBB123_705:                            ; =>This Inner Loop Header: Depth=1
	buffer_load_dword v128, v126, s[0:3], 0 offen
	ds_read_b32 v129, v125
	v_add_u32_e32 v127, 1, v127
	v_cmp_lt_u32_e32 vcc, 11, v127
	v_add_u32_e32 v125, 4, v125
	v_add_u32_e32 v126, 4, v126
	s_or_b64 s[10:11], vcc, s[10:11]
	s_waitcnt vmcnt(0) lgkmcnt(0)
	v_fmac_f32_e32 v124, v128, v129
	s_andn2_b64 exec, exec, s[10:11]
	s_cbranch_execnz .LBB123_705
; %bb.706:
	s_or_b64 exec, exec, s[10:11]
.LBB123_707:
	s_or_b64 exec, exec, s[8:9]
	v_mov_b32_e32 v125, 0
	ds_read_b32 v125, v125 offset:52
	s_waitcnt lgkmcnt(0)
	v_mul_f32_e32 v124, v124, v125
	buffer_store_dword v124, off, s[0:3], 0 offset:52
.LBB123_708:
	s_or_b64 exec, exec, s[6:7]
	buffer_load_dword v124, off, s[0:3], 0 offset:56
	v_cmp_gt_u32_e32 vcc, 14, v0
	s_waitcnt vmcnt(0)
	ds_write_b32 v122, v124
	s_waitcnt lgkmcnt(0)
	; wave barrier
	s_and_saveexec_b64 s[6:7], vcc
	s_cbranch_execz .LBB123_718
; %bb.709:
	s_and_b64 vcc, exec, s[4:5]
	s_cbranch_vccnz .LBB123_711
; %bb.710:
	buffer_load_dword v124, v123, s[0:3], 0 offen
	ds_read_b32 v125, v122
	s_waitcnt vmcnt(0) lgkmcnt(0)
	v_mul_f32_e32 v124, v124, v125
	s_cbranch_execz .LBB123_712
	s_branch .LBB123_713
.LBB123_711:
                                        ; implicit-def: $vgpr124
.LBB123_712:
	ds_read_b32 v124, v122
.LBB123_713:
	v_cmp_ne_u32_e32 vcc, 13, v0
	s_and_saveexec_b64 s[8:9], vcc
	s_cbranch_execz .LBB123_717
; %bb.714:
	s_mov_b32 s10, 0
	v_add_u32_e32 v125, 0xf4, v121
	v_add3_u32 v126, v121, s10, 4
	s_mov_b64 s[10:11], 0
	v_mov_b32_e32 v127, v0
.LBB123_715:                            ; =>This Inner Loop Header: Depth=1
	buffer_load_dword v128, v126, s[0:3], 0 offen
	ds_read_b32 v129, v125
	v_add_u32_e32 v127, 1, v127
	v_cmp_lt_u32_e32 vcc, 12, v127
	v_add_u32_e32 v125, 4, v125
	v_add_u32_e32 v126, 4, v126
	s_or_b64 s[10:11], vcc, s[10:11]
	s_waitcnt vmcnt(0) lgkmcnt(0)
	v_fmac_f32_e32 v124, v128, v129
	s_andn2_b64 exec, exec, s[10:11]
	s_cbranch_execnz .LBB123_715
; %bb.716:
	s_or_b64 exec, exec, s[10:11]
.LBB123_717:
	s_or_b64 exec, exec, s[8:9]
	v_mov_b32_e32 v125, 0
	ds_read_b32 v125, v125 offset:56
	s_waitcnt lgkmcnt(0)
	v_mul_f32_e32 v124, v124, v125
	buffer_store_dword v124, off, s[0:3], 0 offset:56
.LBB123_718:
	s_or_b64 exec, exec, s[6:7]
	buffer_load_dword v124, off, s[0:3], 0 offset:60
	v_cmp_gt_u32_e32 vcc, 15, v0
	s_waitcnt vmcnt(0)
	ds_write_b32 v122, v124
	s_waitcnt lgkmcnt(0)
	; wave barrier
	s_and_saveexec_b64 s[6:7], vcc
	s_cbranch_execz .LBB123_728
; %bb.719:
	s_and_b64 vcc, exec, s[4:5]
	s_cbranch_vccnz .LBB123_721
; %bb.720:
	buffer_load_dword v124, v123, s[0:3], 0 offen
	ds_read_b32 v125, v122
	s_waitcnt vmcnt(0) lgkmcnt(0)
	v_mul_f32_e32 v124, v124, v125
	s_cbranch_execz .LBB123_722
	s_branch .LBB123_723
.LBB123_721:
                                        ; implicit-def: $vgpr124
.LBB123_722:
	ds_read_b32 v124, v122
.LBB123_723:
	v_cmp_ne_u32_e32 vcc, 14, v0
	s_and_saveexec_b64 s[8:9], vcc
	s_cbranch_execz .LBB123_727
; %bb.724:
	s_mov_b32 s10, 0
	v_add_u32_e32 v125, 0xf4, v121
	v_add3_u32 v126, v121, s10, 4
	s_mov_b64 s[10:11], 0
	v_mov_b32_e32 v127, v0
.LBB123_725:                            ; =>This Inner Loop Header: Depth=1
	buffer_load_dword v128, v126, s[0:3], 0 offen
	ds_read_b32 v129, v125
	v_add_u32_e32 v127, 1, v127
	v_cmp_lt_u32_e32 vcc, 13, v127
	v_add_u32_e32 v125, 4, v125
	v_add_u32_e32 v126, 4, v126
	s_or_b64 s[10:11], vcc, s[10:11]
	s_waitcnt vmcnt(0) lgkmcnt(0)
	v_fmac_f32_e32 v124, v128, v129
	s_andn2_b64 exec, exec, s[10:11]
	s_cbranch_execnz .LBB123_725
; %bb.726:
	s_or_b64 exec, exec, s[10:11]
.LBB123_727:
	s_or_b64 exec, exec, s[8:9]
	v_mov_b32_e32 v125, 0
	ds_read_b32 v125, v125 offset:60
	s_waitcnt lgkmcnt(0)
	v_mul_f32_e32 v124, v124, v125
	buffer_store_dword v124, off, s[0:3], 0 offset:60
.LBB123_728:
	s_or_b64 exec, exec, s[6:7]
	buffer_load_dword v124, off, s[0:3], 0 offset:64
	v_cmp_gt_u32_e32 vcc, 16, v0
	s_waitcnt vmcnt(0)
	ds_write_b32 v122, v124
	s_waitcnt lgkmcnt(0)
	; wave barrier
	s_and_saveexec_b64 s[6:7], vcc
	s_cbranch_execz .LBB123_738
; %bb.729:
	s_and_b64 vcc, exec, s[4:5]
	s_cbranch_vccnz .LBB123_731
; %bb.730:
	buffer_load_dword v124, v123, s[0:3], 0 offen
	ds_read_b32 v125, v122
	s_waitcnt vmcnt(0) lgkmcnt(0)
	v_mul_f32_e32 v124, v124, v125
	s_cbranch_execz .LBB123_732
	s_branch .LBB123_733
.LBB123_731:
                                        ; implicit-def: $vgpr124
.LBB123_732:
	ds_read_b32 v124, v122
.LBB123_733:
	v_cmp_ne_u32_e32 vcc, 15, v0
	s_and_saveexec_b64 s[8:9], vcc
	s_cbranch_execz .LBB123_737
; %bb.734:
	s_mov_b32 s10, 0
	v_add_u32_e32 v125, 0xf4, v121
	v_add3_u32 v126, v121, s10, 4
	s_mov_b64 s[10:11], 0
	v_mov_b32_e32 v127, v0
.LBB123_735:                            ; =>This Inner Loop Header: Depth=1
	buffer_load_dword v128, v126, s[0:3], 0 offen
	ds_read_b32 v129, v125
	v_add_u32_e32 v127, 1, v127
	v_cmp_lt_u32_e32 vcc, 14, v127
	v_add_u32_e32 v125, 4, v125
	v_add_u32_e32 v126, 4, v126
	s_or_b64 s[10:11], vcc, s[10:11]
	s_waitcnt vmcnt(0) lgkmcnt(0)
	v_fmac_f32_e32 v124, v128, v129
	s_andn2_b64 exec, exec, s[10:11]
	s_cbranch_execnz .LBB123_735
; %bb.736:
	s_or_b64 exec, exec, s[10:11]
.LBB123_737:
	s_or_b64 exec, exec, s[8:9]
	v_mov_b32_e32 v125, 0
	ds_read_b32 v125, v125 offset:64
	s_waitcnt lgkmcnt(0)
	v_mul_f32_e32 v124, v124, v125
	buffer_store_dword v124, off, s[0:3], 0 offset:64
.LBB123_738:
	s_or_b64 exec, exec, s[6:7]
	buffer_load_dword v124, off, s[0:3], 0 offset:68
	v_cmp_gt_u32_e32 vcc, 17, v0
	s_waitcnt vmcnt(0)
	ds_write_b32 v122, v124
	s_waitcnt lgkmcnt(0)
	; wave barrier
	s_and_saveexec_b64 s[6:7], vcc
	s_cbranch_execz .LBB123_748
; %bb.739:
	s_and_b64 vcc, exec, s[4:5]
	s_cbranch_vccnz .LBB123_741
; %bb.740:
	buffer_load_dword v124, v123, s[0:3], 0 offen
	ds_read_b32 v125, v122
	s_waitcnt vmcnt(0) lgkmcnt(0)
	v_mul_f32_e32 v124, v124, v125
	s_cbranch_execz .LBB123_742
	s_branch .LBB123_743
.LBB123_741:
                                        ; implicit-def: $vgpr124
.LBB123_742:
	ds_read_b32 v124, v122
.LBB123_743:
	v_cmp_ne_u32_e32 vcc, 16, v0
	s_and_saveexec_b64 s[8:9], vcc
	s_cbranch_execz .LBB123_747
; %bb.744:
	s_mov_b32 s10, 0
	v_add_u32_e32 v125, 0xf4, v121
	v_add3_u32 v126, v121, s10, 4
	s_mov_b64 s[10:11], 0
	v_mov_b32_e32 v127, v0
.LBB123_745:                            ; =>This Inner Loop Header: Depth=1
	buffer_load_dword v128, v126, s[0:3], 0 offen
	ds_read_b32 v129, v125
	v_add_u32_e32 v127, 1, v127
	v_cmp_lt_u32_e32 vcc, 15, v127
	v_add_u32_e32 v125, 4, v125
	v_add_u32_e32 v126, 4, v126
	s_or_b64 s[10:11], vcc, s[10:11]
	s_waitcnt vmcnt(0) lgkmcnt(0)
	v_fmac_f32_e32 v124, v128, v129
	s_andn2_b64 exec, exec, s[10:11]
	s_cbranch_execnz .LBB123_745
; %bb.746:
	s_or_b64 exec, exec, s[10:11]
.LBB123_747:
	s_or_b64 exec, exec, s[8:9]
	v_mov_b32_e32 v125, 0
	ds_read_b32 v125, v125 offset:68
	s_waitcnt lgkmcnt(0)
	v_mul_f32_e32 v124, v124, v125
	buffer_store_dword v124, off, s[0:3], 0 offset:68
.LBB123_748:
	s_or_b64 exec, exec, s[6:7]
	buffer_load_dword v124, off, s[0:3], 0 offset:72
	v_cmp_gt_u32_e32 vcc, 18, v0
	s_waitcnt vmcnt(0)
	ds_write_b32 v122, v124
	s_waitcnt lgkmcnt(0)
	; wave barrier
	s_and_saveexec_b64 s[6:7], vcc
	s_cbranch_execz .LBB123_758
; %bb.749:
	s_and_b64 vcc, exec, s[4:5]
	s_cbranch_vccnz .LBB123_751
; %bb.750:
	buffer_load_dword v124, v123, s[0:3], 0 offen
	ds_read_b32 v125, v122
	s_waitcnt vmcnt(0) lgkmcnt(0)
	v_mul_f32_e32 v124, v124, v125
	s_cbranch_execz .LBB123_752
	s_branch .LBB123_753
.LBB123_751:
                                        ; implicit-def: $vgpr124
.LBB123_752:
	ds_read_b32 v124, v122
.LBB123_753:
	v_cmp_ne_u32_e32 vcc, 17, v0
	s_and_saveexec_b64 s[8:9], vcc
	s_cbranch_execz .LBB123_757
; %bb.754:
	s_mov_b32 s10, 0
	v_add_u32_e32 v125, 0xf4, v121
	v_add3_u32 v126, v121, s10, 4
	s_mov_b64 s[10:11], 0
	v_mov_b32_e32 v127, v0
.LBB123_755:                            ; =>This Inner Loop Header: Depth=1
	buffer_load_dword v128, v126, s[0:3], 0 offen
	ds_read_b32 v129, v125
	v_add_u32_e32 v127, 1, v127
	v_cmp_lt_u32_e32 vcc, 16, v127
	v_add_u32_e32 v125, 4, v125
	v_add_u32_e32 v126, 4, v126
	s_or_b64 s[10:11], vcc, s[10:11]
	s_waitcnt vmcnt(0) lgkmcnt(0)
	v_fmac_f32_e32 v124, v128, v129
	s_andn2_b64 exec, exec, s[10:11]
	s_cbranch_execnz .LBB123_755
; %bb.756:
	s_or_b64 exec, exec, s[10:11]
.LBB123_757:
	s_or_b64 exec, exec, s[8:9]
	v_mov_b32_e32 v125, 0
	ds_read_b32 v125, v125 offset:72
	s_waitcnt lgkmcnt(0)
	v_mul_f32_e32 v124, v124, v125
	buffer_store_dword v124, off, s[0:3], 0 offset:72
.LBB123_758:
	s_or_b64 exec, exec, s[6:7]
	buffer_load_dword v124, off, s[0:3], 0 offset:76
	v_cmp_gt_u32_e32 vcc, 19, v0
	s_waitcnt vmcnt(0)
	ds_write_b32 v122, v124
	s_waitcnt lgkmcnt(0)
	; wave barrier
	s_and_saveexec_b64 s[6:7], vcc
	s_cbranch_execz .LBB123_768
; %bb.759:
	s_and_b64 vcc, exec, s[4:5]
	s_cbranch_vccnz .LBB123_761
; %bb.760:
	buffer_load_dword v124, v123, s[0:3], 0 offen
	ds_read_b32 v125, v122
	s_waitcnt vmcnt(0) lgkmcnt(0)
	v_mul_f32_e32 v124, v124, v125
	s_cbranch_execz .LBB123_762
	s_branch .LBB123_763
.LBB123_761:
                                        ; implicit-def: $vgpr124
.LBB123_762:
	ds_read_b32 v124, v122
.LBB123_763:
	v_cmp_ne_u32_e32 vcc, 18, v0
	s_and_saveexec_b64 s[8:9], vcc
	s_cbranch_execz .LBB123_767
; %bb.764:
	s_mov_b32 s10, 0
	v_add_u32_e32 v125, 0xf4, v121
	v_add3_u32 v126, v121, s10, 4
	s_mov_b64 s[10:11], 0
	v_mov_b32_e32 v127, v0
.LBB123_765:                            ; =>This Inner Loop Header: Depth=1
	buffer_load_dword v128, v126, s[0:3], 0 offen
	ds_read_b32 v129, v125
	v_add_u32_e32 v127, 1, v127
	v_cmp_lt_u32_e32 vcc, 17, v127
	v_add_u32_e32 v125, 4, v125
	v_add_u32_e32 v126, 4, v126
	s_or_b64 s[10:11], vcc, s[10:11]
	s_waitcnt vmcnt(0) lgkmcnt(0)
	v_fmac_f32_e32 v124, v128, v129
	s_andn2_b64 exec, exec, s[10:11]
	s_cbranch_execnz .LBB123_765
; %bb.766:
	s_or_b64 exec, exec, s[10:11]
.LBB123_767:
	s_or_b64 exec, exec, s[8:9]
	v_mov_b32_e32 v125, 0
	ds_read_b32 v125, v125 offset:76
	s_waitcnt lgkmcnt(0)
	v_mul_f32_e32 v124, v124, v125
	buffer_store_dword v124, off, s[0:3], 0 offset:76
.LBB123_768:
	s_or_b64 exec, exec, s[6:7]
	buffer_load_dword v124, off, s[0:3], 0 offset:80
	v_cmp_gt_u32_e32 vcc, 20, v0
	s_waitcnt vmcnt(0)
	ds_write_b32 v122, v124
	s_waitcnt lgkmcnt(0)
	; wave barrier
	s_and_saveexec_b64 s[6:7], vcc
	s_cbranch_execz .LBB123_778
; %bb.769:
	s_and_b64 vcc, exec, s[4:5]
	s_cbranch_vccnz .LBB123_771
; %bb.770:
	buffer_load_dword v124, v123, s[0:3], 0 offen
	ds_read_b32 v125, v122
	s_waitcnt vmcnt(0) lgkmcnt(0)
	v_mul_f32_e32 v124, v124, v125
	s_cbranch_execz .LBB123_772
	s_branch .LBB123_773
.LBB123_771:
                                        ; implicit-def: $vgpr124
.LBB123_772:
	ds_read_b32 v124, v122
.LBB123_773:
	v_cmp_ne_u32_e32 vcc, 19, v0
	s_and_saveexec_b64 s[8:9], vcc
	s_cbranch_execz .LBB123_777
; %bb.774:
	s_mov_b32 s10, 0
	v_add_u32_e32 v125, 0xf4, v121
	v_add3_u32 v126, v121, s10, 4
	s_mov_b64 s[10:11], 0
	v_mov_b32_e32 v127, v0
.LBB123_775:                            ; =>This Inner Loop Header: Depth=1
	buffer_load_dword v128, v126, s[0:3], 0 offen
	ds_read_b32 v129, v125
	v_add_u32_e32 v127, 1, v127
	v_cmp_lt_u32_e32 vcc, 18, v127
	v_add_u32_e32 v125, 4, v125
	v_add_u32_e32 v126, 4, v126
	s_or_b64 s[10:11], vcc, s[10:11]
	s_waitcnt vmcnt(0) lgkmcnt(0)
	v_fmac_f32_e32 v124, v128, v129
	s_andn2_b64 exec, exec, s[10:11]
	s_cbranch_execnz .LBB123_775
; %bb.776:
	s_or_b64 exec, exec, s[10:11]
.LBB123_777:
	s_or_b64 exec, exec, s[8:9]
	v_mov_b32_e32 v125, 0
	ds_read_b32 v125, v125 offset:80
	s_waitcnt lgkmcnt(0)
	v_mul_f32_e32 v124, v124, v125
	buffer_store_dword v124, off, s[0:3], 0 offset:80
.LBB123_778:
	s_or_b64 exec, exec, s[6:7]
	buffer_load_dword v124, off, s[0:3], 0 offset:84
	v_cmp_gt_u32_e32 vcc, 21, v0
	s_waitcnt vmcnt(0)
	ds_write_b32 v122, v124
	s_waitcnt lgkmcnt(0)
	; wave barrier
	s_and_saveexec_b64 s[6:7], vcc
	s_cbranch_execz .LBB123_788
; %bb.779:
	s_and_b64 vcc, exec, s[4:5]
	s_cbranch_vccnz .LBB123_781
; %bb.780:
	buffer_load_dword v124, v123, s[0:3], 0 offen
	ds_read_b32 v125, v122
	s_waitcnt vmcnt(0) lgkmcnt(0)
	v_mul_f32_e32 v124, v124, v125
	s_cbranch_execz .LBB123_782
	s_branch .LBB123_783
.LBB123_781:
                                        ; implicit-def: $vgpr124
.LBB123_782:
	ds_read_b32 v124, v122
.LBB123_783:
	v_cmp_ne_u32_e32 vcc, 20, v0
	s_and_saveexec_b64 s[8:9], vcc
	s_cbranch_execz .LBB123_787
; %bb.784:
	s_mov_b32 s10, 0
	v_add_u32_e32 v125, 0xf4, v121
	v_add3_u32 v126, v121, s10, 4
	s_mov_b64 s[10:11], 0
	v_mov_b32_e32 v127, v0
.LBB123_785:                            ; =>This Inner Loop Header: Depth=1
	buffer_load_dword v128, v126, s[0:3], 0 offen
	ds_read_b32 v129, v125
	v_add_u32_e32 v127, 1, v127
	v_cmp_lt_u32_e32 vcc, 19, v127
	v_add_u32_e32 v125, 4, v125
	v_add_u32_e32 v126, 4, v126
	s_or_b64 s[10:11], vcc, s[10:11]
	s_waitcnt vmcnt(0) lgkmcnt(0)
	v_fmac_f32_e32 v124, v128, v129
	s_andn2_b64 exec, exec, s[10:11]
	s_cbranch_execnz .LBB123_785
; %bb.786:
	s_or_b64 exec, exec, s[10:11]
.LBB123_787:
	s_or_b64 exec, exec, s[8:9]
	v_mov_b32_e32 v125, 0
	ds_read_b32 v125, v125 offset:84
	s_waitcnt lgkmcnt(0)
	v_mul_f32_e32 v124, v124, v125
	buffer_store_dword v124, off, s[0:3], 0 offset:84
.LBB123_788:
	s_or_b64 exec, exec, s[6:7]
	buffer_load_dword v124, off, s[0:3], 0 offset:88
	v_cmp_gt_u32_e32 vcc, 22, v0
	s_waitcnt vmcnt(0)
	ds_write_b32 v122, v124
	s_waitcnt lgkmcnt(0)
	; wave barrier
	s_and_saveexec_b64 s[6:7], vcc
	s_cbranch_execz .LBB123_798
; %bb.789:
	s_and_b64 vcc, exec, s[4:5]
	s_cbranch_vccnz .LBB123_791
; %bb.790:
	buffer_load_dword v124, v123, s[0:3], 0 offen
	ds_read_b32 v125, v122
	s_waitcnt vmcnt(0) lgkmcnt(0)
	v_mul_f32_e32 v124, v124, v125
	s_cbranch_execz .LBB123_792
	s_branch .LBB123_793
.LBB123_791:
                                        ; implicit-def: $vgpr124
.LBB123_792:
	ds_read_b32 v124, v122
.LBB123_793:
	v_cmp_ne_u32_e32 vcc, 21, v0
	s_and_saveexec_b64 s[8:9], vcc
	s_cbranch_execz .LBB123_797
; %bb.794:
	s_mov_b32 s10, 0
	v_add_u32_e32 v125, 0xf4, v121
	v_add3_u32 v126, v121, s10, 4
	s_mov_b64 s[10:11], 0
	v_mov_b32_e32 v127, v0
.LBB123_795:                            ; =>This Inner Loop Header: Depth=1
	buffer_load_dword v128, v126, s[0:3], 0 offen
	ds_read_b32 v129, v125
	v_add_u32_e32 v127, 1, v127
	v_cmp_lt_u32_e32 vcc, 20, v127
	v_add_u32_e32 v125, 4, v125
	v_add_u32_e32 v126, 4, v126
	s_or_b64 s[10:11], vcc, s[10:11]
	s_waitcnt vmcnt(0) lgkmcnt(0)
	v_fmac_f32_e32 v124, v128, v129
	s_andn2_b64 exec, exec, s[10:11]
	s_cbranch_execnz .LBB123_795
; %bb.796:
	s_or_b64 exec, exec, s[10:11]
.LBB123_797:
	s_or_b64 exec, exec, s[8:9]
	v_mov_b32_e32 v125, 0
	ds_read_b32 v125, v125 offset:88
	s_waitcnt lgkmcnt(0)
	v_mul_f32_e32 v124, v124, v125
	buffer_store_dword v124, off, s[0:3], 0 offset:88
.LBB123_798:
	s_or_b64 exec, exec, s[6:7]
	buffer_load_dword v124, off, s[0:3], 0 offset:92
	v_cmp_gt_u32_e32 vcc, 23, v0
	s_waitcnt vmcnt(0)
	ds_write_b32 v122, v124
	s_waitcnt lgkmcnt(0)
	; wave barrier
	s_and_saveexec_b64 s[6:7], vcc
	s_cbranch_execz .LBB123_808
; %bb.799:
	s_and_b64 vcc, exec, s[4:5]
	s_cbranch_vccnz .LBB123_801
; %bb.800:
	buffer_load_dword v124, v123, s[0:3], 0 offen
	ds_read_b32 v125, v122
	s_waitcnt vmcnt(0) lgkmcnt(0)
	v_mul_f32_e32 v124, v124, v125
	s_cbranch_execz .LBB123_802
	s_branch .LBB123_803
.LBB123_801:
                                        ; implicit-def: $vgpr124
.LBB123_802:
	ds_read_b32 v124, v122
.LBB123_803:
	v_cmp_ne_u32_e32 vcc, 22, v0
	s_and_saveexec_b64 s[8:9], vcc
	s_cbranch_execz .LBB123_807
; %bb.804:
	s_mov_b32 s10, 0
	v_add_u32_e32 v125, 0xf4, v121
	v_add3_u32 v126, v121, s10, 4
	s_mov_b64 s[10:11], 0
	v_mov_b32_e32 v127, v0
.LBB123_805:                            ; =>This Inner Loop Header: Depth=1
	buffer_load_dword v128, v126, s[0:3], 0 offen
	ds_read_b32 v129, v125
	v_add_u32_e32 v127, 1, v127
	v_cmp_lt_u32_e32 vcc, 21, v127
	v_add_u32_e32 v125, 4, v125
	v_add_u32_e32 v126, 4, v126
	s_or_b64 s[10:11], vcc, s[10:11]
	s_waitcnt vmcnt(0) lgkmcnt(0)
	v_fmac_f32_e32 v124, v128, v129
	s_andn2_b64 exec, exec, s[10:11]
	s_cbranch_execnz .LBB123_805
; %bb.806:
	s_or_b64 exec, exec, s[10:11]
.LBB123_807:
	s_or_b64 exec, exec, s[8:9]
	v_mov_b32_e32 v125, 0
	ds_read_b32 v125, v125 offset:92
	s_waitcnt lgkmcnt(0)
	v_mul_f32_e32 v124, v124, v125
	buffer_store_dword v124, off, s[0:3], 0 offset:92
.LBB123_808:
	s_or_b64 exec, exec, s[6:7]
	buffer_load_dword v124, off, s[0:3], 0 offset:96
	v_cmp_gt_u32_e32 vcc, 24, v0
	s_waitcnt vmcnt(0)
	ds_write_b32 v122, v124
	s_waitcnt lgkmcnt(0)
	; wave barrier
	s_and_saveexec_b64 s[6:7], vcc
	s_cbranch_execz .LBB123_818
; %bb.809:
	s_and_b64 vcc, exec, s[4:5]
	s_cbranch_vccnz .LBB123_811
; %bb.810:
	buffer_load_dword v124, v123, s[0:3], 0 offen
	ds_read_b32 v125, v122
	s_waitcnt vmcnt(0) lgkmcnt(0)
	v_mul_f32_e32 v124, v124, v125
	s_cbranch_execz .LBB123_812
	s_branch .LBB123_813
.LBB123_811:
                                        ; implicit-def: $vgpr124
.LBB123_812:
	ds_read_b32 v124, v122
.LBB123_813:
	v_cmp_ne_u32_e32 vcc, 23, v0
	s_and_saveexec_b64 s[8:9], vcc
	s_cbranch_execz .LBB123_817
; %bb.814:
	s_mov_b32 s10, 0
	v_add_u32_e32 v125, 0xf4, v121
	v_add3_u32 v126, v121, s10, 4
	s_mov_b64 s[10:11], 0
	v_mov_b32_e32 v127, v0
.LBB123_815:                            ; =>This Inner Loop Header: Depth=1
	buffer_load_dword v128, v126, s[0:3], 0 offen
	ds_read_b32 v129, v125
	v_add_u32_e32 v127, 1, v127
	v_cmp_lt_u32_e32 vcc, 22, v127
	v_add_u32_e32 v125, 4, v125
	v_add_u32_e32 v126, 4, v126
	s_or_b64 s[10:11], vcc, s[10:11]
	s_waitcnt vmcnt(0) lgkmcnt(0)
	v_fmac_f32_e32 v124, v128, v129
	s_andn2_b64 exec, exec, s[10:11]
	s_cbranch_execnz .LBB123_815
; %bb.816:
	s_or_b64 exec, exec, s[10:11]
.LBB123_817:
	s_or_b64 exec, exec, s[8:9]
	v_mov_b32_e32 v125, 0
	ds_read_b32 v125, v125 offset:96
	s_waitcnt lgkmcnt(0)
	v_mul_f32_e32 v124, v124, v125
	buffer_store_dword v124, off, s[0:3], 0 offset:96
.LBB123_818:
	s_or_b64 exec, exec, s[6:7]
	buffer_load_dword v124, off, s[0:3], 0 offset:100
	v_cmp_gt_u32_e32 vcc, 25, v0
	s_waitcnt vmcnt(0)
	ds_write_b32 v122, v124
	s_waitcnt lgkmcnt(0)
	; wave barrier
	s_and_saveexec_b64 s[6:7], vcc
	s_cbranch_execz .LBB123_828
; %bb.819:
	s_and_b64 vcc, exec, s[4:5]
	s_cbranch_vccnz .LBB123_821
; %bb.820:
	buffer_load_dword v124, v123, s[0:3], 0 offen
	ds_read_b32 v125, v122
	s_waitcnt vmcnt(0) lgkmcnt(0)
	v_mul_f32_e32 v124, v124, v125
	s_cbranch_execz .LBB123_822
	s_branch .LBB123_823
.LBB123_821:
                                        ; implicit-def: $vgpr124
.LBB123_822:
	ds_read_b32 v124, v122
.LBB123_823:
	v_cmp_ne_u32_e32 vcc, 24, v0
	s_and_saveexec_b64 s[8:9], vcc
	s_cbranch_execz .LBB123_827
; %bb.824:
	s_mov_b32 s10, 0
	v_add_u32_e32 v125, 0xf4, v121
	v_add3_u32 v126, v121, s10, 4
	s_mov_b64 s[10:11], 0
	v_mov_b32_e32 v127, v0
.LBB123_825:                            ; =>This Inner Loop Header: Depth=1
	buffer_load_dword v128, v126, s[0:3], 0 offen
	ds_read_b32 v129, v125
	v_add_u32_e32 v127, 1, v127
	v_cmp_lt_u32_e32 vcc, 23, v127
	v_add_u32_e32 v125, 4, v125
	v_add_u32_e32 v126, 4, v126
	s_or_b64 s[10:11], vcc, s[10:11]
	s_waitcnt vmcnt(0) lgkmcnt(0)
	v_fmac_f32_e32 v124, v128, v129
	s_andn2_b64 exec, exec, s[10:11]
	s_cbranch_execnz .LBB123_825
; %bb.826:
	s_or_b64 exec, exec, s[10:11]
.LBB123_827:
	s_or_b64 exec, exec, s[8:9]
	v_mov_b32_e32 v125, 0
	ds_read_b32 v125, v125 offset:100
	s_waitcnt lgkmcnt(0)
	v_mul_f32_e32 v124, v124, v125
	buffer_store_dword v124, off, s[0:3], 0 offset:100
.LBB123_828:
	s_or_b64 exec, exec, s[6:7]
	buffer_load_dword v124, off, s[0:3], 0 offset:104
	v_cmp_gt_u32_e32 vcc, 26, v0
	s_waitcnt vmcnt(0)
	ds_write_b32 v122, v124
	s_waitcnt lgkmcnt(0)
	; wave barrier
	s_and_saveexec_b64 s[6:7], vcc
	s_cbranch_execz .LBB123_838
; %bb.829:
	s_and_b64 vcc, exec, s[4:5]
	s_cbranch_vccnz .LBB123_831
; %bb.830:
	buffer_load_dword v124, v123, s[0:3], 0 offen
	ds_read_b32 v125, v122
	s_waitcnt vmcnt(0) lgkmcnt(0)
	v_mul_f32_e32 v124, v124, v125
	s_cbranch_execz .LBB123_832
	s_branch .LBB123_833
.LBB123_831:
                                        ; implicit-def: $vgpr124
.LBB123_832:
	ds_read_b32 v124, v122
.LBB123_833:
	v_cmp_ne_u32_e32 vcc, 25, v0
	s_and_saveexec_b64 s[8:9], vcc
	s_cbranch_execz .LBB123_837
; %bb.834:
	s_mov_b32 s10, 0
	v_add_u32_e32 v125, 0xf4, v121
	v_add3_u32 v126, v121, s10, 4
	s_mov_b64 s[10:11], 0
	v_mov_b32_e32 v127, v0
.LBB123_835:                            ; =>This Inner Loop Header: Depth=1
	buffer_load_dword v128, v126, s[0:3], 0 offen
	ds_read_b32 v129, v125
	v_add_u32_e32 v127, 1, v127
	v_cmp_lt_u32_e32 vcc, 24, v127
	v_add_u32_e32 v125, 4, v125
	v_add_u32_e32 v126, 4, v126
	s_or_b64 s[10:11], vcc, s[10:11]
	s_waitcnt vmcnt(0) lgkmcnt(0)
	v_fmac_f32_e32 v124, v128, v129
	s_andn2_b64 exec, exec, s[10:11]
	s_cbranch_execnz .LBB123_835
; %bb.836:
	s_or_b64 exec, exec, s[10:11]
.LBB123_837:
	s_or_b64 exec, exec, s[8:9]
	v_mov_b32_e32 v125, 0
	ds_read_b32 v125, v125 offset:104
	s_waitcnt lgkmcnt(0)
	v_mul_f32_e32 v124, v124, v125
	buffer_store_dword v124, off, s[0:3], 0 offset:104
.LBB123_838:
	s_or_b64 exec, exec, s[6:7]
	buffer_load_dword v124, off, s[0:3], 0 offset:108
	v_cmp_gt_u32_e32 vcc, 27, v0
	s_waitcnt vmcnt(0)
	ds_write_b32 v122, v124
	s_waitcnt lgkmcnt(0)
	; wave barrier
	s_and_saveexec_b64 s[6:7], vcc
	s_cbranch_execz .LBB123_848
; %bb.839:
	s_and_b64 vcc, exec, s[4:5]
	s_cbranch_vccnz .LBB123_841
; %bb.840:
	buffer_load_dword v124, v123, s[0:3], 0 offen
	ds_read_b32 v125, v122
	s_waitcnt vmcnt(0) lgkmcnt(0)
	v_mul_f32_e32 v124, v124, v125
	s_cbranch_execz .LBB123_842
	s_branch .LBB123_843
.LBB123_841:
                                        ; implicit-def: $vgpr124
.LBB123_842:
	ds_read_b32 v124, v122
.LBB123_843:
	v_cmp_ne_u32_e32 vcc, 26, v0
	s_and_saveexec_b64 s[8:9], vcc
	s_cbranch_execz .LBB123_847
; %bb.844:
	s_mov_b32 s10, 0
	v_add_u32_e32 v125, 0xf4, v121
	v_add3_u32 v126, v121, s10, 4
	s_mov_b64 s[10:11], 0
	v_mov_b32_e32 v127, v0
.LBB123_845:                            ; =>This Inner Loop Header: Depth=1
	buffer_load_dword v128, v126, s[0:3], 0 offen
	ds_read_b32 v129, v125
	v_add_u32_e32 v127, 1, v127
	v_cmp_lt_u32_e32 vcc, 25, v127
	v_add_u32_e32 v125, 4, v125
	v_add_u32_e32 v126, 4, v126
	s_or_b64 s[10:11], vcc, s[10:11]
	s_waitcnt vmcnt(0) lgkmcnt(0)
	v_fmac_f32_e32 v124, v128, v129
	s_andn2_b64 exec, exec, s[10:11]
	s_cbranch_execnz .LBB123_845
; %bb.846:
	s_or_b64 exec, exec, s[10:11]
.LBB123_847:
	s_or_b64 exec, exec, s[8:9]
	v_mov_b32_e32 v125, 0
	ds_read_b32 v125, v125 offset:108
	s_waitcnt lgkmcnt(0)
	v_mul_f32_e32 v124, v124, v125
	buffer_store_dword v124, off, s[0:3], 0 offset:108
.LBB123_848:
	s_or_b64 exec, exec, s[6:7]
	buffer_load_dword v124, off, s[0:3], 0 offset:112
	v_cmp_gt_u32_e32 vcc, 28, v0
	s_waitcnt vmcnt(0)
	ds_write_b32 v122, v124
	s_waitcnt lgkmcnt(0)
	; wave barrier
	s_and_saveexec_b64 s[6:7], vcc
	s_cbranch_execz .LBB123_858
; %bb.849:
	s_and_b64 vcc, exec, s[4:5]
	s_cbranch_vccnz .LBB123_851
; %bb.850:
	buffer_load_dword v124, v123, s[0:3], 0 offen
	ds_read_b32 v125, v122
	s_waitcnt vmcnt(0) lgkmcnt(0)
	v_mul_f32_e32 v124, v124, v125
	s_cbranch_execz .LBB123_852
	s_branch .LBB123_853
.LBB123_851:
                                        ; implicit-def: $vgpr124
.LBB123_852:
	ds_read_b32 v124, v122
.LBB123_853:
	v_cmp_ne_u32_e32 vcc, 27, v0
	s_and_saveexec_b64 s[8:9], vcc
	s_cbranch_execz .LBB123_857
; %bb.854:
	s_mov_b32 s10, 0
	v_add_u32_e32 v125, 0xf4, v121
	v_add3_u32 v126, v121, s10, 4
	s_mov_b64 s[10:11], 0
	v_mov_b32_e32 v127, v0
.LBB123_855:                            ; =>This Inner Loop Header: Depth=1
	buffer_load_dword v128, v126, s[0:3], 0 offen
	ds_read_b32 v129, v125
	v_add_u32_e32 v127, 1, v127
	v_cmp_lt_u32_e32 vcc, 26, v127
	v_add_u32_e32 v125, 4, v125
	v_add_u32_e32 v126, 4, v126
	s_or_b64 s[10:11], vcc, s[10:11]
	s_waitcnt vmcnt(0) lgkmcnt(0)
	v_fmac_f32_e32 v124, v128, v129
	s_andn2_b64 exec, exec, s[10:11]
	s_cbranch_execnz .LBB123_855
; %bb.856:
	s_or_b64 exec, exec, s[10:11]
.LBB123_857:
	s_or_b64 exec, exec, s[8:9]
	v_mov_b32_e32 v125, 0
	ds_read_b32 v125, v125 offset:112
	s_waitcnt lgkmcnt(0)
	v_mul_f32_e32 v124, v124, v125
	buffer_store_dword v124, off, s[0:3], 0 offset:112
.LBB123_858:
	s_or_b64 exec, exec, s[6:7]
	buffer_load_dword v124, off, s[0:3], 0 offset:116
	v_cmp_gt_u32_e32 vcc, 29, v0
	s_waitcnt vmcnt(0)
	ds_write_b32 v122, v124
	s_waitcnt lgkmcnt(0)
	; wave barrier
	s_and_saveexec_b64 s[6:7], vcc
	s_cbranch_execz .LBB123_868
; %bb.859:
	s_and_b64 vcc, exec, s[4:5]
	s_cbranch_vccnz .LBB123_861
; %bb.860:
	buffer_load_dword v124, v123, s[0:3], 0 offen
	ds_read_b32 v125, v122
	s_waitcnt vmcnt(0) lgkmcnt(0)
	v_mul_f32_e32 v124, v124, v125
	s_cbranch_execz .LBB123_862
	s_branch .LBB123_863
.LBB123_861:
                                        ; implicit-def: $vgpr124
.LBB123_862:
	ds_read_b32 v124, v122
.LBB123_863:
	v_cmp_ne_u32_e32 vcc, 28, v0
	s_and_saveexec_b64 s[8:9], vcc
	s_cbranch_execz .LBB123_867
; %bb.864:
	s_mov_b32 s10, 0
	v_add_u32_e32 v125, 0xf4, v121
	v_add3_u32 v126, v121, s10, 4
	s_mov_b64 s[10:11], 0
	v_mov_b32_e32 v127, v0
.LBB123_865:                            ; =>This Inner Loop Header: Depth=1
	buffer_load_dword v128, v126, s[0:3], 0 offen
	ds_read_b32 v129, v125
	v_add_u32_e32 v127, 1, v127
	v_cmp_lt_u32_e32 vcc, 27, v127
	v_add_u32_e32 v125, 4, v125
	v_add_u32_e32 v126, 4, v126
	s_or_b64 s[10:11], vcc, s[10:11]
	s_waitcnt vmcnt(0) lgkmcnt(0)
	v_fmac_f32_e32 v124, v128, v129
	s_andn2_b64 exec, exec, s[10:11]
	s_cbranch_execnz .LBB123_865
; %bb.866:
	s_or_b64 exec, exec, s[10:11]
.LBB123_867:
	s_or_b64 exec, exec, s[8:9]
	v_mov_b32_e32 v125, 0
	ds_read_b32 v125, v125 offset:116
	s_waitcnt lgkmcnt(0)
	v_mul_f32_e32 v124, v124, v125
	buffer_store_dword v124, off, s[0:3], 0 offset:116
.LBB123_868:
	s_or_b64 exec, exec, s[6:7]
	buffer_load_dword v124, off, s[0:3], 0 offset:120
	v_cmp_gt_u32_e32 vcc, 30, v0
	s_waitcnt vmcnt(0)
	ds_write_b32 v122, v124
	s_waitcnt lgkmcnt(0)
	; wave barrier
	s_and_saveexec_b64 s[6:7], vcc
	s_cbranch_execz .LBB123_878
; %bb.869:
	s_and_b64 vcc, exec, s[4:5]
	s_cbranch_vccnz .LBB123_871
; %bb.870:
	buffer_load_dword v124, v123, s[0:3], 0 offen
	ds_read_b32 v125, v122
	s_waitcnt vmcnt(0) lgkmcnt(0)
	v_mul_f32_e32 v124, v124, v125
	s_cbranch_execz .LBB123_872
	s_branch .LBB123_873
.LBB123_871:
                                        ; implicit-def: $vgpr124
.LBB123_872:
	ds_read_b32 v124, v122
.LBB123_873:
	v_cmp_ne_u32_e32 vcc, 29, v0
	s_and_saveexec_b64 s[8:9], vcc
	s_cbranch_execz .LBB123_877
; %bb.874:
	s_mov_b32 s10, 0
	v_add_u32_e32 v125, 0xf4, v121
	v_add3_u32 v126, v121, s10, 4
	s_mov_b64 s[10:11], 0
	v_mov_b32_e32 v127, v0
.LBB123_875:                            ; =>This Inner Loop Header: Depth=1
	buffer_load_dword v128, v126, s[0:3], 0 offen
	ds_read_b32 v129, v125
	v_add_u32_e32 v127, 1, v127
	v_cmp_lt_u32_e32 vcc, 28, v127
	v_add_u32_e32 v125, 4, v125
	v_add_u32_e32 v126, 4, v126
	s_or_b64 s[10:11], vcc, s[10:11]
	s_waitcnt vmcnt(0) lgkmcnt(0)
	v_fmac_f32_e32 v124, v128, v129
	s_andn2_b64 exec, exec, s[10:11]
	s_cbranch_execnz .LBB123_875
; %bb.876:
	s_or_b64 exec, exec, s[10:11]
.LBB123_877:
	s_or_b64 exec, exec, s[8:9]
	v_mov_b32_e32 v125, 0
	ds_read_b32 v125, v125 offset:120
	s_waitcnt lgkmcnt(0)
	v_mul_f32_e32 v124, v124, v125
	buffer_store_dword v124, off, s[0:3], 0 offset:120
.LBB123_878:
	s_or_b64 exec, exec, s[6:7]
	buffer_load_dword v124, off, s[0:3], 0 offset:124
	v_cmp_gt_u32_e32 vcc, 31, v0
	s_waitcnt vmcnt(0)
	ds_write_b32 v122, v124
	s_waitcnt lgkmcnt(0)
	; wave barrier
	s_and_saveexec_b64 s[6:7], vcc
	s_cbranch_execz .LBB123_888
; %bb.879:
	s_and_b64 vcc, exec, s[4:5]
	s_cbranch_vccnz .LBB123_881
; %bb.880:
	buffer_load_dword v124, v123, s[0:3], 0 offen
	ds_read_b32 v125, v122
	s_waitcnt vmcnt(0) lgkmcnt(0)
	v_mul_f32_e32 v124, v124, v125
	s_cbranch_execz .LBB123_882
	s_branch .LBB123_883
.LBB123_881:
                                        ; implicit-def: $vgpr124
.LBB123_882:
	ds_read_b32 v124, v122
.LBB123_883:
	v_cmp_ne_u32_e32 vcc, 30, v0
	s_and_saveexec_b64 s[8:9], vcc
	s_cbranch_execz .LBB123_887
; %bb.884:
	s_mov_b32 s10, 0
	v_add_u32_e32 v125, 0xf4, v121
	v_add3_u32 v126, v121, s10, 4
	s_mov_b64 s[10:11], 0
	v_mov_b32_e32 v127, v0
.LBB123_885:                            ; =>This Inner Loop Header: Depth=1
	buffer_load_dword v128, v126, s[0:3], 0 offen
	ds_read_b32 v129, v125
	v_add_u32_e32 v127, 1, v127
	v_cmp_lt_u32_e32 vcc, 29, v127
	v_add_u32_e32 v125, 4, v125
	v_add_u32_e32 v126, 4, v126
	s_or_b64 s[10:11], vcc, s[10:11]
	s_waitcnt vmcnt(0) lgkmcnt(0)
	v_fmac_f32_e32 v124, v128, v129
	s_andn2_b64 exec, exec, s[10:11]
	s_cbranch_execnz .LBB123_885
; %bb.886:
	s_or_b64 exec, exec, s[10:11]
.LBB123_887:
	s_or_b64 exec, exec, s[8:9]
	v_mov_b32_e32 v125, 0
	ds_read_b32 v125, v125 offset:124
	s_waitcnt lgkmcnt(0)
	v_mul_f32_e32 v124, v124, v125
	buffer_store_dword v124, off, s[0:3], 0 offset:124
.LBB123_888:
	s_or_b64 exec, exec, s[6:7]
	buffer_load_dword v124, off, s[0:3], 0 offset:128
	v_cmp_gt_u32_e32 vcc, 32, v0
	s_waitcnt vmcnt(0)
	ds_write_b32 v122, v124
	s_waitcnt lgkmcnt(0)
	; wave barrier
	s_and_saveexec_b64 s[6:7], vcc
	s_cbranch_execz .LBB123_898
; %bb.889:
	s_and_b64 vcc, exec, s[4:5]
	s_cbranch_vccnz .LBB123_891
; %bb.890:
	buffer_load_dword v124, v123, s[0:3], 0 offen
	ds_read_b32 v125, v122
	s_waitcnt vmcnt(0) lgkmcnt(0)
	v_mul_f32_e32 v124, v124, v125
	s_cbranch_execz .LBB123_892
	s_branch .LBB123_893
.LBB123_891:
                                        ; implicit-def: $vgpr124
.LBB123_892:
	ds_read_b32 v124, v122
.LBB123_893:
	v_cmp_ne_u32_e32 vcc, 31, v0
	s_and_saveexec_b64 s[8:9], vcc
	s_cbranch_execz .LBB123_897
; %bb.894:
	s_mov_b32 s10, 0
	v_add_u32_e32 v125, 0xf4, v121
	v_add3_u32 v126, v121, s10, 4
	s_mov_b64 s[10:11], 0
	v_mov_b32_e32 v127, v0
.LBB123_895:                            ; =>This Inner Loop Header: Depth=1
	buffer_load_dword v128, v126, s[0:3], 0 offen
	ds_read_b32 v129, v125
	v_add_u32_e32 v127, 1, v127
	v_cmp_lt_u32_e32 vcc, 30, v127
	v_add_u32_e32 v125, 4, v125
	v_add_u32_e32 v126, 4, v126
	s_or_b64 s[10:11], vcc, s[10:11]
	s_waitcnt vmcnt(0) lgkmcnt(0)
	v_fmac_f32_e32 v124, v128, v129
	s_andn2_b64 exec, exec, s[10:11]
	s_cbranch_execnz .LBB123_895
; %bb.896:
	s_or_b64 exec, exec, s[10:11]
.LBB123_897:
	s_or_b64 exec, exec, s[8:9]
	v_mov_b32_e32 v125, 0
	ds_read_b32 v125, v125 offset:128
	s_waitcnt lgkmcnt(0)
	v_mul_f32_e32 v124, v124, v125
	buffer_store_dword v124, off, s[0:3], 0 offset:128
.LBB123_898:
	s_or_b64 exec, exec, s[6:7]
	buffer_load_dword v124, off, s[0:3], 0 offset:132
	v_cmp_gt_u32_e32 vcc, 33, v0
	s_waitcnt vmcnt(0)
	ds_write_b32 v122, v124
	s_waitcnt lgkmcnt(0)
	; wave barrier
	s_and_saveexec_b64 s[6:7], vcc
	s_cbranch_execz .LBB123_908
; %bb.899:
	s_and_b64 vcc, exec, s[4:5]
	s_cbranch_vccnz .LBB123_901
; %bb.900:
	buffer_load_dword v124, v123, s[0:3], 0 offen
	ds_read_b32 v125, v122
	s_waitcnt vmcnt(0) lgkmcnt(0)
	v_mul_f32_e32 v124, v124, v125
	s_cbranch_execz .LBB123_902
	s_branch .LBB123_903
.LBB123_901:
                                        ; implicit-def: $vgpr124
.LBB123_902:
	ds_read_b32 v124, v122
.LBB123_903:
	v_cmp_ne_u32_e32 vcc, 32, v0
	s_and_saveexec_b64 s[8:9], vcc
	s_cbranch_execz .LBB123_907
; %bb.904:
	s_mov_b32 s10, 0
	v_add_u32_e32 v125, 0xf4, v121
	v_add3_u32 v126, v121, s10, 4
	s_mov_b64 s[10:11], 0
	v_mov_b32_e32 v127, v0
.LBB123_905:                            ; =>This Inner Loop Header: Depth=1
	buffer_load_dword v128, v126, s[0:3], 0 offen
	ds_read_b32 v129, v125
	v_add_u32_e32 v127, 1, v127
	v_cmp_lt_u32_e32 vcc, 31, v127
	v_add_u32_e32 v125, 4, v125
	v_add_u32_e32 v126, 4, v126
	s_or_b64 s[10:11], vcc, s[10:11]
	s_waitcnt vmcnt(0) lgkmcnt(0)
	v_fmac_f32_e32 v124, v128, v129
	s_andn2_b64 exec, exec, s[10:11]
	s_cbranch_execnz .LBB123_905
; %bb.906:
	s_or_b64 exec, exec, s[10:11]
.LBB123_907:
	s_or_b64 exec, exec, s[8:9]
	v_mov_b32_e32 v125, 0
	ds_read_b32 v125, v125 offset:132
	s_waitcnt lgkmcnt(0)
	v_mul_f32_e32 v124, v124, v125
	buffer_store_dword v124, off, s[0:3], 0 offset:132
.LBB123_908:
	s_or_b64 exec, exec, s[6:7]
	buffer_load_dword v124, off, s[0:3], 0 offset:136
	v_cmp_gt_u32_e32 vcc, 34, v0
	s_waitcnt vmcnt(0)
	ds_write_b32 v122, v124
	s_waitcnt lgkmcnt(0)
	; wave barrier
	s_and_saveexec_b64 s[6:7], vcc
	s_cbranch_execz .LBB123_918
; %bb.909:
	s_and_b64 vcc, exec, s[4:5]
	s_cbranch_vccnz .LBB123_911
; %bb.910:
	buffer_load_dword v124, v123, s[0:3], 0 offen
	ds_read_b32 v125, v122
	s_waitcnt vmcnt(0) lgkmcnt(0)
	v_mul_f32_e32 v124, v124, v125
	s_cbranch_execz .LBB123_912
	s_branch .LBB123_913
.LBB123_911:
                                        ; implicit-def: $vgpr124
.LBB123_912:
	ds_read_b32 v124, v122
.LBB123_913:
	v_cmp_ne_u32_e32 vcc, 33, v0
	s_and_saveexec_b64 s[8:9], vcc
	s_cbranch_execz .LBB123_917
; %bb.914:
	s_mov_b32 s10, 0
	v_add_u32_e32 v125, 0xf4, v121
	v_add3_u32 v126, v121, s10, 4
	s_mov_b64 s[10:11], 0
	v_mov_b32_e32 v127, v0
.LBB123_915:                            ; =>This Inner Loop Header: Depth=1
	buffer_load_dword v128, v126, s[0:3], 0 offen
	ds_read_b32 v129, v125
	v_add_u32_e32 v127, 1, v127
	v_cmp_lt_u32_e32 vcc, 32, v127
	v_add_u32_e32 v125, 4, v125
	v_add_u32_e32 v126, 4, v126
	s_or_b64 s[10:11], vcc, s[10:11]
	s_waitcnt vmcnt(0) lgkmcnt(0)
	v_fmac_f32_e32 v124, v128, v129
	s_andn2_b64 exec, exec, s[10:11]
	s_cbranch_execnz .LBB123_915
; %bb.916:
	s_or_b64 exec, exec, s[10:11]
.LBB123_917:
	s_or_b64 exec, exec, s[8:9]
	v_mov_b32_e32 v125, 0
	ds_read_b32 v125, v125 offset:136
	s_waitcnt lgkmcnt(0)
	v_mul_f32_e32 v124, v124, v125
	buffer_store_dword v124, off, s[0:3], 0 offset:136
.LBB123_918:
	s_or_b64 exec, exec, s[6:7]
	buffer_load_dword v124, off, s[0:3], 0 offset:140
	v_cmp_gt_u32_e32 vcc, 35, v0
	s_waitcnt vmcnt(0)
	ds_write_b32 v122, v124
	s_waitcnt lgkmcnt(0)
	; wave barrier
	s_and_saveexec_b64 s[6:7], vcc
	s_cbranch_execz .LBB123_928
; %bb.919:
	s_and_b64 vcc, exec, s[4:5]
	s_cbranch_vccnz .LBB123_921
; %bb.920:
	buffer_load_dword v124, v123, s[0:3], 0 offen
	ds_read_b32 v125, v122
	s_waitcnt vmcnt(0) lgkmcnt(0)
	v_mul_f32_e32 v124, v124, v125
	s_cbranch_execz .LBB123_922
	s_branch .LBB123_923
.LBB123_921:
                                        ; implicit-def: $vgpr124
.LBB123_922:
	ds_read_b32 v124, v122
.LBB123_923:
	v_cmp_ne_u32_e32 vcc, 34, v0
	s_and_saveexec_b64 s[8:9], vcc
	s_cbranch_execz .LBB123_927
; %bb.924:
	s_mov_b32 s10, 0
	v_add_u32_e32 v125, 0xf4, v121
	v_add3_u32 v126, v121, s10, 4
	s_mov_b64 s[10:11], 0
	v_mov_b32_e32 v127, v0
.LBB123_925:                            ; =>This Inner Loop Header: Depth=1
	buffer_load_dword v128, v126, s[0:3], 0 offen
	ds_read_b32 v129, v125
	v_add_u32_e32 v127, 1, v127
	v_cmp_lt_u32_e32 vcc, 33, v127
	v_add_u32_e32 v125, 4, v125
	v_add_u32_e32 v126, 4, v126
	s_or_b64 s[10:11], vcc, s[10:11]
	s_waitcnt vmcnt(0) lgkmcnt(0)
	v_fmac_f32_e32 v124, v128, v129
	s_andn2_b64 exec, exec, s[10:11]
	s_cbranch_execnz .LBB123_925
; %bb.926:
	s_or_b64 exec, exec, s[10:11]
.LBB123_927:
	s_or_b64 exec, exec, s[8:9]
	v_mov_b32_e32 v125, 0
	ds_read_b32 v125, v125 offset:140
	s_waitcnt lgkmcnt(0)
	v_mul_f32_e32 v124, v124, v125
	buffer_store_dword v124, off, s[0:3], 0 offset:140
.LBB123_928:
	s_or_b64 exec, exec, s[6:7]
	buffer_load_dword v124, off, s[0:3], 0 offset:144
	v_cmp_gt_u32_e32 vcc, 36, v0
	s_waitcnt vmcnt(0)
	ds_write_b32 v122, v124
	s_waitcnt lgkmcnt(0)
	; wave barrier
	s_and_saveexec_b64 s[6:7], vcc
	s_cbranch_execz .LBB123_938
; %bb.929:
	s_and_b64 vcc, exec, s[4:5]
	s_cbranch_vccnz .LBB123_931
; %bb.930:
	buffer_load_dword v124, v123, s[0:3], 0 offen
	ds_read_b32 v125, v122
	s_waitcnt vmcnt(0) lgkmcnt(0)
	v_mul_f32_e32 v124, v124, v125
	s_cbranch_execz .LBB123_932
	s_branch .LBB123_933
.LBB123_931:
                                        ; implicit-def: $vgpr124
.LBB123_932:
	ds_read_b32 v124, v122
.LBB123_933:
	v_cmp_ne_u32_e32 vcc, 35, v0
	s_and_saveexec_b64 s[8:9], vcc
	s_cbranch_execz .LBB123_937
; %bb.934:
	s_mov_b32 s10, 0
	v_add_u32_e32 v125, 0xf4, v121
	v_add3_u32 v126, v121, s10, 4
	s_mov_b64 s[10:11], 0
	v_mov_b32_e32 v127, v0
.LBB123_935:                            ; =>This Inner Loop Header: Depth=1
	buffer_load_dword v128, v126, s[0:3], 0 offen
	ds_read_b32 v129, v125
	v_add_u32_e32 v127, 1, v127
	v_cmp_lt_u32_e32 vcc, 34, v127
	v_add_u32_e32 v125, 4, v125
	v_add_u32_e32 v126, 4, v126
	s_or_b64 s[10:11], vcc, s[10:11]
	s_waitcnt vmcnt(0) lgkmcnt(0)
	v_fmac_f32_e32 v124, v128, v129
	s_andn2_b64 exec, exec, s[10:11]
	s_cbranch_execnz .LBB123_935
; %bb.936:
	s_or_b64 exec, exec, s[10:11]
.LBB123_937:
	s_or_b64 exec, exec, s[8:9]
	v_mov_b32_e32 v125, 0
	ds_read_b32 v125, v125 offset:144
	s_waitcnt lgkmcnt(0)
	v_mul_f32_e32 v124, v124, v125
	buffer_store_dword v124, off, s[0:3], 0 offset:144
.LBB123_938:
	s_or_b64 exec, exec, s[6:7]
	buffer_load_dword v124, off, s[0:3], 0 offset:148
	v_cmp_gt_u32_e32 vcc, 37, v0
	s_waitcnt vmcnt(0)
	ds_write_b32 v122, v124
	s_waitcnt lgkmcnt(0)
	; wave barrier
	s_and_saveexec_b64 s[6:7], vcc
	s_cbranch_execz .LBB123_948
; %bb.939:
	s_and_b64 vcc, exec, s[4:5]
	s_cbranch_vccnz .LBB123_941
; %bb.940:
	buffer_load_dword v124, v123, s[0:3], 0 offen
	ds_read_b32 v125, v122
	s_waitcnt vmcnt(0) lgkmcnt(0)
	v_mul_f32_e32 v124, v124, v125
	s_cbranch_execz .LBB123_942
	s_branch .LBB123_943
.LBB123_941:
                                        ; implicit-def: $vgpr124
.LBB123_942:
	ds_read_b32 v124, v122
.LBB123_943:
	v_cmp_ne_u32_e32 vcc, 36, v0
	s_and_saveexec_b64 s[8:9], vcc
	s_cbranch_execz .LBB123_947
; %bb.944:
	s_mov_b32 s10, 0
	v_add_u32_e32 v125, 0xf4, v121
	v_add3_u32 v126, v121, s10, 4
	s_mov_b64 s[10:11], 0
	v_mov_b32_e32 v127, v0
.LBB123_945:                            ; =>This Inner Loop Header: Depth=1
	buffer_load_dword v128, v126, s[0:3], 0 offen
	ds_read_b32 v129, v125
	v_add_u32_e32 v127, 1, v127
	v_cmp_lt_u32_e32 vcc, 35, v127
	v_add_u32_e32 v125, 4, v125
	v_add_u32_e32 v126, 4, v126
	s_or_b64 s[10:11], vcc, s[10:11]
	s_waitcnt vmcnt(0) lgkmcnt(0)
	v_fmac_f32_e32 v124, v128, v129
	s_andn2_b64 exec, exec, s[10:11]
	s_cbranch_execnz .LBB123_945
; %bb.946:
	s_or_b64 exec, exec, s[10:11]
.LBB123_947:
	s_or_b64 exec, exec, s[8:9]
	v_mov_b32_e32 v125, 0
	ds_read_b32 v125, v125 offset:148
	s_waitcnt lgkmcnt(0)
	v_mul_f32_e32 v124, v124, v125
	buffer_store_dword v124, off, s[0:3], 0 offset:148
.LBB123_948:
	s_or_b64 exec, exec, s[6:7]
	buffer_load_dword v124, off, s[0:3], 0 offset:152
	v_cmp_gt_u32_e32 vcc, 38, v0
	s_waitcnt vmcnt(0)
	ds_write_b32 v122, v124
	s_waitcnt lgkmcnt(0)
	; wave barrier
	s_and_saveexec_b64 s[6:7], vcc
	s_cbranch_execz .LBB123_958
; %bb.949:
	s_and_b64 vcc, exec, s[4:5]
	s_cbranch_vccnz .LBB123_951
; %bb.950:
	buffer_load_dword v124, v123, s[0:3], 0 offen
	ds_read_b32 v125, v122
	s_waitcnt vmcnt(0) lgkmcnt(0)
	v_mul_f32_e32 v124, v124, v125
	s_cbranch_execz .LBB123_952
	s_branch .LBB123_953
.LBB123_951:
                                        ; implicit-def: $vgpr124
.LBB123_952:
	ds_read_b32 v124, v122
.LBB123_953:
	v_cmp_ne_u32_e32 vcc, 37, v0
	s_and_saveexec_b64 s[8:9], vcc
	s_cbranch_execz .LBB123_957
; %bb.954:
	s_mov_b32 s10, 0
	v_add_u32_e32 v125, 0xf4, v121
	v_add3_u32 v126, v121, s10, 4
	s_mov_b64 s[10:11], 0
	v_mov_b32_e32 v127, v0
.LBB123_955:                            ; =>This Inner Loop Header: Depth=1
	buffer_load_dword v128, v126, s[0:3], 0 offen
	ds_read_b32 v129, v125
	v_add_u32_e32 v127, 1, v127
	v_cmp_lt_u32_e32 vcc, 36, v127
	v_add_u32_e32 v125, 4, v125
	v_add_u32_e32 v126, 4, v126
	s_or_b64 s[10:11], vcc, s[10:11]
	s_waitcnt vmcnt(0) lgkmcnt(0)
	v_fmac_f32_e32 v124, v128, v129
	s_andn2_b64 exec, exec, s[10:11]
	s_cbranch_execnz .LBB123_955
; %bb.956:
	s_or_b64 exec, exec, s[10:11]
.LBB123_957:
	s_or_b64 exec, exec, s[8:9]
	v_mov_b32_e32 v125, 0
	ds_read_b32 v125, v125 offset:152
	s_waitcnt lgkmcnt(0)
	v_mul_f32_e32 v124, v124, v125
	buffer_store_dword v124, off, s[0:3], 0 offset:152
.LBB123_958:
	s_or_b64 exec, exec, s[6:7]
	buffer_load_dword v124, off, s[0:3], 0 offset:156
	v_cmp_gt_u32_e32 vcc, 39, v0
	s_waitcnt vmcnt(0)
	ds_write_b32 v122, v124
	s_waitcnt lgkmcnt(0)
	; wave barrier
	s_and_saveexec_b64 s[6:7], vcc
	s_cbranch_execz .LBB123_968
; %bb.959:
	s_and_b64 vcc, exec, s[4:5]
	s_cbranch_vccnz .LBB123_961
; %bb.960:
	buffer_load_dword v124, v123, s[0:3], 0 offen
	ds_read_b32 v125, v122
	s_waitcnt vmcnt(0) lgkmcnt(0)
	v_mul_f32_e32 v124, v124, v125
	s_cbranch_execz .LBB123_962
	s_branch .LBB123_963
.LBB123_961:
                                        ; implicit-def: $vgpr124
.LBB123_962:
	ds_read_b32 v124, v122
.LBB123_963:
	v_cmp_ne_u32_e32 vcc, 38, v0
	s_and_saveexec_b64 s[8:9], vcc
	s_cbranch_execz .LBB123_967
; %bb.964:
	s_mov_b32 s10, 0
	v_add_u32_e32 v125, 0xf4, v121
	v_add3_u32 v126, v121, s10, 4
	s_mov_b64 s[10:11], 0
	v_mov_b32_e32 v127, v0
.LBB123_965:                            ; =>This Inner Loop Header: Depth=1
	buffer_load_dword v128, v126, s[0:3], 0 offen
	ds_read_b32 v129, v125
	v_add_u32_e32 v127, 1, v127
	v_cmp_lt_u32_e32 vcc, 37, v127
	v_add_u32_e32 v125, 4, v125
	v_add_u32_e32 v126, 4, v126
	s_or_b64 s[10:11], vcc, s[10:11]
	s_waitcnt vmcnt(0) lgkmcnt(0)
	v_fmac_f32_e32 v124, v128, v129
	s_andn2_b64 exec, exec, s[10:11]
	s_cbranch_execnz .LBB123_965
; %bb.966:
	s_or_b64 exec, exec, s[10:11]
.LBB123_967:
	s_or_b64 exec, exec, s[8:9]
	v_mov_b32_e32 v125, 0
	ds_read_b32 v125, v125 offset:156
	s_waitcnt lgkmcnt(0)
	v_mul_f32_e32 v124, v124, v125
	buffer_store_dword v124, off, s[0:3], 0 offset:156
.LBB123_968:
	s_or_b64 exec, exec, s[6:7]
	buffer_load_dword v124, off, s[0:3], 0 offset:160
	v_cmp_gt_u32_e32 vcc, 40, v0
	s_waitcnt vmcnt(0)
	ds_write_b32 v122, v124
	s_waitcnt lgkmcnt(0)
	; wave barrier
	s_and_saveexec_b64 s[6:7], vcc
	s_cbranch_execz .LBB123_978
; %bb.969:
	s_and_b64 vcc, exec, s[4:5]
	s_cbranch_vccnz .LBB123_971
; %bb.970:
	buffer_load_dword v124, v123, s[0:3], 0 offen
	ds_read_b32 v125, v122
	s_waitcnt vmcnt(0) lgkmcnt(0)
	v_mul_f32_e32 v124, v124, v125
	s_cbranch_execz .LBB123_972
	s_branch .LBB123_973
.LBB123_971:
                                        ; implicit-def: $vgpr124
.LBB123_972:
	ds_read_b32 v124, v122
.LBB123_973:
	v_cmp_ne_u32_e32 vcc, 39, v0
	s_and_saveexec_b64 s[8:9], vcc
	s_cbranch_execz .LBB123_977
; %bb.974:
	s_mov_b32 s10, 0
	v_add_u32_e32 v125, 0xf4, v121
	v_add3_u32 v126, v121, s10, 4
	s_mov_b64 s[10:11], 0
	v_mov_b32_e32 v127, v0
.LBB123_975:                            ; =>This Inner Loop Header: Depth=1
	buffer_load_dword v128, v126, s[0:3], 0 offen
	ds_read_b32 v129, v125
	v_add_u32_e32 v127, 1, v127
	v_cmp_lt_u32_e32 vcc, 38, v127
	v_add_u32_e32 v125, 4, v125
	v_add_u32_e32 v126, 4, v126
	s_or_b64 s[10:11], vcc, s[10:11]
	s_waitcnt vmcnt(0) lgkmcnt(0)
	v_fmac_f32_e32 v124, v128, v129
	s_andn2_b64 exec, exec, s[10:11]
	s_cbranch_execnz .LBB123_975
; %bb.976:
	s_or_b64 exec, exec, s[10:11]
.LBB123_977:
	s_or_b64 exec, exec, s[8:9]
	v_mov_b32_e32 v125, 0
	ds_read_b32 v125, v125 offset:160
	s_waitcnt lgkmcnt(0)
	v_mul_f32_e32 v124, v124, v125
	buffer_store_dword v124, off, s[0:3], 0 offset:160
.LBB123_978:
	s_or_b64 exec, exec, s[6:7]
	buffer_load_dword v124, off, s[0:3], 0 offset:164
	v_cmp_gt_u32_e32 vcc, 41, v0
	s_waitcnt vmcnt(0)
	ds_write_b32 v122, v124
	s_waitcnt lgkmcnt(0)
	; wave barrier
	s_and_saveexec_b64 s[6:7], vcc
	s_cbranch_execz .LBB123_988
; %bb.979:
	s_and_b64 vcc, exec, s[4:5]
	s_cbranch_vccnz .LBB123_981
; %bb.980:
	buffer_load_dword v124, v123, s[0:3], 0 offen
	ds_read_b32 v125, v122
	s_waitcnt vmcnt(0) lgkmcnt(0)
	v_mul_f32_e32 v124, v124, v125
	s_cbranch_execz .LBB123_982
	s_branch .LBB123_983
.LBB123_981:
                                        ; implicit-def: $vgpr124
.LBB123_982:
	ds_read_b32 v124, v122
.LBB123_983:
	v_cmp_ne_u32_e32 vcc, 40, v0
	s_and_saveexec_b64 s[8:9], vcc
	s_cbranch_execz .LBB123_987
; %bb.984:
	s_mov_b32 s10, 0
	v_add_u32_e32 v125, 0xf4, v121
	v_add3_u32 v126, v121, s10, 4
	s_mov_b64 s[10:11], 0
	v_mov_b32_e32 v127, v0
.LBB123_985:                            ; =>This Inner Loop Header: Depth=1
	buffer_load_dword v128, v126, s[0:3], 0 offen
	ds_read_b32 v129, v125
	v_add_u32_e32 v127, 1, v127
	v_cmp_lt_u32_e32 vcc, 39, v127
	v_add_u32_e32 v125, 4, v125
	v_add_u32_e32 v126, 4, v126
	s_or_b64 s[10:11], vcc, s[10:11]
	s_waitcnt vmcnt(0) lgkmcnt(0)
	v_fmac_f32_e32 v124, v128, v129
	s_andn2_b64 exec, exec, s[10:11]
	s_cbranch_execnz .LBB123_985
; %bb.986:
	s_or_b64 exec, exec, s[10:11]
.LBB123_987:
	s_or_b64 exec, exec, s[8:9]
	v_mov_b32_e32 v125, 0
	ds_read_b32 v125, v125 offset:164
	s_waitcnt lgkmcnt(0)
	v_mul_f32_e32 v124, v124, v125
	buffer_store_dword v124, off, s[0:3], 0 offset:164
.LBB123_988:
	s_or_b64 exec, exec, s[6:7]
	buffer_load_dword v124, off, s[0:3], 0 offset:168
	v_cmp_gt_u32_e32 vcc, 42, v0
	s_waitcnt vmcnt(0)
	ds_write_b32 v122, v124
	s_waitcnt lgkmcnt(0)
	; wave barrier
	s_and_saveexec_b64 s[6:7], vcc
	s_cbranch_execz .LBB123_998
; %bb.989:
	s_and_b64 vcc, exec, s[4:5]
	s_cbranch_vccnz .LBB123_991
; %bb.990:
	buffer_load_dword v124, v123, s[0:3], 0 offen
	ds_read_b32 v125, v122
	s_waitcnt vmcnt(0) lgkmcnt(0)
	v_mul_f32_e32 v124, v124, v125
	s_cbranch_execz .LBB123_992
	s_branch .LBB123_993
.LBB123_991:
                                        ; implicit-def: $vgpr124
.LBB123_992:
	ds_read_b32 v124, v122
.LBB123_993:
	v_cmp_ne_u32_e32 vcc, 41, v0
	s_and_saveexec_b64 s[8:9], vcc
	s_cbranch_execz .LBB123_997
; %bb.994:
	s_mov_b32 s10, 0
	v_add_u32_e32 v125, 0xf4, v121
	v_add3_u32 v126, v121, s10, 4
	s_mov_b64 s[10:11], 0
	v_mov_b32_e32 v127, v0
.LBB123_995:                            ; =>This Inner Loop Header: Depth=1
	buffer_load_dword v128, v126, s[0:3], 0 offen
	ds_read_b32 v129, v125
	v_add_u32_e32 v127, 1, v127
	v_cmp_lt_u32_e32 vcc, 40, v127
	v_add_u32_e32 v125, 4, v125
	v_add_u32_e32 v126, 4, v126
	s_or_b64 s[10:11], vcc, s[10:11]
	s_waitcnt vmcnt(0) lgkmcnt(0)
	v_fmac_f32_e32 v124, v128, v129
	s_andn2_b64 exec, exec, s[10:11]
	s_cbranch_execnz .LBB123_995
; %bb.996:
	s_or_b64 exec, exec, s[10:11]
.LBB123_997:
	s_or_b64 exec, exec, s[8:9]
	v_mov_b32_e32 v125, 0
	ds_read_b32 v125, v125 offset:168
	s_waitcnt lgkmcnt(0)
	v_mul_f32_e32 v124, v124, v125
	buffer_store_dword v124, off, s[0:3], 0 offset:168
.LBB123_998:
	s_or_b64 exec, exec, s[6:7]
	buffer_load_dword v124, off, s[0:3], 0 offset:172
	v_cmp_gt_u32_e32 vcc, 43, v0
	s_waitcnt vmcnt(0)
	ds_write_b32 v122, v124
	s_waitcnt lgkmcnt(0)
	; wave barrier
	s_and_saveexec_b64 s[6:7], vcc
	s_cbranch_execz .LBB123_1008
; %bb.999:
	s_and_b64 vcc, exec, s[4:5]
	s_cbranch_vccnz .LBB123_1001
; %bb.1000:
	buffer_load_dword v124, v123, s[0:3], 0 offen
	ds_read_b32 v125, v122
	s_waitcnt vmcnt(0) lgkmcnt(0)
	v_mul_f32_e32 v124, v124, v125
	s_cbranch_execz .LBB123_1002
	s_branch .LBB123_1003
.LBB123_1001:
                                        ; implicit-def: $vgpr124
.LBB123_1002:
	ds_read_b32 v124, v122
.LBB123_1003:
	v_cmp_ne_u32_e32 vcc, 42, v0
	s_and_saveexec_b64 s[8:9], vcc
	s_cbranch_execz .LBB123_1007
; %bb.1004:
	s_mov_b32 s10, 0
	v_add_u32_e32 v125, 0xf4, v121
	v_add3_u32 v126, v121, s10, 4
	s_mov_b64 s[10:11], 0
	v_mov_b32_e32 v127, v0
.LBB123_1005:                           ; =>This Inner Loop Header: Depth=1
	buffer_load_dword v128, v126, s[0:3], 0 offen
	ds_read_b32 v129, v125
	v_add_u32_e32 v127, 1, v127
	v_cmp_lt_u32_e32 vcc, 41, v127
	v_add_u32_e32 v125, 4, v125
	v_add_u32_e32 v126, 4, v126
	s_or_b64 s[10:11], vcc, s[10:11]
	s_waitcnt vmcnt(0) lgkmcnt(0)
	v_fmac_f32_e32 v124, v128, v129
	s_andn2_b64 exec, exec, s[10:11]
	s_cbranch_execnz .LBB123_1005
; %bb.1006:
	s_or_b64 exec, exec, s[10:11]
.LBB123_1007:
	s_or_b64 exec, exec, s[8:9]
	v_mov_b32_e32 v125, 0
	ds_read_b32 v125, v125 offset:172
	s_waitcnt lgkmcnt(0)
	v_mul_f32_e32 v124, v124, v125
	buffer_store_dword v124, off, s[0:3], 0 offset:172
.LBB123_1008:
	s_or_b64 exec, exec, s[6:7]
	buffer_load_dword v124, off, s[0:3], 0 offset:176
	v_cmp_gt_u32_e32 vcc, 44, v0
	s_waitcnt vmcnt(0)
	ds_write_b32 v122, v124
	s_waitcnt lgkmcnt(0)
	; wave barrier
	s_and_saveexec_b64 s[6:7], vcc
	s_cbranch_execz .LBB123_1018
; %bb.1009:
	s_and_b64 vcc, exec, s[4:5]
	s_cbranch_vccnz .LBB123_1011
; %bb.1010:
	buffer_load_dword v124, v123, s[0:3], 0 offen
	ds_read_b32 v125, v122
	s_waitcnt vmcnt(0) lgkmcnt(0)
	v_mul_f32_e32 v124, v124, v125
	s_cbranch_execz .LBB123_1012
	s_branch .LBB123_1013
.LBB123_1011:
                                        ; implicit-def: $vgpr124
.LBB123_1012:
	ds_read_b32 v124, v122
.LBB123_1013:
	v_cmp_ne_u32_e32 vcc, 43, v0
	s_and_saveexec_b64 s[8:9], vcc
	s_cbranch_execz .LBB123_1017
; %bb.1014:
	s_mov_b32 s10, 0
	v_add_u32_e32 v125, 0xf4, v121
	v_add3_u32 v126, v121, s10, 4
	s_mov_b64 s[10:11], 0
	v_mov_b32_e32 v127, v0
.LBB123_1015:                           ; =>This Inner Loop Header: Depth=1
	buffer_load_dword v128, v126, s[0:3], 0 offen
	ds_read_b32 v129, v125
	v_add_u32_e32 v127, 1, v127
	v_cmp_lt_u32_e32 vcc, 42, v127
	v_add_u32_e32 v125, 4, v125
	v_add_u32_e32 v126, 4, v126
	s_or_b64 s[10:11], vcc, s[10:11]
	s_waitcnt vmcnt(0) lgkmcnt(0)
	v_fmac_f32_e32 v124, v128, v129
	s_andn2_b64 exec, exec, s[10:11]
	s_cbranch_execnz .LBB123_1015
; %bb.1016:
	s_or_b64 exec, exec, s[10:11]
.LBB123_1017:
	s_or_b64 exec, exec, s[8:9]
	v_mov_b32_e32 v125, 0
	ds_read_b32 v125, v125 offset:176
	s_waitcnt lgkmcnt(0)
	v_mul_f32_e32 v124, v124, v125
	buffer_store_dword v124, off, s[0:3], 0 offset:176
.LBB123_1018:
	;; [unrolled: 55-line block ×15, first 2 shown]
	s_or_b64 exec, exec, s[6:7]
	buffer_load_dword v124, off, s[0:3], 0 offset:232
	v_cmp_gt_u32_e64 s[6:7], 58, v0
	s_waitcnt vmcnt(0)
	ds_write_b32 v122, v124
	s_waitcnt lgkmcnt(0)
	; wave barrier
	s_and_saveexec_b64 s[8:9], s[6:7]
	s_cbranch_execz .LBB123_1158
; %bb.1149:
	s_and_b64 vcc, exec, s[4:5]
	s_cbranch_vccnz .LBB123_1151
; %bb.1150:
	buffer_load_dword v124, v123, s[0:3], 0 offen
	ds_read_b32 v125, v122
	s_waitcnt vmcnt(0) lgkmcnt(0)
	v_mul_f32_e32 v124, v124, v125
	s_cbranch_execz .LBB123_1152
	s_branch .LBB123_1153
.LBB123_1151:
                                        ; implicit-def: $vgpr124
.LBB123_1152:
	ds_read_b32 v124, v122
.LBB123_1153:
	v_cmp_ne_u32_e32 vcc, 57, v0
	s_and_saveexec_b64 s[10:11], vcc
	s_cbranch_execz .LBB123_1157
; %bb.1154:
	s_mov_b32 s12, 0
	v_add_u32_e32 v125, 0xf4, v121
	v_add3_u32 v126, v121, s12, 4
	s_mov_b64 s[12:13], 0
	v_mov_b32_e32 v127, v0
.LBB123_1155:                           ; =>This Inner Loop Header: Depth=1
	buffer_load_dword v128, v126, s[0:3], 0 offen
	ds_read_b32 v129, v125
	v_add_u32_e32 v127, 1, v127
	v_cmp_lt_u32_e32 vcc, 56, v127
	v_add_u32_e32 v125, 4, v125
	v_add_u32_e32 v126, 4, v126
	s_or_b64 s[12:13], vcc, s[12:13]
	s_waitcnt vmcnt(0) lgkmcnt(0)
	v_fmac_f32_e32 v124, v128, v129
	s_andn2_b64 exec, exec, s[12:13]
	s_cbranch_execnz .LBB123_1155
; %bb.1156:
	s_or_b64 exec, exec, s[12:13]
.LBB123_1157:
	s_or_b64 exec, exec, s[10:11]
	v_mov_b32_e32 v125, 0
	ds_read_b32 v125, v125 offset:232
	s_waitcnt lgkmcnt(0)
	v_mul_f32_e32 v124, v124, v125
	buffer_store_dword v124, off, s[0:3], 0 offset:232
.LBB123_1158:
	s_or_b64 exec, exec, s[8:9]
	buffer_load_dword v124, off, s[0:3], 0 offset:236
	v_cmp_ne_u32_e32 vcc, 59, v0
	s_waitcnt vmcnt(0)
	ds_write_b32 v122, v124
	s_waitcnt lgkmcnt(0)
	; wave barrier
	s_and_saveexec_b64 s[8:9], vcc
	s_cbranch_execz .LBB123_1168
; %bb.1159:
	s_and_b64 vcc, exec, s[4:5]
	s_cbranch_vccnz .LBB123_1161
; %bb.1160:
	buffer_load_dword v123, v123, s[0:3], 0 offen
	ds_read_b32 v124, v122
	s_waitcnt vmcnt(0) lgkmcnt(0)
	v_mul_f32_e32 v123, v123, v124
	s_cbranch_execz .LBB123_1162
	s_branch .LBB123_1163
.LBB123_1161:
                                        ; implicit-def: $vgpr123
.LBB123_1162:
	ds_read_b32 v123, v122
.LBB123_1163:
	s_and_saveexec_b64 s[4:5], s[6:7]
	s_cbranch_execz .LBB123_1167
; %bb.1164:
	s_mov_b32 s6, 0
	v_add_u32_e32 v122, 0xf4, v121
	v_add3_u32 v121, v121, s6, 4
	s_mov_b64 s[6:7], 0
.LBB123_1165:                           ; =>This Inner Loop Header: Depth=1
	buffer_load_dword v124, v121, s[0:3], 0 offen
	ds_read_b32 v125, v122
	v_add_u32_e32 v0, 1, v0
	v_cmp_lt_u32_e32 vcc, 57, v0
	v_add_u32_e32 v122, 4, v122
	v_add_u32_e32 v121, 4, v121
	s_or_b64 s[6:7], vcc, s[6:7]
	s_waitcnt vmcnt(0) lgkmcnt(0)
	v_fmac_f32_e32 v123, v124, v125
	s_andn2_b64 exec, exec, s[6:7]
	s_cbranch_execnz .LBB123_1165
; %bb.1166:
	s_or_b64 exec, exec, s[6:7]
.LBB123_1167:
	s_or_b64 exec, exec, s[4:5]
	v_mov_b32_e32 v0, 0
	ds_read_b32 v0, v0 offset:236
	s_waitcnt lgkmcnt(0)
	v_mul_f32_e32 v0, v123, v0
	buffer_store_dword v0, off, s[0:3], 0 offset:236
.LBB123_1168:
	s_or_b64 exec, exec, s[8:9]
.LBB123_1169:
	buffer_load_dword v0, off, s[0:3], 0
	s_waitcnt vmcnt(0)
	flat_store_dword v[1:2], v0
	buffer_load_dword v0, off, s[0:3], 0 offset:4
	s_waitcnt vmcnt(0)
	flat_store_dword v[3:4], v0
	buffer_load_dword v0, off, s[0:3], 0 offset:8
	;; [unrolled: 3-line block ×59, first 2 shown]
	s_waitcnt vmcnt(0)
	flat_store_dword v[119:120], v0
.LBB123_1170:
	s_endpgm
	.section	.rodata,"a",@progbits
	.p2align	6, 0x0
	.amdhsa_kernel _ZN9rocsolver6v33100L18trti2_kernel_smallILi60EfPKPfEEv13rocblas_fill_17rocblas_diagonal_T1_iil
		.amdhsa_group_segment_fixed_size 480
		.amdhsa_private_segment_fixed_size 256
		.amdhsa_kernarg_size 32
		.amdhsa_user_sgpr_count 6
		.amdhsa_user_sgpr_private_segment_buffer 1
		.amdhsa_user_sgpr_dispatch_ptr 0
		.amdhsa_user_sgpr_queue_ptr 0
		.amdhsa_user_sgpr_kernarg_segment_ptr 1
		.amdhsa_user_sgpr_dispatch_id 0
		.amdhsa_user_sgpr_flat_scratch_init 0
		.amdhsa_user_sgpr_private_segment_size 0
		.amdhsa_uses_dynamic_stack 0
		.amdhsa_system_sgpr_private_segment_wavefront_offset 1
		.amdhsa_system_sgpr_workgroup_id_x 1
		.amdhsa_system_sgpr_workgroup_id_y 0
		.amdhsa_system_sgpr_workgroup_id_z 0
		.amdhsa_system_sgpr_workgroup_info 0
		.amdhsa_system_vgpr_workitem_id 0
		.amdhsa_next_free_vgpr 130
		.amdhsa_next_free_sgpr 73
		.amdhsa_reserve_vcc 1
		.amdhsa_reserve_flat_scratch 0
		.amdhsa_float_round_mode_32 0
		.amdhsa_float_round_mode_16_64 0
		.amdhsa_float_denorm_mode_32 3
		.amdhsa_float_denorm_mode_16_64 3
		.amdhsa_dx10_clamp 1
		.amdhsa_ieee_mode 1
		.amdhsa_fp16_overflow 0
		.amdhsa_exception_fp_ieee_invalid_op 0
		.amdhsa_exception_fp_denorm_src 0
		.amdhsa_exception_fp_ieee_div_zero 0
		.amdhsa_exception_fp_ieee_overflow 0
		.amdhsa_exception_fp_ieee_underflow 0
		.amdhsa_exception_fp_ieee_inexact 0
		.amdhsa_exception_int_div_zero 0
	.end_amdhsa_kernel
	.section	.text._ZN9rocsolver6v33100L18trti2_kernel_smallILi60EfPKPfEEv13rocblas_fill_17rocblas_diagonal_T1_iil,"axG",@progbits,_ZN9rocsolver6v33100L18trti2_kernel_smallILi60EfPKPfEEv13rocblas_fill_17rocblas_diagonal_T1_iil,comdat
.Lfunc_end123:
	.size	_ZN9rocsolver6v33100L18trti2_kernel_smallILi60EfPKPfEEv13rocblas_fill_17rocblas_diagonal_T1_iil, .Lfunc_end123-_ZN9rocsolver6v33100L18trti2_kernel_smallILi60EfPKPfEEv13rocblas_fill_17rocblas_diagonal_T1_iil
                                        ; -- End function
	.set _ZN9rocsolver6v33100L18trti2_kernel_smallILi60EfPKPfEEv13rocblas_fill_17rocblas_diagonal_T1_iil.num_vgpr, 130
	.set _ZN9rocsolver6v33100L18trti2_kernel_smallILi60EfPKPfEEv13rocblas_fill_17rocblas_diagonal_T1_iil.num_agpr, 0
	.set _ZN9rocsolver6v33100L18trti2_kernel_smallILi60EfPKPfEEv13rocblas_fill_17rocblas_diagonal_T1_iil.numbered_sgpr, 73
	.set _ZN9rocsolver6v33100L18trti2_kernel_smallILi60EfPKPfEEv13rocblas_fill_17rocblas_diagonal_T1_iil.num_named_barrier, 0
	.set _ZN9rocsolver6v33100L18trti2_kernel_smallILi60EfPKPfEEv13rocblas_fill_17rocblas_diagonal_T1_iil.private_seg_size, 256
	.set _ZN9rocsolver6v33100L18trti2_kernel_smallILi60EfPKPfEEv13rocblas_fill_17rocblas_diagonal_T1_iil.uses_vcc, 1
	.set _ZN9rocsolver6v33100L18trti2_kernel_smallILi60EfPKPfEEv13rocblas_fill_17rocblas_diagonal_T1_iil.uses_flat_scratch, 0
	.set _ZN9rocsolver6v33100L18trti2_kernel_smallILi60EfPKPfEEv13rocblas_fill_17rocblas_diagonal_T1_iil.has_dyn_sized_stack, 0
	.set _ZN9rocsolver6v33100L18trti2_kernel_smallILi60EfPKPfEEv13rocblas_fill_17rocblas_diagonal_T1_iil.has_recursion, 0
	.set _ZN9rocsolver6v33100L18trti2_kernel_smallILi60EfPKPfEEv13rocblas_fill_17rocblas_diagonal_T1_iil.has_indirect_call, 0
	.section	.AMDGPU.csdata,"",@progbits
; Kernel info:
; codeLenInByte = 29248
; TotalNumSgprs: 77
; NumVgprs: 130
; ScratchSize: 256
; MemoryBound: 0
; FloatMode: 240
; IeeeMode: 1
; LDSByteSize: 480 bytes/workgroup (compile time only)
; SGPRBlocks: 9
; VGPRBlocks: 32
; NumSGPRsForWavesPerEU: 77
; NumVGPRsForWavesPerEU: 130
; Occupancy: 1
; WaveLimiterHint : 1
; COMPUTE_PGM_RSRC2:SCRATCH_EN: 1
; COMPUTE_PGM_RSRC2:USER_SGPR: 6
; COMPUTE_PGM_RSRC2:TRAP_HANDLER: 0
; COMPUTE_PGM_RSRC2:TGID_X_EN: 1
; COMPUTE_PGM_RSRC2:TGID_Y_EN: 0
; COMPUTE_PGM_RSRC2:TGID_Z_EN: 0
; COMPUTE_PGM_RSRC2:TIDIG_COMP_CNT: 0
	.section	.text._ZN9rocsolver6v33100L18trti2_kernel_smallILi61EfPKPfEEv13rocblas_fill_17rocblas_diagonal_T1_iil,"axG",@progbits,_ZN9rocsolver6v33100L18trti2_kernel_smallILi61EfPKPfEEv13rocblas_fill_17rocblas_diagonal_T1_iil,comdat
	.globl	_ZN9rocsolver6v33100L18trti2_kernel_smallILi61EfPKPfEEv13rocblas_fill_17rocblas_diagonal_T1_iil ; -- Begin function _ZN9rocsolver6v33100L18trti2_kernel_smallILi61EfPKPfEEv13rocblas_fill_17rocblas_diagonal_T1_iil
	.p2align	8
	.type	_ZN9rocsolver6v33100L18trti2_kernel_smallILi61EfPKPfEEv13rocblas_fill_17rocblas_diagonal_T1_iil,@function
_ZN9rocsolver6v33100L18trti2_kernel_smallILi61EfPKPfEEv13rocblas_fill_17rocblas_diagonal_T1_iil: ; @_ZN9rocsolver6v33100L18trti2_kernel_smallILi61EfPKPfEEv13rocblas_fill_17rocblas_diagonal_T1_iil
; %bb.0:
	s_add_u32 s0, s0, s7
	s_addc_u32 s1, s1, 0
	v_cmp_gt_u32_e32 vcc, 61, v0
	s_and_saveexec_b64 s[8:9], vcc
	s_cbranch_execz .LBB124_1190
; %bb.1:
	s_load_dwordx2 s[12:13], s[4:5], 0x10
	s_load_dwordx4 s[8:11], s[4:5], 0x0
	s_ashr_i32 s7, s6, 31
	s_lshl_b64 s[6:7], s[6:7], 3
	v_lshlrev_b32_e32 v123, 2, v0
	s_waitcnt lgkmcnt(0)
	s_ashr_i32 s5, s12, 31
	s_add_u32 s6, s10, s6
	s_addc_u32 s7, s11, s7
	s_load_dwordx2 s[6:7], s[6:7], 0x0
	s_mov_b32 s4, s12
	s_lshl_b64 s[4:5], s[4:5], 2
	s_movk_i32 s12, 0x84
	s_waitcnt lgkmcnt(0)
	s_add_u32 s4, s6, s4
	s_addc_u32 s5, s7, s5
	v_mov_b32_e32 v2, s5
	v_add_co_u32_e32 v1, vcc, s4, v123
	v_addc_co_u32_e32 v2, vcc, 0, v2, vcc
	flat_load_dword v5, v[1:2]
	s_mov_b32 s6, s13
	s_ashr_i32 s7, s13, 31
	s_lshl_b64 s[6:7], s[6:7], 2
	v_mov_b32_e32 v4, s7
	v_add_co_u32_e32 v3, vcc, s6, v1
	v_addc_co_u32_e32 v4, vcc, v2, v4, vcc
	s_add_i32 s6, s13, s13
	v_add_u32_e32 v7, s6, v0
	v_ashrrev_i32_e32 v8, 31, v7
	v_mov_b32_e32 v10, s5
	v_mov_b32_e32 v12, s5
	v_mov_b32_e32 v14, s5
	v_mov_b32_e32 v16, s5
	v_mov_b32_e32 v18, s5
	v_mov_b32_e32 v20, s5
	v_mov_b32_e32 v22, s5
	v_mov_b32_e32 v24, s5
	v_mov_b32_e32 v26, s5
	v_mov_b32_e32 v28, s5
	v_mov_b32_e32 v30, s5
	v_mov_b32_e32 v32, s5
	v_mov_b32_e32 v34, s5
	v_mov_b32_e32 v36, s5
	v_mov_b32_e32 v38, s5
	v_mov_b32_e32 v40, s5
	v_mov_b32_e32 v42, s5
	v_mov_b32_e32 v44, s5
	v_mov_b32_e32 v46, s5
	v_mov_b32_e32 v48, s5
	v_mov_b32_e32 v50, s5
	v_mov_b32_e32 v52, s5
	v_mov_b32_e32 v54, s5
	v_mov_b32_e32 v56, s5
	v_mov_b32_e32 v58, s5
	v_mov_b32_e32 v60, s5
	v_mov_b32_e32 v62, s5
	v_mov_b32_e32 v64, s5
	v_mov_b32_e32 v66, s5
	v_mov_b32_e32 v68, s5
	v_mov_b32_e32 v70, s5
	v_mov_b32_e32 v72, s5
	v_mov_b32_e32 v74, s5
	v_mov_b32_e32 v76, s5
	v_mov_b32_e32 v78, s5
	v_mov_b32_e32 v80, s5
	v_mov_b32_e32 v82, s5
	v_mov_b32_e32 v84, s5
	v_mov_b32_e32 v86, s5
	v_mov_b32_e32 v88, s5
	v_mov_b32_e32 v90, s5
	v_mov_b32_e32 v92, s5
	v_mov_b32_e32 v94, s5
	v_mov_b32_e32 v96, s5
	v_mov_b32_e32 v98, s5
	v_mov_b32_e32 v100, s5
	v_mov_b32_e32 v102, s5
	v_mov_b32_e32 v104, s5
	v_mov_b32_e32 v106, s5
	v_mov_b32_e32 v108, s5
	v_mov_b32_e32 v110, s5
	v_mov_b32_e32 v112, s5
	v_mov_b32_e32 v114, s5
	v_mov_b32_e32 v116, s5
	v_mov_b32_e32 v118, s5
	v_mov_b32_e32 v120, s5
	v_mov_b32_e32 v122, s5
	v_mov_b32_e32 v125, s5
	s_cmpk_lg_i32 s9, 0x84
	s_cselect_b64 s[10:11], -1, 0
	s_cmpk_eq_i32 s9, 0x84
	s_waitcnt vmcnt(0) lgkmcnt(0)
	buffer_store_dword v5, off, s[0:3], 0
	flat_load_dword v9, v[3:4]
	v_lshlrev_b64 v[5:6], 2, v[7:8]
	v_add_co_u32_e32 v5, vcc, s4, v5
	v_addc_co_u32_e32 v6, vcc, v10, v6, vcc
	s_waitcnt vmcnt(0) lgkmcnt(0)
	buffer_store_dword v9, off, s[0:3], 0 offset:4
	flat_load_dword v11, v[5:6]
	v_add_u32_e32 v9, s13, v7
	v_ashrrev_i32_e32 v10, 31, v9
	v_lshlrev_b64 v[7:8], 2, v[9:10]
	v_add_co_u32_e32 v7, vcc, s4, v7
	v_addc_co_u32_e32 v8, vcc, v12, v8, vcc
	s_waitcnt vmcnt(0) lgkmcnt(0)
	buffer_store_dword v11, off, s[0:3], 0 offset:8
	flat_load_dword v13, v[7:8]
	v_add_u32_e32 v11, s13, v9
	v_ashrrev_i32_e32 v12, 31, v11
	;; [unrolled: 8-line block ×57, first 2 shown]
	v_lshlrev_b64 v[119:120], 2, v[121:122]
	v_add_u32_e32 v121, s13, v121
	v_add_co_u32_e32 v119, vcc, s4, v119
	v_addc_co_u32_e32 v120, vcc, v125, v120, vcc
	v_ashrrev_i32_e32 v122, 31, v121
	v_lshlrev_b64 v[121:122], 2, v[121:122]
	v_add_co_u32_e32 v121, vcc, s4, v121
	v_addc_co_u32_e32 v122, vcc, v125, v122, vcc
	s_waitcnt vmcnt(0) lgkmcnt(0)
	buffer_store_dword v124, off, s[0:3], 0 offset:232
	flat_load_dword v124, v[119:120]
	s_waitcnt vmcnt(0) lgkmcnt(0)
	buffer_store_dword v124, off, s[0:3], 0 offset:236
	flat_load_dword v124, v[121:122]
	s_waitcnt vmcnt(0) lgkmcnt(0)
	buffer_store_dword v124, off, s[0:3], 0 offset:240
	v_mov_b32_e32 v124, -1.0
	s_cbranch_scc1 .LBB124_3
; %bb.2:
	v_mov_b32_e32 v124, 0
	v_lshl_add_u32 v124, v0, 2, v124
	buffer_load_dword v125, v124, s[0:3], 0 offen
	s_waitcnt vmcnt(0)
	v_div_scale_f32 v126, s[4:5], v125, v125, 1.0
	v_div_scale_f32 v127, vcc, 1.0, v125, 1.0
	v_rcp_f32_e32 v128, v126
	v_fma_f32 v129, -v126, v128, 1.0
	v_fmac_f32_e32 v128, v129, v128
	v_mul_f32_e32 v129, v127, v128
	v_fma_f32 v130, -v126, v129, v127
	v_fmac_f32_e32 v129, v130, v128
	v_fma_f32 v126, -v126, v129, v127
	v_div_fmas_f32 v126, v126, v128, v129
	v_div_fixup_f32 v125, v126, v125, 1.0
	buffer_store_dword v125, v124, s[0:3], 0 offen
	v_xor_b32_e32 v124, 0x80000000, v125
.LBB124_3:
	ds_write_b32 v123, v124
	s_cmpk_eq_i32 s8, 0x79
	v_or_b32_e32 v124, 0x100, v123
	v_mov_b32_e32 v125, v123
	s_mov_b64 s[4:5], -1
	s_cbranch_scc1 .LBB124_597
; %bb.4:
	buffer_load_dword v126, off, s[0:3], 0 offset:236
	s_movk_i32 s30, 0x44
	s_movk_i32 s31, 0x48
	;; [unrolled: 1-line block ×41, first 2 shown]
	v_cmp_eq_u32_e64 s[4:5], 60, v0
	s_waitcnt vmcnt(0)
	ds_write_b32 v124, v126
	s_waitcnt lgkmcnt(0)
	; wave barrier
	s_and_saveexec_b64 s[6:7], s[4:5]
	s_cbranch_execz .LBB124_10
; %bb.5:
	s_and_b64 vcc, exec, s[10:11]
	s_cbranch_vccz .LBB124_7
; %bb.6:
	buffer_load_dword v126, v125, s[0:3], 0 offen
	ds_read_b32 v127, v124
	s_waitcnt vmcnt(0) lgkmcnt(0)
	v_mul_f32_e32 v126, v126, v127
	s_cbranch_execz .LBB124_8
	s_branch .LBB124_9
.LBB124_7:
                                        ; implicit-def: $vgpr126
.LBB124_8:
	ds_read_b32 v126, v124
.LBB124_9:
	v_mov_b32_e32 v127, 0
	ds_read_b32 v127, v127 offset:236
	s_waitcnt lgkmcnt(0)
	v_mul_f32_e32 v126, v126, v127
	buffer_store_dword v126, off, s[0:3], 0 offset:236
.LBB124_10:
	s_or_b64 exec, exec, s[6:7]
	buffer_load_dword v126, off, s[0:3], 0 offset:232
	s_or_b32 s14, 0, 4
	s_or_b32 s15, 0, 8
	;; [unrolled: 1-line block ×3, first 2 shown]
	s_mov_b32 s17, 16
	s_mov_b32 s18, 20
	;; [unrolled: 1-line block ×15, first 2 shown]
	v_cmp_lt_u32_e64 s[6:7], 58, v0
	s_waitcnt vmcnt(0)
	ds_write_b32 v124, v126
	s_waitcnt lgkmcnt(0)
	; wave barrier
	s_and_saveexec_b64 s[8:9], s[6:7]
	s_cbranch_execz .LBB124_16
; %bb.11:
	s_andn2_b64 vcc, exec, s[10:11]
	s_cbranch_vccnz .LBB124_13
; %bb.12:
	buffer_load_dword v126, v125, s[0:3], 0 offen
	ds_read_b32 v127, v124
	s_waitcnt vmcnt(0) lgkmcnt(0)
	v_mul_f32_e32 v126, v126, v127
	s_cbranch_execz .LBB124_14
	s_branch .LBB124_15
.LBB124_13:
                                        ; implicit-def: $vgpr126
.LBB124_14:
	ds_read_b32 v126, v124
.LBB124_15:
	buffer_load_dword v129, off, s[0:3], 0 offset:236
	v_mov_b32_e32 v127, 0
	ds_read2_b32 v[127:128], v127 offset0:58 offset1:123
	s_waitcnt vmcnt(0) lgkmcnt(0)
	v_fma_f32 v128, v129, v128, v126
	v_cndmask_b32_e64 v126, v126, v128, s[4:5]
	v_mul_f32_e32 v126, v126, v127
	buffer_store_dword v126, off, s[0:3], 0 offset:232
.LBB124_16:
	s_or_b64 exec, exec, s[8:9]
	buffer_load_dword v126, off, s[0:3], 0 offset:228
	v_cmp_lt_u32_e64 s[4:5], 57, v0
	s_waitcnt vmcnt(0)
	ds_write_b32 v124, v126
	s_waitcnt lgkmcnt(0)
	; wave barrier
	s_and_saveexec_b64 s[8:9], s[4:5]
	s_cbranch_execz .LBB124_26
; %bb.17:
	s_andn2_b64 vcc, exec, s[10:11]
	s_cbranch_vccnz .LBB124_19
; %bb.18:
	buffer_load_dword v126, v125, s[0:3], 0 offen
	ds_read_b32 v127, v124
	s_waitcnt vmcnt(0) lgkmcnt(0)
	v_mul_f32_e32 v126, v126, v127
	s_cbranch_execz .LBB124_20
	s_branch .LBB124_21
.LBB124_19:
                                        ; implicit-def: $vgpr126
.LBB124_20:
	ds_read_b32 v126, v124
.LBB124_21:
	s_and_saveexec_b64 s[12:13], s[6:7]
	s_cbranch_execz .LBB124_25
; %bb.22:
	v_subrev_u32_e32 v127, 58, v0
	s_movk_i32 s73, 0x1e8
	s_mov_b64 s[6:7], 0
.LBB124_23:                             ; =>This Inner Loop Header: Depth=1
	v_mov_b32_e32 v128, s72
	buffer_load_dword v128, v128, s[0:3], 0 offen
	v_mov_b32_e32 v129, s73
	ds_read_b32 v129, v129
	v_add_u32_e32 v127, -1, v127
	s_add_i32 s73, s73, 4
	s_add_i32 s72, s72, 4
	v_cmp_eq_u32_e32 vcc, 0, v127
	s_or_b64 s[6:7], vcc, s[6:7]
	s_waitcnt vmcnt(0) lgkmcnt(0)
	v_fmac_f32_e32 v126, v128, v129
	s_andn2_b64 exec, exec, s[6:7]
	s_cbranch_execnz .LBB124_23
; %bb.24:
	s_or_b64 exec, exec, s[6:7]
.LBB124_25:
	s_or_b64 exec, exec, s[12:13]
	v_mov_b32_e32 v127, 0
	ds_read_b32 v127, v127 offset:228
	s_waitcnt lgkmcnt(0)
	v_mul_f32_e32 v126, v126, v127
	buffer_store_dword v126, off, s[0:3], 0 offset:228
.LBB124_26:
	s_or_b64 exec, exec, s[8:9]
	buffer_load_dword v126, off, s[0:3], 0 offset:224
	v_cmp_lt_u32_e64 s[6:7], 56, v0
	s_waitcnt vmcnt(0)
	ds_write_b32 v124, v126
	s_waitcnt lgkmcnt(0)
	; wave barrier
	s_and_saveexec_b64 s[8:9], s[6:7]
	s_cbranch_execz .LBB124_36
; %bb.27:
	s_andn2_b64 vcc, exec, s[10:11]
	s_cbranch_vccnz .LBB124_29
; %bb.28:
	buffer_load_dword v126, v125, s[0:3], 0 offen
	ds_read_b32 v127, v124
	s_waitcnt vmcnt(0) lgkmcnt(0)
	v_mul_f32_e32 v126, v126, v127
	s_cbranch_execz .LBB124_30
	s_branch .LBB124_31
.LBB124_29:
                                        ; implicit-def: $vgpr126
.LBB124_30:
	ds_read_b32 v126, v124
.LBB124_31:
	s_and_saveexec_b64 s[12:13], s[4:5]
	s_cbranch_execz .LBB124_35
; %bb.32:
	v_subrev_u32_e32 v127, 57, v0
	s_movk_i32 s72, 0x1e4
	s_mov_b64 s[4:5], 0
.LBB124_33:                             ; =>This Inner Loop Header: Depth=1
	v_mov_b32_e32 v128, s71
	buffer_load_dword v128, v128, s[0:3], 0 offen
	v_mov_b32_e32 v129, s72
	ds_read_b32 v129, v129
	v_add_u32_e32 v127, -1, v127
	s_add_i32 s72, s72, 4
	s_add_i32 s71, s71, 4
	v_cmp_eq_u32_e32 vcc, 0, v127
	s_or_b64 s[4:5], vcc, s[4:5]
	s_waitcnt vmcnt(0) lgkmcnt(0)
	v_fmac_f32_e32 v126, v128, v129
	s_andn2_b64 exec, exec, s[4:5]
	s_cbranch_execnz .LBB124_33
; %bb.34:
	s_or_b64 exec, exec, s[4:5]
.LBB124_35:
	s_or_b64 exec, exec, s[12:13]
	v_mov_b32_e32 v127, 0
	ds_read_b32 v127, v127 offset:224
	s_waitcnt lgkmcnt(0)
	v_mul_f32_e32 v126, v126, v127
	buffer_store_dword v126, off, s[0:3], 0 offset:224
.LBB124_36:
	;; [unrolled: 54-line block ×8, first 2 shown]
	s_or_b64 exec, exec, s[8:9]
	buffer_load_dword v126, off, s[0:3], 0 offset:196
	v_cmp_lt_u32_e64 s[4:5], 49, v0
	s_waitcnt vmcnt(0)
	ds_write_b32 v124, v126
	s_waitcnt lgkmcnt(0)
	; wave barrier
	s_and_saveexec_b64 s[8:9], s[4:5]
	s_cbranch_execz .LBB124_106
; %bb.97:
	s_andn2_b64 vcc, exec, s[10:11]
	s_cbranch_vccnz .LBB124_99
; %bb.98:
	buffer_load_dword v126, v125, s[0:3], 0 offen
	ds_read_b32 v127, v124
	s_waitcnt vmcnt(0) lgkmcnt(0)
	v_mul_f32_e32 v126, v126, v127
	s_cbranch_execz .LBB124_100
	s_branch .LBB124_101
.LBB124_99:
                                        ; implicit-def: $vgpr126
.LBB124_100:
	ds_read_b32 v126, v124
.LBB124_101:
	s_and_saveexec_b64 s[12:13], s[6:7]
	s_cbranch_execz .LBB124_105
; %bb.102:
	v_subrev_u32_e32 v127, 50, v0
	s_movk_i32 s65, 0x1c8
	s_mov_b64 s[6:7], 0
.LBB124_103:                            ; =>This Inner Loop Header: Depth=1
	v_mov_b32_e32 v128, s64
	buffer_load_dword v128, v128, s[0:3], 0 offen
	v_mov_b32_e32 v129, s65
	ds_read_b32 v129, v129
	v_add_u32_e32 v127, -1, v127
	s_add_i32 s65, s65, 4
	s_add_i32 s64, s64, 4
	v_cmp_eq_u32_e32 vcc, 0, v127
	s_or_b64 s[6:7], vcc, s[6:7]
	s_waitcnt vmcnt(0) lgkmcnt(0)
	v_fmac_f32_e32 v126, v128, v129
	s_andn2_b64 exec, exec, s[6:7]
	s_cbranch_execnz .LBB124_103
; %bb.104:
	s_or_b64 exec, exec, s[6:7]
.LBB124_105:
	s_or_b64 exec, exec, s[12:13]
	v_mov_b32_e32 v127, 0
	ds_read_b32 v127, v127 offset:196
	s_waitcnt lgkmcnt(0)
	v_mul_f32_e32 v126, v126, v127
	buffer_store_dword v126, off, s[0:3], 0 offset:196
.LBB124_106:
	s_or_b64 exec, exec, s[8:9]
	buffer_load_dword v126, off, s[0:3], 0 offset:192
	v_cmp_lt_u32_e64 s[6:7], 48, v0
	s_waitcnt vmcnt(0)
	ds_write_b32 v124, v126
	s_waitcnt lgkmcnt(0)
	; wave barrier
	s_and_saveexec_b64 s[8:9], s[6:7]
	s_cbranch_execz .LBB124_116
; %bb.107:
	s_andn2_b64 vcc, exec, s[10:11]
	s_cbranch_vccnz .LBB124_109
; %bb.108:
	buffer_load_dword v126, v125, s[0:3], 0 offen
	ds_read_b32 v127, v124
	s_waitcnt vmcnt(0) lgkmcnt(0)
	v_mul_f32_e32 v126, v126, v127
	s_cbranch_execz .LBB124_110
	s_branch .LBB124_111
.LBB124_109:
                                        ; implicit-def: $vgpr126
.LBB124_110:
	ds_read_b32 v126, v124
.LBB124_111:
	s_and_saveexec_b64 s[12:13], s[4:5]
	s_cbranch_execz .LBB124_115
; %bb.112:
	v_subrev_u32_e32 v127, 49, v0
	s_movk_i32 s64, 0x1c4
	s_mov_b64 s[4:5], 0
.LBB124_113:                            ; =>This Inner Loop Header: Depth=1
	v_mov_b32_e32 v128, s63
	buffer_load_dword v128, v128, s[0:3], 0 offen
	v_mov_b32_e32 v129, s64
	ds_read_b32 v129, v129
	v_add_u32_e32 v127, -1, v127
	s_add_i32 s64, s64, 4
	s_add_i32 s63, s63, 4
	v_cmp_eq_u32_e32 vcc, 0, v127
	s_or_b64 s[4:5], vcc, s[4:5]
	s_waitcnt vmcnt(0) lgkmcnt(0)
	v_fmac_f32_e32 v126, v128, v129
	s_andn2_b64 exec, exec, s[4:5]
	s_cbranch_execnz .LBB124_113
; %bb.114:
	s_or_b64 exec, exec, s[4:5]
.LBB124_115:
	s_or_b64 exec, exec, s[12:13]
	v_mov_b32_e32 v127, 0
	ds_read_b32 v127, v127 offset:192
	s_waitcnt lgkmcnt(0)
	v_mul_f32_e32 v126, v126, v127
	buffer_store_dword v126, off, s[0:3], 0 offset:192
.LBB124_116:
	;; [unrolled: 54-line block ×34, first 2 shown]
	s_or_b64 exec, exec, s[8:9]
	buffer_load_dword v126, off, s[0:3], 0 offset:60
	v_cmp_lt_u32_e64 s[4:5], 15, v0
	s_waitcnt vmcnt(0)
	ds_write_b32 v124, v126
	s_waitcnt lgkmcnt(0)
	; wave barrier
	s_and_saveexec_b64 s[8:9], s[4:5]
	s_cbranch_execz .LBB124_446
; %bb.437:
	s_andn2_b64 vcc, exec, s[10:11]
	s_cbranch_vccnz .LBB124_439
; %bb.438:
	buffer_load_dword v126, v125, s[0:3], 0 offen
	ds_read_b32 v127, v124
	s_waitcnt vmcnt(0) lgkmcnt(0)
	v_mul_f32_e32 v126, v126, v127
	s_cbranch_execz .LBB124_440
	s_branch .LBB124_441
.LBB124_439:
                                        ; implicit-def: $vgpr126
.LBB124_440:
	ds_read_b32 v126, v124
.LBB124_441:
	s_and_saveexec_b64 s[12:13], s[6:7]
	s_cbranch_execz .LBB124_445
; %bb.442:
	v_add_u32_e32 v127, -16, v0
	s_movk_i32 s30, 0x140
	s_mov_b64 s[6:7], 0
.LBB124_443:                            ; =>This Inner Loop Header: Depth=1
	v_mov_b32_e32 v128, s29
	buffer_load_dword v128, v128, s[0:3], 0 offen
	v_mov_b32_e32 v129, s30
	ds_read_b32 v129, v129
	v_add_u32_e32 v127, -1, v127
	s_add_i32 s30, s30, 4
	s_add_i32 s29, s29, 4
	v_cmp_eq_u32_e32 vcc, 0, v127
	s_or_b64 s[6:7], vcc, s[6:7]
	s_waitcnt vmcnt(0) lgkmcnt(0)
	v_fmac_f32_e32 v126, v128, v129
	s_andn2_b64 exec, exec, s[6:7]
	s_cbranch_execnz .LBB124_443
; %bb.444:
	s_or_b64 exec, exec, s[6:7]
.LBB124_445:
	s_or_b64 exec, exec, s[12:13]
	v_mov_b32_e32 v127, 0
	ds_read_b32 v127, v127 offset:60
	s_waitcnt lgkmcnt(0)
	v_mul_f32_e32 v126, v126, v127
	buffer_store_dword v126, off, s[0:3], 0 offset:60
.LBB124_446:
	s_or_b64 exec, exec, s[8:9]
	buffer_load_dword v126, off, s[0:3], 0 offset:56
	v_cmp_lt_u32_e64 s[6:7], 14, v0
	s_waitcnt vmcnt(0)
	ds_write_b32 v124, v126
	s_waitcnt lgkmcnt(0)
	; wave barrier
	s_and_saveexec_b64 s[8:9], s[6:7]
	s_cbranch_execz .LBB124_456
; %bb.447:
	s_andn2_b64 vcc, exec, s[10:11]
	s_cbranch_vccnz .LBB124_449
; %bb.448:
	buffer_load_dword v126, v125, s[0:3], 0 offen
	ds_read_b32 v127, v124
	s_waitcnt vmcnt(0) lgkmcnt(0)
	v_mul_f32_e32 v126, v126, v127
	s_cbranch_execz .LBB124_450
	s_branch .LBB124_451
.LBB124_449:
                                        ; implicit-def: $vgpr126
.LBB124_450:
	ds_read_b32 v126, v124
.LBB124_451:
	s_and_saveexec_b64 s[12:13], s[4:5]
	s_cbranch_execz .LBB124_455
; %bb.452:
	v_add_u32_e32 v127, -15, v0
	s_movk_i32 s29, 0x13c
	s_mov_b64 s[4:5], 0
.LBB124_453:                            ; =>This Inner Loop Header: Depth=1
	v_mov_b32_e32 v128, s28
	buffer_load_dword v128, v128, s[0:3], 0 offen
	v_mov_b32_e32 v129, s29
	ds_read_b32 v129, v129
	v_add_u32_e32 v127, -1, v127
	s_add_i32 s29, s29, 4
	s_add_i32 s28, s28, 4
	v_cmp_eq_u32_e32 vcc, 0, v127
	s_or_b64 s[4:5], vcc, s[4:5]
	s_waitcnt vmcnt(0) lgkmcnt(0)
	v_fmac_f32_e32 v126, v128, v129
	s_andn2_b64 exec, exec, s[4:5]
	s_cbranch_execnz .LBB124_453
; %bb.454:
	s_or_b64 exec, exec, s[4:5]
.LBB124_455:
	s_or_b64 exec, exec, s[12:13]
	v_mov_b32_e32 v127, 0
	ds_read_b32 v127, v127 offset:56
	s_waitcnt lgkmcnt(0)
	v_mul_f32_e32 v126, v126, v127
	buffer_store_dword v126, off, s[0:3], 0 offset:56
.LBB124_456:
	;; [unrolled: 54-line block ×15, first 2 shown]
	s_or_b64 exec, exec, s[8:9]
	buffer_load_dword v126, off, s[0:3], 0
	v_cmp_ne_u32_e32 vcc, 0, v0
	s_waitcnt vmcnt(0)
	ds_write_b32 v124, v126
	s_waitcnt lgkmcnt(0)
	; wave barrier
	s_and_saveexec_b64 s[6:7], vcc
	s_cbranch_execz .LBB124_596
; %bb.587:
	s_andn2_b64 vcc, exec, s[10:11]
	s_cbranch_vccnz .LBB124_589
; %bb.588:
	buffer_load_dword v126, v125, s[0:3], 0 offen
	ds_read_b32 v127, v124
	s_waitcnt vmcnt(0) lgkmcnt(0)
	v_mul_f32_e32 v126, v126, v127
	s_cbranch_execz .LBB124_590
	s_branch .LBB124_591
.LBB124_589:
                                        ; implicit-def: $vgpr126
.LBB124_590:
	ds_read_b32 v126, v124
.LBB124_591:
	s_and_saveexec_b64 s[8:9], s[4:5]
	s_cbranch_execz .LBB124_595
; %bb.592:
	v_add_u32_e32 v127, -1, v0
	s_movk_i32 s12, 0x104
	s_mov_b64 s[4:5], 0
.LBB124_593:                            ; =>This Inner Loop Header: Depth=1
	v_mov_b32_e32 v128, s14
	buffer_load_dword v128, v128, s[0:3], 0 offen
	v_mov_b32_e32 v129, s12
	ds_read_b32 v129, v129
	v_add_u32_e32 v127, -1, v127
	s_add_i32 s12, s12, 4
	s_add_i32 s14, s14, 4
	v_cmp_eq_u32_e32 vcc, 0, v127
	s_or_b64 s[4:5], vcc, s[4:5]
	s_waitcnt vmcnt(0) lgkmcnt(0)
	v_fmac_f32_e32 v126, v128, v129
	s_andn2_b64 exec, exec, s[4:5]
	s_cbranch_execnz .LBB124_593
; %bb.594:
	s_or_b64 exec, exec, s[4:5]
.LBB124_595:
	s_or_b64 exec, exec, s[8:9]
	v_mov_b32_e32 v127, 0
	ds_read_b32 v127, v127
	s_waitcnt lgkmcnt(0)
	v_mul_f32_e32 v126, v126, v127
	buffer_store_dword v126, off, s[0:3], 0
.LBB124_596:
	s_or_b64 exec, exec, s[6:7]
	s_mov_b64 s[4:5], 0
.LBB124_597:
	s_and_b64 vcc, exec, s[4:5]
	s_cbranch_vccz .LBB124_1189
; %bb.598:
	buffer_load_dword v126, off, s[0:3], 0 offset:4
	v_cmp_eq_u32_e64 s[6:7], 0, v0
	s_waitcnt vmcnt(0)
	ds_write_b32 v124, v126
	s_waitcnt lgkmcnt(0)
	; wave barrier
	s_and_saveexec_b64 s[4:5], s[6:7]
	s_cbranch_execz .LBB124_604
; %bb.599:
	s_and_b64 vcc, exec, s[10:11]
	s_cbranch_vccz .LBB124_601
; %bb.600:
	buffer_load_dword v126, v125, s[0:3], 0 offen
	ds_read_b32 v127, v124
	s_waitcnt vmcnt(0) lgkmcnt(0)
	v_mul_f32_e32 v126, v126, v127
	s_cbranch_execz .LBB124_602
	s_branch .LBB124_603
.LBB124_601:
                                        ; implicit-def: $vgpr126
.LBB124_602:
	ds_read_b32 v126, v124
.LBB124_603:
	v_mov_b32_e32 v127, 0
	ds_read_b32 v127, v127 offset:4
	s_waitcnt lgkmcnt(0)
	v_mul_f32_e32 v126, v126, v127
	buffer_store_dword v126, off, s[0:3], 0 offset:4
.LBB124_604:
	s_or_b64 exec, exec, s[4:5]
	buffer_load_dword v126, off, s[0:3], 0 offset:8
	v_cndmask_b32_e64 v127, 0, 1, s[10:11]
	v_cmp_gt_u32_e32 vcc, 2, v0
	v_cmp_ne_u32_e64 s[4:5], 1, v127
	s_waitcnt vmcnt(0)
	ds_write_b32 v124, v126
	s_waitcnt lgkmcnt(0)
	; wave barrier
	s_and_saveexec_b64 s[8:9], vcc
	s_cbranch_execz .LBB124_610
; %bb.605:
	s_and_b64 vcc, exec, s[4:5]
	s_cbranch_vccnz .LBB124_607
; %bb.606:
	buffer_load_dword v126, v125, s[0:3], 0 offen
	ds_read_b32 v127, v124
	s_waitcnt vmcnt(0) lgkmcnt(0)
	v_mul_f32_e32 v126, v126, v127
	s_cbranch_execz .LBB124_608
	s_branch .LBB124_609
.LBB124_607:
                                        ; implicit-def: $vgpr126
.LBB124_608:
	ds_read_b32 v126, v124
.LBB124_609:
	buffer_load_dword v129, off, s[0:3], 0 offset:4
	v_mov_b32_e32 v127, 0
	ds_read2_b32 v[127:128], v127 offset0:2 offset1:65
	s_waitcnt vmcnt(0) lgkmcnt(0)
	v_fma_f32 v128, v129, v128, v126
	v_cndmask_b32_e64 v126, v126, v128, s[6:7]
	v_mul_f32_e32 v126, v126, v127
	buffer_store_dword v126, off, s[0:3], 0 offset:8
.LBB124_610:
	s_or_b64 exec, exec, s[8:9]
	buffer_load_dword v126, off, s[0:3], 0 offset:12
	v_cmp_gt_u32_e32 vcc, 3, v0
	s_waitcnt vmcnt(0)
	ds_write_b32 v124, v126
	s_waitcnt lgkmcnt(0)
	; wave barrier
	s_and_saveexec_b64 s[8:9], vcc
	s_cbranch_execz .LBB124_618
; %bb.611:
	s_and_b64 vcc, exec, s[4:5]
	s_cbranch_vccnz .LBB124_613
; %bb.612:
	buffer_load_dword v126, v125, s[0:3], 0 offen
	ds_read_b32 v127, v124
	s_waitcnt vmcnt(0) lgkmcnt(0)
	v_mul_f32_e32 v126, v126, v127
	s_cbranch_execz .LBB124_614
	s_branch .LBB124_615
.LBB124_613:
                                        ; implicit-def: $vgpr126
.LBB124_614:
	ds_read_b32 v126, v124
.LBB124_615:
	v_cmp_ne_u32_e32 vcc, 2, v0
	s_and_saveexec_b64 s[10:11], vcc
	s_cbranch_execz .LBB124_617
; %bb.616:
	buffer_load_dword v127, v125, s[0:3], 0 offen offset:4
	buffer_load_dword v128, off, s[0:3], 0 offset:8
	v_mov_b32_e32 v129, 0
	ds_read_b32 v130, v124 offset:4
	ds_read_b32 v129, v129 offset:264
	s_waitcnt vmcnt(1) lgkmcnt(1)
	v_fmac_f32_e32 v126, v127, v130
	s_waitcnt vmcnt(0) lgkmcnt(0)
	v_fma_f32 v127, v128, v129, v126
	v_cndmask_b32_e64 v126, v126, v127, s[6:7]
.LBB124_617:
	s_or_b64 exec, exec, s[10:11]
	v_mov_b32_e32 v127, 0
	ds_read_b32 v127, v127 offset:12
	s_waitcnt lgkmcnt(0)
	v_mul_f32_e32 v126, v126, v127
	buffer_store_dword v126, off, s[0:3], 0 offset:12
.LBB124_618:
	s_or_b64 exec, exec, s[8:9]
	buffer_load_dword v126, off, s[0:3], 0 offset:16
	v_cmp_gt_u32_e32 vcc, 4, v0
	s_waitcnt vmcnt(0)
	ds_write_b32 v124, v126
	s_waitcnt lgkmcnt(0)
	; wave barrier
	s_and_saveexec_b64 s[6:7], vcc
	s_cbranch_execz .LBB124_628
; %bb.619:
	s_and_b64 vcc, exec, s[4:5]
	s_cbranch_vccnz .LBB124_621
; %bb.620:
	buffer_load_dword v126, v125, s[0:3], 0 offen
	ds_read_b32 v127, v124
	s_waitcnt vmcnt(0) lgkmcnt(0)
	v_mul_f32_e32 v126, v126, v127
	s_cbranch_execz .LBB124_622
	s_branch .LBB124_623
.LBB124_621:
                                        ; implicit-def: $vgpr126
.LBB124_622:
	ds_read_b32 v126, v124
.LBB124_623:
	v_cmp_ne_u32_e32 vcc, 3, v0
	s_and_saveexec_b64 s[8:9], vcc
	s_cbranch_execz .LBB124_627
; %bb.624:
	s_mov_b32 s10, 0
	v_add_u32_e32 v127, 0x104, v123
	v_add3_u32 v128, v123, s10, 4
	s_mov_b64 s[10:11], 0
	v_mov_b32_e32 v129, v0
.LBB124_625:                            ; =>This Inner Loop Header: Depth=1
	buffer_load_dword v130, v128, s[0:3], 0 offen
	ds_read_b32 v131, v127
	v_add_u32_e32 v129, 1, v129
	v_cmp_lt_u32_e32 vcc, 2, v129
	v_add_u32_e32 v127, 4, v127
	v_add_u32_e32 v128, 4, v128
	s_or_b64 s[10:11], vcc, s[10:11]
	s_waitcnt vmcnt(0) lgkmcnt(0)
	v_fmac_f32_e32 v126, v130, v131
	s_andn2_b64 exec, exec, s[10:11]
	s_cbranch_execnz .LBB124_625
; %bb.626:
	s_or_b64 exec, exec, s[10:11]
.LBB124_627:
	s_or_b64 exec, exec, s[8:9]
	v_mov_b32_e32 v127, 0
	ds_read_b32 v127, v127 offset:16
	s_waitcnt lgkmcnt(0)
	v_mul_f32_e32 v126, v126, v127
	buffer_store_dword v126, off, s[0:3], 0 offset:16
.LBB124_628:
	s_or_b64 exec, exec, s[6:7]
	buffer_load_dword v126, off, s[0:3], 0 offset:20
	v_cmp_gt_u32_e32 vcc, 5, v0
	s_waitcnt vmcnt(0)
	ds_write_b32 v124, v126
	s_waitcnt lgkmcnt(0)
	; wave barrier
	s_and_saveexec_b64 s[6:7], vcc
	s_cbranch_execz .LBB124_638
; %bb.629:
	s_and_b64 vcc, exec, s[4:5]
	s_cbranch_vccnz .LBB124_631
; %bb.630:
	buffer_load_dword v126, v125, s[0:3], 0 offen
	ds_read_b32 v127, v124
	s_waitcnt vmcnt(0) lgkmcnt(0)
	v_mul_f32_e32 v126, v126, v127
	s_cbranch_execz .LBB124_632
	s_branch .LBB124_633
.LBB124_631:
                                        ; implicit-def: $vgpr126
.LBB124_632:
	ds_read_b32 v126, v124
.LBB124_633:
	v_cmp_ne_u32_e32 vcc, 4, v0
	s_and_saveexec_b64 s[8:9], vcc
	s_cbranch_execz .LBB124_637
; %bb.634:
	s_mov_b32 s10, 0
	v_add_u32_e32 v127, 0x104, v123
	v_add3_u32 v128, v123, s10, 4
	s_mov_b64 s[10:11], 0
	v_mov_b32_e32 v129, v0
.LBB124_635:                            ; =>This Inner Loop Header: Depth=1
	buffer_load_dword v130, v128, s[0:3], 0 offen
	ds_read_b32 v131, v127
	v_add_u32_e32 v129, 1, v129
	v_cmp_lt_u32_e32 vcc, 3, v129
	v_add_u32_e32 v127, 4, v127
	v_add_u32_e32 v128, 4, v128
	s_or_b64 s[10:11], vcc, s[10:11]
	s_waitcnt vmcnt(0) lgkmcnt(0)
	v_fmac_f32_e32 v126, v130, v131
	s_andn2_b64 exec, exec, s[10:11]
	s_cbranch_execnz .LBB124_635
; %bb.636:
	s_or_b64 exec, exec, s[10:11]
.LBB124_637:
	s_or_b64 exec, exec, s[8:9]
	v_mov_b32_e32 v127, 0
	ds_read_b32 v127, v127 offset:20
	s_waitcnt lgkmcnt(0)
	v_mul_f32_e32 v126, v126, v127
	buffer_store_dword v126, off, s[0:3], 0 offset:20
.LBB124_638:
	;; [unrolled: 55-line block ×38, first 2 shown]
	s_or_b64 exec, exec, s[6:7]
	buffer_load_dword v126, off, s[0:3], 0 offset:168
	v_cmp_gt_u32_e32 vcc, 42, v0
	s_waitcnt vmcnt(0)
	ds_write_b32 v124, v126
	s_waitcnt lgkmcnt(0)
	; wave barrier
	s_and_saveexec_b64 s[6:7], vcc
	s_cbranch_execz .LBB124_1008
; %bb.999:
	s_and_b64 vcc, exec, s[4:5]
	s_cbranch_vccnz .LBB124_1001
; %bb.1000:
	buffer_load_dword v126, v125, s[0:3], 0 offen
	ds_read_b32 v127, v124
	s_waitcnt vmcnt(0) lgkmcnt(0)
	v_mul_f32_e32 v126, v126, v127
	s_cbranch_execz .LBB124_1002
	s_branch .LBB124_1003
.LBB124_1001:
                                        ; implicit-def: $vgpr126
.LBB124_1002:
	ds_read_b32 v126, v124
.LBB124_1003:
	v_cmp_ne_u32_e32 vcc, 41, v0
	s_and_saveexec_b64 s[8:9], vcc
	s_cbranch_execz .LBB124_1007
; %bb.1004:
	s_mov_b32 s10, 0
	v_add_u32_e32 v127, 0x104, v123
	v_add3_u32 v128, v123, s10, 4
	s_mov_b64 s[10:11], 0
	v_mov_b32_e32 v129, v0
.LBB124_1005:                           ; =>This Inner Loop Header: Depth=1
	buffer_load_dword v130, v128, s[0:3], 0 offen
	ds_read_b32 v131, v127
	v_add_u32_e32 v129, 1, v129
	v_cmp_lt_u32_e32 vcc, 40, v129
	v_add_u32_e32 v127, 4, v127
	v_add_u32_e32 v128, 4, v128
	s_or_b64 s[10:11], vcc, s[10:11]
	s_waitcnt vmcnt(0) lgkmcnt(0)
	v_fmac_f32_e32 v126, v130, v131
	s_andn2_b64 exec, exec, s[10:11]
	s_cbranch_execnz .LBB124_1005
; %bb.1006:
	s_or_b64 exec, exec, s[10:11]
.LBB124_1007:
	s_or_b64 exec, exec, s[8:9]
	v_mov_b32_e32 v127, 0
	ds_read_b32 v127, v127 offset:168
	s_waitcnt lgkmcnt(0)
	v_mul_f32_e32 v126, v126, v127
	buffer_store_dword v126, off, s[0:3], 0 offset:168
.LBB124_1008:
	s_or_b64 exec, exec, s[6:7]
	buffer_load_dword v126, off, s[0:3], 0 offset:172
	v_cmp_gt_u32_e32 vcc, 43, v0
	s_waitcnt vmcnt(0)
	ds_write_b32 v124, v126
	s_waitcnt lgkmcnt(0)
	; wave barrier
	s_and_saveexec_b64 s[6:7], vcc
	s_cbranch_execz .LBB124_1018
; %bb.1009:
	s_and_b64 vcc, exec, s[4:5]
	s_cbranch_vccnz .LBB124_1011
; %bb.1010:
	buffer_load_dword v126, v125, s[0:3], 0 offen
	ds_read_b32 v127, v124
	s_waitcnt vmcnt(0) lgkmcnt(0)
	v_mul_f32_e32 v126, v126, v127
	s_cbranch_execz .LBB124_1012
	s_branch .LBB124_1013
.LBB124_1011:
                                        ; implicit-def: $vgpr126
.LBB124_1012:
	ds_read_b32 v126, v124
.LBB124_1013:
	v_cmp_ne_u32_e32 vcc, 42, v0
	s_and_saveexec_b64 s[8:9], vcc
	s_cbranch_execz .LBB124_1017
; %bb.1014:
	s_mov_b32 s10, 0
	v_add_u32_e32 v127, 0x104, v123
	v_add3_u32 v128, v123, s10, 4
	s_mov_b64 s[10:11], 0
	v_mov_b32_e32 v129, v0
.LBB124_1015:                           ; =>This Inner Loop Header: Depth=1
	buffer_load_dword v130, v128, s[0:3], 0 offen
	ds_read_b32 v131, v127
	v_add_u32_e32 v129, 1, v129
	v_cmp_lt_u32_e32 vcc, 41, v129
	v_add_u32_e32 v127, 4, v127
	v_add_u32_e32 v128, 4, v128
	s_or_b64 s[10:11], vcc, s[10:11]
	s_waitcnt vmcnt(0) lgkmcnt(0)
	v_fmac_f32_e32 v126, v130, v131
	s_andn2_b64 exec, exec, s[10:11]
	s_cbranch_execnz .LBB124_1015
; %bb.1016:
	s_or_b64 exec, exec, s[10:11]
.LBB124_1017:
	s_or_b64 exec, exec, s[8:9]
	v_mov_b32_e32 v127, 0
	ds_read_b32 v127, v127 offset:172
	s_waitcnt lgkmcnt(0)
	v_mul_f32_e32 v126, v126, v127
	buffer_store_dword v126, off, s[0:3], 0 offset:172
.LBB124_1018:
	;; [unrolled: 55-line block ×17, first 2 shown]
	s_or_b64 exec, exec, s[6:7]
	buffer_load_dword v126, off, s[0:3], 0 offset:236
	v_cmp_gt_u32_e64 s[6:7], 59, v0
	s_waitcnt vmcnt(0)
	ds_write_b32 v124, v126
	s_waitcnt lgkmcnt(0)
	; wave barrier
	s_and_saveexec_b64 s[8:9], s[6:7]
	s_cbranch_execz .LBB124_1178
; %bb.1169:
	s_and_b64 vcc, exec, s[4:5]
	s_cbranch_vccnz .LBB124_1171
; %bb.1170:
	buffer_load_dword v126, v125, s[0:3], 0 offen
	ds_read_b32 v127, v124
	s_waitcnt vmcnt(0) lgkmcnt(0)
	v_mul_f32_e32 v126, v126, v127
	s_cbranch_execz .LBB124_1172
	s_branch .LBB124_1173
.LBB124_1171:
                                        ; implicit-def: $vgpr126
.LBB124_1172:
	ds_read_b32 v126, v124
.LBB124_1173:
	v_cmp_ne_u32_e32 vcc, 58, v0
	s_and_saveexec_b64 s[10:11], vcc
	s_cbranch_execz .LBB124_1177
; %bb.1174:
	s_mov_b32 s12, 0
	v_add_u32_e32 v127, 0x104, v123
	v_add3_u32 v128, v123, s12, 4
	s_mov_b64 s[12:13], 0
	v_mov_b32_e32 v129, v0
.LBB124_1175:                           ; =>This Inner Loop Header: Depth=1
	buffer_load_dword v130, v128, s[0:3], 0 offen
	ds_read_b32 v131, v127
	v_add_u32_e32 v129, 1, v129
	v_cmp_lt_u32_e32 vcc, 57, v129
	v_add_u32_e32 v127, 4, v127
	v_add_u32_e32 v128, 4, v128
	s_or_b64 s[12:13], vcc, s[12:13]
	s_waitcnt vmcnt(0) lgkmcnt(0)
	v_fmac_f32_e32 v126, v130, v131
	s_andn2_b64 exec, exec, s[12:13]
	s_cbranch_execnz .LBB124_1175
; %bb.1176:
	s_or_b64 exec, exec, s[12:13]
.LBB124_1177:
	s_or_b64 exec, exec, s[10:11]
	v_mov_b32_e32 v127, 0
	ds_read_b32 v127, v127 offset:236
	s_waitcnt lgkmcnt(0)
	v_mul_f32_e32 v126, v126, v127
	buffer_store_dword v126, off, s[0:3], 0 offset:236
.LBB124_1178:
	s_or_b64 exec, exec, s[8:9]
	buffer_load_dword v126, off, s[0:3], 0 offset:240
	v_cmp_ne_u32_e32 vcc, 60, v0
	s_waitcnt vmcnt(0)
	ds_write_b32 v124, v126
	s_waitcnt lgkmcnt(0)
	; wave barrier
	s_and_saveexec_b64 s[8:9], vcc
	s_cbranch_execz .LBB124_1188
; %bb.1179:
	s_and_b64 vcc, exec, s[4:5]
	s_cbranch_vccnz .LBB124_1181
; %bb.1180:
	buffer_load_dword v125, v125, s[0:3], 0 offen
	ds_read_b32 v126, v124
	s_waitcnt vmcnt(0) lgkmcnt(0)
	v_mul_f32_e32 v125, v125, v126
	s_cbranch_execz .LBB124_1182
	s_branch .LBB124_1183
.LBB124_1181:
                                        ; implicit-def: $vgpr125
.LBB124_1182:
	ds_read_b32 v125, v124
.LBB124_1183:
	s_and_saveexec_b64 s[4:5], s[6:7]
	s_cbranch_execz .LBB124_1187
; %bb.1184:
	s_mov_b32 s6, 0
	v_add_u32_e32 v124, 0x104, v123
	v_add3_u32 v123, v123, s6, 4
	s_mov_b64 s[6:7], 0
.LBB124_1185:                           ; =>This Inner Loop Header: Depth=1
	buffer_load_dword v126, v123, s[0:3], 0 offen
	ds_read_b32 v127, v124
	v_add_u32_e32 v0, 1, v0
	v_cmp_lt_u32_e32 vcc, 58, v0
	v_add_u32_e32 v124, 4, v124
	v_add_u32_e32 v123, 4, v123
	s_or_b64 s[6:7], vcc, s[6:7]
	s_waitcnt vmcnt(0) lgkmcnt(0)
	v_fmac_f32_e32 v125, v126, v127
	s_andn2_b64 exec, exec, s[6:7]
	s_cbranch_execnz .LBB124_1185
; %bb.1186:
	s_or_b64 exec, exec, s[6:7]
.LBB124_1187:
	s_or_b64 exec, exec, s[4:5]
	v_mov_b32_e32 v0, 0
	ds_read_b32 v0, v0 offset:240
	s_waitcnt lgkmcnt(0)
	v_mul_f32_e32 v0, v125, v0
	buffer_store_dword v0, off, s[0:3], 0 offset:240
.LBB124_1188:
	s_or_b64 exec, exec, s[8:9]
.LBB124_1189:
	buffer_load_dword v0, off, s[0:3], 0
	s_waitcnt vmcnt(0)
	flat_store_dword v[1:2], v0
	buffer_load_dword v0, off, s[0:3], 0 offset:4
	s_waitcnt vmcnt(0)
	flat_store_dword v[3:4], v0
	buffer_load_dword v0, off, s[0:3], 0 offset:8
	;; [unrolled: 3-line block ×60, first 2 shown]
	s_waitcnt vmcnt(0)
	flat_store_dword v[121:122], v0
.LBB124_1190:
	s_endpgm
	.section	.rodata,"a",@progbits
	.p2align	6, 0x0
	.amdhsa_kernel _ZN9rocsolver6v33100L18trti2_kernel_smallILi61EfPKPfEEv13rocblas_fill_17rocblas_diagonal_T1_iil
		.amdhsa_group_segment_fixed_size 500
		.amdhsa_private_segment_fixed_size 256
		.amdhsa_kernarg_size 32
		.amdhsa_user_sgpr_count 6
		.amdhsa_user_sgpr_private_segment_buffer 1
		.amdhsa_user_sgpr_dispatch_ptr 0
		.amdhsa_user_sgpr_queue_ptr 0
		.amdhsa_user_sgpr_kernarg_segment_ptr 1
		.amdhsa_user_sgpr_dispatch_id 0
		.amdhsa_user_sgpr_flat_scratch_init 0
		.amdhsa_user_sgpr_private_segment_size 0
		.amdhsa_uses_dynamic_stack 0
		.amdhsa_system_sgpr_private_segment_wavefront_offset 1
		.amdhsa_system_sgpr_workgroup_id_x 1
		.amdhsa_system_sgpr_workgroup_id_y 0
		.amdhsa_system_sgpr_workgroup_id_z 0
		.amdhsa_system_sgpr_workgroup_info 0
		.amdhsa_system_vgpr_workitem_id 0
		.amdhsa_next_free_vgpr 132
		.amdhsa_next_free_sgpr 74
		.amdhsa_reserve_vcc 1
		.amdhsa_reserve_flat_scratch 0
		.amdhsa_float_round_mode_32 0
		.amdhsa_float_round_mode_16_64 0
		.amdhsa_float_denorm_mode_32 3
		.amdhsa_float_denorm_mode_16_64 3
		.amdhsa_dx10_clamp 1
		.amdhsa_ieee_mode 1
		.amdhsa_fp16_overflow 0
		.amdhsa_exception_fp_ieee_invalid_op 0
		.amdhsa_exception_fp_denorm_src 0
		.amdhsa_exception_fp_ieee_div_zero 0
		.amdhsa_exception_fp_ieee_overflow 0
		.amdhsa_exception_fp_ieee_underflow 0
		.amdhsa_exception_fp_ieee_inexact 0
		.amdhsa_exception_int_div_zero 0
	.end_amdhsa_kernel
	.section	.text._ZN9rocsolver6v33100L18trti2_kernel_smallILi61EfPKPfEEv13rocblas_fill_17rocblas_diagonal_T1_iil,"axG",@progbits,_ZN9rocsolver6v33100L18trti2_kernel_smallILi61EfPKPfEEv13rocblas_fill_17rocblas_diagonal_T1_iil,comdat
.Lfunc_end124:
	.size	_ZN9rocsolver6v33100L18trti2_kernel_smallILi61EfPKPfEEv13rocblas_fill_17rocblas_diagonal_T1_iil, .Lfunc_end124-_ZN9rocsolver6v33100L18trti2_kernel_smallILi61EfPKPfEEv13rocblas_fill_17rocblas_diagonal_T1_iil
                                        ; -- End function
	.set _ZN9rocsolver6v33100L18trti2_kernel_smallILi61EfPKPfEEv13rocblas_fill_17rocblas_diagonal_T1_iil.num_vgpr, 132
	.set _ZN9rocsolver6v33100L18trti2_kernel_smallILi61EfPKPfEEv13rocblas_fill_17rocblas_diagonal_T1_iil.num_agpr, 0
	.set _ZN9rocsolver6v33100L18trti2_kernel_smallILi61EfPKPfEEv13rocblas_fill_17rocblas_diagonal_T1_iil.numbered_sgpr, 74
	.set _ZN9rocsolver6v33100L18trti2_kernel_smallILi61EfPKPfEEv13rocblas_fill_17rocblas_diagonal_T1_iil.num_named_barrier, 0
	.set _ZN9rocsolver6v33100L18trti2_kernel_smallILi61EfPKPfEEv13rocblas_fill_17rocblas_diagonal_T1_iil.private_seg_size, 256
	.set _ZN9rocsolver6v33100L18trti2_kernel_smallILi61EfPKPfEEv13rocblas_fill_17rocblas_diagonal_T1_iil.uses_vcc, 1
	.set _ZN9rocsolver6v33100L18trti2_kernel_smallILi61EfPKPfEEv13rocblas_fill_17rocblas_diagonal_T1_iil.uses_flat_scratch, 0
	.set _ZN9rocsolver6v33100L18trti2_kernel_smallILi61EfPKPfEEv13rocblas_fill_17rocblas_diagonal_T1_iil.has_dyn_sized_stack, 0
	.set _ZN9rocsolver6v33100L18trti2_kernel_smallILi61EfPKPfEEv13rocblas_fill_17rocblas_diagonal_T1_iil.has_recursion, 0
	.set _ZN9rocsolver6v33100L18trti2_kernel_smallILi61EfPKPfEEv13rocblas_fill_17rocblas_diagonal_T1_iil.has_indirect_call, 0
	.section	.AMDGPU.csdata,"",@progbits
; Kernel info:
; codeLenInByte = 29744
; TotalNumSgprs: 78
; NumVgprs: 132
; ScratchSize: 256
; MemoryBound: 0
; FloatMode: 240
; IeeeMode: 1
; LDSByteSize: 500 bytes/workgroup (compile time only)
; SGPRBlocks: 9
; VGPRBlocks: 32
; NumSGPRsForWavesPerEU: 78
; NumVGPRsForWavesPerEU: 132
; Occupancy: 1
; WaveLimiterHint : 1
; COMPUTE_PGM_RSRC2:SCRATCH_EN: 1
; COMPUTE_PGM_RSRC2:USER_SGPR: 6
; COMPUTE_PGM_RSRC2:TRAP_HANDLER: 0
; COMPUTE_PGM_RSRC2:TGID_X_EN: 1
; COMPUTE_PGM_RSRC2:TGID_Y_EN: 0
; COMPUTE_PGM_RSRC2:TGID_Z_EN: 0
; COMPUTE_PGM_RSRC2:TIDIG_COMP_CNT: 0
	.section	.text._ZN9rocsolver6v33100L18trti2_kernel_smallILi62EfPKPfEEv13rocblas_fill_17rocblas_diagonal_T1_iil,"axG",@progbits,_ZN9rocsolver6v33100L18trti2_kernel_smallILi62EfPKPfEEv13rocblas_fill_17rocblas_diagonal_T1_iil,comdat
	.globl	_ZN9rocsolver6v33100L18trti2_kernel_smallILi62EfPKPfEEv13rocblas_fill_17rocblas_diagonal_T1_iil ; -- Begin function _ZN9rocsolver6v33100L18trti2_kernel_smallILi62EfPKPfEEv13rocblas_fill_17rocblas_diagonal_T1_iil
	.p2align	8
	.type	_ZN9rocsolver6v33100L18trti2_kernel_smallILi62EfPKPfEEv13rocblas_fill_17rocblas_diagonal_T1_iil,@function
_ZN9rocsolver6v33100L18trti2_kernel_smallILi62EfPKPfEEv13rocblas_fill_17rocblas_diagonal_T1_iil: ; @_ZN9rocsolver6v33100L18trti2_kernel_smallILi62EfPKPfEEv13rocblas_fill_17rocblas_diagonal_T1_iil
; %bb.0:
	s_add_u32 s0, s0, s7
	s_addc_u32 s1, s1, 0
	v_cmp_gt_u32_e32 vcc, 62, v0
	s_and_saveexec_b64 s[8:9], vcc
	s_cbranch_execz .LBB125_1210
; %bb.1:
	s_load_dwordx2 s[12:13], s[4:5], 0x10
	s_load_dwordx4 s[8:11], s[4:5], 0x0
	s_ashr_i32 s7, s6, 31
	s_lshl_b64 s[6:7], s[6:7], 3
	v_lshlrev_b32_e32 v125, 2, v0
	s_waitcnt lgkmcnt(0)
	s_ashr_i32 s5, s12, 31
	s_add_u32 s6, s10, s6
	s_addc_u32 s7, s11, s7
	s_load_dwordx2 s[6:7], s[6:7], 0x0
	s_mov_b32 s4, s12
	s_lshl_b64 s[4:5], s[4:5], 2
	s_movk_i32 s12, 0x84
	s_waitcnt lgkmcnt(0)
	s_add_u32 s4, s6, s4
	s_addc_u32 s5, s7, s5
	v_mov_b32_e32 v2, s5
	v_add_co_u32_e32 v1, vcc, s4, v125
	v_addc_co_u32_e32 v2, vcc, 0, v2, vcc
	flat_load_dword v5, v[1:2]
	s_mov_b32 s6, s13
	s_ashr_i32 s7, s13, 31
	s_lshl_b64 s[6:7], s[6:7], 2
	v_mov_b32_e32 v4, s7
	v_add_co_u32_e32 v3, vcc, s6, v1
	v_addc_co_u32_e32 v4, vcc, v2, v4, vcc
	s_add_i32 s6, s13, s13
	v_add_u32_e32 v7, s6, v0
	v_ashrrev_i32_e32 v8, 31, v7
	v_mov_b32_e32 v10, s5
	v_mov_b32_e32 v12, s5
	;; [unrolled: 1-line block ×59, first 2 shown]
	s_cmpk_lg_i32 s9, 0x84
	s_cselect_b64 s[10:11], -1, 0
	s_cmpk_eq_i32 s9, 0x84
	s_waitcnt vmcnt(0) lgkmcnt(0)
	buffer_store_dword v5, off, s[0:3], 0
	flat_load_dword v9, v[3:4]
	v_lshlrev_b64 v[5:6], 2, v[7:8]
	v_add_co_u32_e32 v5, vcc, s4, v5
	v_addc_co_u32_e32 v6, vcc, v10, v6, vcc
	s_waitcnt vmcnt(0) lgkmcnt(0)
	buffer_store_dword v9, off, s[0:3], 0 offset:4
	flat_load_dword v11, v[5:6]
	v_add_u32_e32 v9, s13, v7
	v_ashrrev_i32_e32 v10, 31, v9
	v_lshlrev_b64 v[7:8], 2, v[9:10]
	v_add_co_u32_e32 v7, vcc, s4, v7
	v_addc_co_u32_e32 v8, vcc, v12, v8, vcc
	s_waitcnt vmcnt(0) lgkmcnt(0)
	buffer_store_dword v11, off, s[0:3], 0 offset:8
	flat_load_dword v13, v[7:8]
	v_add_u32_e32 v11, s13, v9
	v_ashrrev_i32_e32 v12, 31, v11
	;; [unrolled: 8-line block ×58, first 2 shown]
	v_lshlrev_b64 v[121:122], 2, v[123:124]
	v_add_u32_e32 v123, s13, v123
	v_add_co_u32_e32 v121, vcc, s4, v121
	v_addc_co_u32_e32 v122, vcc, v127, v122, vcc
	v_ashrrev_i32_e32 v124, 31, v123
	v_lshlrev_b64 v[123:124], 2, v[123:124]
	v_add_co_u32_e32 v123, vcc, s4, v123
	v_addc_co_u32_e32 v124, vcc, v127, v124, vcc
	s_waitcnt vmcnt(0) lgkmcnt(0)
	buffer_store_dword v126, off, s[0:3], 0 offset:236
	flat_load_dword v126, v[121:122]
	s_waitcnt vmcnt(0) lgkmcnt(0)
	buffer_store_dword v126, off, s[0:3], 0 offset:240
	flat_load_dword v126, v[123:124]
	s_waitcnt vmcnt(0) lgkmcnt(0)
	buffer_store_dword v126, off, s[0:3], 0 offset:244
	v_mov_b32_e32 v126, -1.0
	s_cbranch_scc1 .LBB125_3
; %bb.2:
	v_mov_b32_e32 v126, 0
	v_lshl_add_u32 v126, v0, 2, v126
	buffer_load_dword v127, v126, s[0:3], 0 offen
	s_waitcnt vmcnt(0)
	v_div_scale_f32 v128, s[4:5], v127, v127, 1.0
	v_div_scale_f32 v129, vcc, 1.0, v127, 1.0
	v_rcp_f32_e32 v130, v128
	v_fma_f32 v131, -v128, v130, 1.0
	v_fmac_f32_e32 v130, v131, v130
	v_mul_f32_e32 v131, v129, v130
	v_fma_f32 v132, -v128, v131, v129
	v_fmac_f32_e32 v131, v132, v130
	v_fma_f32 v128, -v128, v131, v129
	v_div_fmas_f32 v128, v128, v130, v131
	v_div_fixup_f32 v127, v128, v127, 1.0
	buffer_store_dword v127, v126, s[0:3], 0 offen
	v_xor_b32_e32 v126, 0x80000000, v127
.LBB125_3:
	ds_write_b32 v125, v126
	s_cmpk_eq_i32 s8, 0x79
	v_or_b32_e32 v126, 0x100, v125
	v_mov_b32_e32 v127, v125
	s_mov_b64 s[4:5], -1
	s_cbranch_scc1 .LBB125_607
; %bb.4:
	buffer_load_dword v128, off, s[0:3], 0 offset:240
	s_movk_i32 s30, 0x44
	s_movk_i32 s31, 0x48
	;; [unrolled: 1-line block ×42, first 2 shown]
	v_cmp_eq_u32_e64 s[4:5], 61, v0
	s_waitcnt vmcnt(0)
	ds_write_b32 v126, v128
	s_waitcnt lgkmcnt(0)
	; wave barrier
	s_and_saveexec_b64 s[6:7], s[4:5]
	s_cbranch_execz .LBB125_10
; %bb.5:
	s_and_b64 vcc, exec, s[10:11]
	s_cbranch_vccz .LBB125_7
; %bb.6:
	buffer_load_dword v128, v127, s[0:3], 0 offen
	ds_read_b32 v129, v126
	s_waitcnt vmcnt(0) lgkmcnt(0)
	v_mul_f32_e32 v128, v128, v129
	s_cbranch_execz .LBB125_8
	s_branch .LBB125_9
.LBB125_7:
                                        ; implicit-def: $vgpr128
.LBB125_8:
	ds_read_b32 v128, v126
.LBB125_9:
	v_mov_b32_e32 v129, 0
	ds_read_b32 v129, v129 offset:240
	s_waitcnt lgkmcnt(0)
	v_mul_f32_e32 v128, v128, v129
	buffer_store_dword v128, off, s[0:3], 0 offset:240
.LBB125_10:
	s_or_b64 exec, exec, s[6:7]
	buffer_load_dword v128, off, s[0:3], 0 offset:236
	s_or_b32 s14, 0, 4
	s_or_b32 s15, 0, 8
	;; [unrolled: 1-line block ×3, first 2 shown]
	s_mov_b32 s17, 16
	s_mov_b32 s18, 20
	;; [unrolled: 1-line block ×15, first 2 shown]
	v_cmp_lt_u32_e64 s[6:7], 59, v0
	s_waitcnt vmcnt(0)
	ds_write_b32 v126, v128
	s_waitcnt lgkmcnt(0)
	; wave barrier
	s_and_saveexec_b64 s[8:9], s[6:7]
	s_cbranch_execz .LBB125_16
; %bb.11:
	s_andn2_b64 vcc, exec, s[10:11]
	s_cbranch_vccnz .LBB125_13
; %bb.12:
	buffer_load_dword v128, v127, s[0:3], 0 offen
	ds_read_b32 v129, v126
	s_waitcnt vmcnt(0) lgkmcnt(0)
	v_mul_f32_e32 v128, v128, v129
	s_cbranch_execz .LBB125_14
	s_branch .LBB125_15
.LBB125_13:
                                        ; implicit-def: $vgpr128
.LBB125_14:
	ds_read_b32 v128, v126
.LBB125_15:
	buffer_load_dword v131, off, s[0:3], 0 offset:240
	v_mov_b32_e32 v129, 0
	ds_read2_b32 v[129:130], v129 offset0:59 offset1:124
	s_waitcnt vmcnt(0) lgkmcnt(0)
	v_fma_f32 v130, v131, v130, v128
	v_cndmask_b32_e64 v128, v128, v130, s[4:5]
	v_mul_f32_e32 v128, v128, v129
	buffer_store_dword v128, off, s[0:3], 0 offset:236
.LBB125_16:
	s_or_b64 exec, exec, s[8:9]
	buffer_load_dword v128, off, s[0:3], 0 offset:232
	v_cmp_lt_u32_e64 s[4:5], 58, v0
	s_waitcnt vmcnt(0)
	ds_write_b32 v126, v128
	s_waitcnt lgkmcnt(0)
	; wave barrier
	s_and_saveexec_b64 s[8:9], s[4:5]
	s_cbranch_execz .LBB125_26
; %bb.17:
	s_andn2_b64 vcc, exec, s[10:11]
	s_cbranch_vccnz .LBB125_19
; %bb.18:
	buffer_load_dword v128, v127, s[0:3], 0 offen
	ds_read_b32 v129, v126
	s_waitcnt vmcnt(0) lgkmcnt(0)
	v_mul_f32_e32 v128, v128, v129
	s_cbranch_execz .LBB125_20
	s_branch .LBB125_21
.LBB125_19:
                                        ; implicit-def: $vgpr128
.LBB125_20:
	ds_read_b32 v128, v126
.LBB125_21:
	s_and_saveexec_b64 s[12:13], s[6:7]
	s_cbranch_execz .LBB125_25
; %bb.22:
	v_subrev_u32_e32 v129, 59, v0
	s_movk_i32 s74, 0x1ec
	s_mov_b64 s[6:7], 0
.LBB125_23:                             ; =>This Inner Loop Header: Depth=1
	v_mov_b32_e32 v130, s73
	buffer_load_dword v130, v130, s[0:3], 0 offen
	v_mov_b32_e32 v131, s74
	ds_read_b32 v131, v131
	v_add_u32_e32 v129, -1, v129
	s_add_i32 s74, s74, 4
	s_add_i32 s73, s73, 4
	v_cmp_eq_u32_e32 vcc, 0, v129
	s_or_b64 s[6:7], vcc, s[6:7]
	s_waitcnt vmcnt(0) lgkmcnt(0)
	v_fmac_f32_e32 v128, v130, v131
	s_andn2_b64 exec, exec, s[6:7]
	s_cbranch_execnz .LBB125_23
; %bb.24:
	s_or_b64 exec, exec, s[6:7]
.LBB125_25:
	s_or_b64 exec, exec, s[12:13]
	v_mov_b32_e32 v129, 0
	ds_read_b32 v129, v129 offset:232
	s_waitcnt lgkmcnt(0)
	v_mul_f32_e32 v128, v128, v129
	buffer_store_dword v128, off, s[0:3], 0 offset:232
.LBB125_26:
	s_or_b64 exec, exec, s[8:9]
	buffer_load_dword v128, off, s[0:3], 0 offset:228
	v_cmp_lt_u32_e64 s[6:7], 57, v0
	s_waitcnt vmcnt(0)
	ds_write_b32 v126, v128
	s_waitcnt lgkmcnt(0)
	; wave barrier
	s_and_saveexec_b64 s[8:9], s[6:7]
	s_cbranch_execz .LBB125_36
; %bb.27:
	s_andn2_b64 vcc, exec, s[10:11]
	s_cbranch_vccnz .LBB125_29
; %bb.28:
	buffer_load_dword v128, v127, s[0:3], 0 offen
	ds_read_b32 v129, v126
	s_waitcnt vmcnt(0) lgkmcnt(0)
	v_mul_f32_e32 v128, v128, v129
	s_cbranch_execz .LBB125_30
	s_branch .LBB125_31
.LBB125_29:
                                        ; implicit-def: $vgpr128
.LBB125_30:
	ds_read_b32 v128, v126
.LBB125_31:
	s_and_saveexec_b64 s[12:13], s[4:5]
	s_cbranch_execz .LBB125_35
; %bb.32:
	v_subrev_u32_e32 v129, 58, v0
	s_movk_i32 s73, 0x1e8
	s_mov_b64 s[4:5], 0
.LBB125_33:                             ; =>This Inner Loop Header: Depth=1
	v_mov_b32_e32 v130, s72
	buffer_load_dword v130, v130, s[0:3], 0 offen
	v_mov_b32_e32 v131, s73
	ds_read_b32 v131, v131
	v_add_u32_e32 v129, -1, v129
	s_add_i32 s73, s73, 4
	s_add_i32 s72, s72, 4
	v_cmp_eq_u32_e32 vcc, 0, v129
	s_or_b64 s[4:5], vcc, s[4:5]
	s_waitcnt vmcnt(0) lgkmcnt(0)
	v_fmac_f32_e32 v128, v130, v131
	s_andn2_b64 exec, exec, s[4:5]
	s_cbranch_execnz .LBB125_33
; %bb.34:
	s_or_b64 exec, exec, s[4:5]
.LBB125_35:
	s_or_b64 exec, exec, s[12:13]
	v_mov_b32_e32 v129, 0
	ds_read_b32 v129, v129 offset:228
	s_waitcnt lgkmcnt(0)
	v_mul_f32_e32 v128, v128, v129
	buffer_store_dword v128, off, s[0:3], 0 offset:228
.LBB125_36:
	;; [unrolled: 54-line block ×8, first 2 shown]
	s_or_b64 exec, exec, s[8:9]
	buffer_load_dword v128, off, s[0:3], 0 offset:200
	v_cmp_lt_u32_e64 s[4:5], 50, v0
	s_waitcnt vmcnt(0)
	ds_write_b32 v126, v128
	s_waitcnt lgkmcnt(0)
	; wave barrier
	s_and_saveexec_b64 s[8:9], s[4:5]
	s_cbranch_execz .LBB125_106
; %bb.97:
	s_andn2_b64 vcc, exec, s[10:11]
	s_cbranch_vccnz .LBB125_99
; %bb.98:
	buffer_load_dword v128, v127, s[0:3], 0 offen
	ds_read_b32 v129, v126
	s_waitcnt vmcnt(0) lgkmcnt(0)
	v_mul_f32_e32 v128, v128, v129
	s_cbranch_execz .LBB125_100
	s_branch .LBB125_101
.LBB125_99:
                                        ; implicit-def: $vgpr128
.LBB125_100:
	ds_read_b32 v128, v126
.LBB125_101:
	s_and_saveexec_b64 s[12:13], s[6:7]
	s_cbranch_execz .LBB125_105
; %bb.102:
	v_subrev_u32_e32 v129, 51, v0
	s_movk_i32 s66, 0x1cc
	s_mov_b64 s[6:7], 0
.LBB125_103:                            ; =>This Inner Loop Header: Depth=1
	v_mov_b32_e32 v130, s65
	buffer_load_dword v130, v130, s[0:3], 0 offen
	v_mov_b32_e32 v131, s66
	ds_read_b32 v131, v131
	v_add_u32_e32 v129, -1, v129
	s_add_i32 s66, s66, 4
	s_add_i32 s65, s65, 4
	v_cmp_eq_u32_e32 vcc, 0, v129
	s_or_b64 s[6:7], vcc, s[6:7]
	s_waitcnt vmcnt(0) lgkmcnt(0)
	v_fmac_f32_e32 v128, v130, v131
	s_andn2_b64 exec, exec, s[6:7]
	s_cbranch_execnz .LBB125_103
; %bb.104:
	s_or_b64 exec, exec, s[6:7]
.LBB125_105:
	s_or_b64 exec, exec, s[12:13]
	v_mov_b32_e32 v129, 0
	ds_read_b32 v129, v129 offset:200
	s_waitcnt lgkmcnt(0)
	v_mul_f32_e32 v128, v128, v129
	buffer_store_dword v128, off, s[0:3], 0 offset:200
.LBB125_106:
	s_or_b64 exec, exec, s[8:9]
	buffer_load_dword v128, off, s[0:3], 0 offset:196
	v_cmp_lt_u32_e64 s[6:7], 49, v0
	s_waitcnt vmcnt(0)
	ds_write_b32 v126, v128
	s_waitcnt lgkmcnt(0)
	; wave barrier
	s_and_saveexec_b64 s[8:9], s[6:7]
	s_cbranch_execz .LBB125_116
; %bb.107:
	s_andn2_b64 vcc, exec, s[10:11]
	s_cbranch_vccnz .LBB125_109
; %bb.108:
	buffer_load_dword v128, v127, s[0:3], 0 offen
	ds_read_b32 v129, v126
	s_waitcnt vmcnt(0) lgkmcnt(0)
	v_mul_f32_e32 v128, v128, v129
	s_cbranch_execz .LBB125_110
	s_branch .LBB125_111
.LBB125_109:
                                        ; implicit-def: $vgpr128
.LBB125_110:
	ds_read_b32 v128, v126
.LBB125_111:
	s_and_saveexec_b64 s[12:13], s[4:5]
	s_cbranch_execz .LBB125_115
; %bb.112:
	v_subrev_u32_e32 v129, 50, v0
	s_movk_i32 s65, 0x1c8
	s_mov_b64 s[4:5], 0
.LBB125_113:                            ; =>This Inner Loop Header: Depth=1
	v_mov_b32_e32 v130, s64
	buffer_load_dword v130, v130, s[0:3], 0 offen
	v_mov_b32_e32 v131, s65
	ds_read_b32 v131, v131
	v_add_u32_e32 v129, -1, v129
	s_add_i32 s65, s65, 4
	s_add_i32 s64, s64, 4
	v_cmp_eq_u32_e32 vcc, 0, v129
	s_or_b64 s[4:5], vcc, s[4:5]
	s_waitcnt vmcnt(0) lgkmcnt(0)
	v_fmac_f32_e32 v128, v130, v131
	s_andn2_b64 exec, exec, s[4:5]
	s_cbranch_execnz .LBB125_113
; %bb.114:
	s_or_b64 exec, exec, s[4:5]
.LBB125_115:
	s_or_b64 exec, exec, s[12:13]
	v_mov_b32_e32 v129, 0
	ds_read_b32 v129, v129 offset:196
	s_waitcnt lgkmcnt(0)
	v_mul_f32_e32 v128, v128, v129
	buffer_store_dword v128, off, s[0:3], 0 offset:196
.LBB125_116:
	;; [unrolled: 54-line block ×35, first 2 shown]
	s_or_b64 exec, exec, s[8:9]
	buffer_load_dword v128, off, s[0:3], 0 offset:60
	v_cmp_lt_u32_e64 s[6:7], 15, v0
	s_waitcnt vmcnt(0)
	ds_write_b32 v126, v128
	s_waitcnt lgkmcnt(0)
	; wave barrier
	s_and_saveexec_b64 s[8:9], s[6:7]
	s_cbranch_execz .LBB125_456
; %bb.447:
	s_andn2_b64 vcc, exec, s[10:11]
	s_cbranch_vccnz .LBB125_449
; %bb.448:
	buffer_load_dword v128, v127, s[0:3], 0 offen
	ds_read_b32 v129, v126
	s_waitcnt vmcnt(0) lgkmcnt(0)
	v_mul_f32_e32 v128, v128, v129
	s_cbranch_execz .LBB125_450
	s_branch .LBB125_451
.LBB125_449:
                                        ; implicit-def: $vgpr128
.LBB125_450:
	ds_read_b32 v128, v126
.LBB125_451:
	s_and_saveexec_b64 s[12:13], s[4:5]
	s_cbranch_execz .LBB125_455
; %bb.452:
	v_add_u32_e32 v129, -16, v0
	s_movk_i32 s30, 0x140
	s_mov_b64 s[4:5], 0
.LBB125_453:                            ; =>This Inner Loop Header: Depth=1
	v_mov_b32_e32 v130, s29
	buffer_load_dword v130, v130, s[0:3], 0 offen
	v_mov_b32_e32 v131, s30
	ds_read_b32 v131, v131
	v_add_u32_e32 v129, -1, v129
	s_add_i32 s30, s30, 4
	s_add_i32 s29, s29, 4
	v_cmp_eq_u32_e32 vcc, 0, v129
	s_or_b64 s[4:5], vcc, s[4:5]
	s_waitcnt vmcnt(0) lgkmcnt(0)
	v_fmac_f32_e32 v128, v130, v131
	s_andn2_b64 exec, exec, s[4:5]
	s_cbranch_execnz .LBB125_453
; %bb.454:
	s_or_b64 exec, exec, s[4:5]
.LBB125_455:
	s_or_b64 exec, exec, s[12:13]
	v_mov_b32_e32 v129, 0
	ds_read_b32 v129, v129 offset:60
	s_waitcnt lgkmcnt(0)
	v_mul_f32_e32 v128, v128, v129
	buffer_store_dword v128, off, s[0:3], 0 offset:60
.LBB125_456:
	s_or_b64 exec, exec, s[8:9]
	buffer_load_dword v128, off, s[0:3], 0 offset:56
	v_cmp_lt_u32_e64 s[4:5], 14, v0
	s_waitcnt vmcnt(0)
	ds_write_b32 v126, v128
	s_waitcnt lgkmcnt(0)
	; wave barrier
	s_and_saveexec_b64 s[8:9], s[4:5]
	s_cbranch_execz .LBB125_466
; %bb.457:
	s_andn2_b64 vcc, exec, s[10:11]
	s_cbranch_vccnz .LBB125_459
; %bb.458:
	buffer_load_dword v128, v127, s[0:3], 0 offen
	ds_read_b32 v129, v126
	s_waitcnt vmcnt(0) lgkmcnt(0)
	v_mul_f32_e32 v128, v128, v129
	s_cbranch_execz .LBB125_460
	s_branch .LBB125_461
.LBB125_459:
                                        ; implicit-def: $vgpr128
.LBB125_460:
	ds_read_b32 v128, v126
.LBB125_461:
	s_and_saveexec_b64 s[12:13], s[6:7]
	s_cbranch_execz .LBB125_465
; %bb.462:
	v_add_u32_e32 v129, -15, v0
	s_movk_i32 s29, 0x13c
	s_mov_b64 s[6:7], 0
.LBB125_463:                            ; =>This Inner Loop Header: Depth=1
	v_mov_b32_e32 v130, s28
	buffer_load_dword v130, v130, s[0:3], 0 offen
	v_mov_b32_e32 v131, s29
	ds_read_b32 v131, v131
	v_add_u32_e32 v129, -1, v129
	s_add_i32 s29, s29, 4
	s_add_i32 s28, s28, 4
	v_cmp_eq_u32_e32 vcc, 0, v129
	s_or_b64 s[6:7], vcc, s[6:7]
	s_waitcnt vmcnt(0) lgkmcnt(0)
	v_fmac_f32_e32 v128, v130, v131
	s_andn2_b64 exec, exec, s[6:7]
	s_cbranch_execnz .LBB125_463
; %bb.464:
	s_or_b64 exec, exec, s[6:7]
.LBB125_465:
	s_or_b64 exec, exec, s[12:13]
	v_mov_b32_e32 v129, 0
	ds_read_b32 v129, v129 offset:56
	s_waitcnt lgkmcnt(0)
	v_mul_f32_e32 v128, v128, v129
	buffer_store_dword v128, off, s[0:3], 0 offset:56
.LBB125_466:
	;; [unrolled: 54-line block ×15, first 2 shown]
	s_or_b64 exec, exec, s[8:9]
	buffer_load_dword v128, off, s[0:3], 0
	v_cmp_ne_u32_e32 vcc, 0, v0
	s_waitcnt vmcnt(0)
	ds_write_b32 v126, v128
	s_waitcnt lgkmcnt(0)
	; wave barrier
	s_and_saveexec_b64 s[4:5], vcc
	s_cbranch_execz .LBB125_606
; %bb.597:
	s_andn2_b64 vcc, exec, s[10:11]
	s_cbranch_vccnz .LBB125_599
; %bb.598:
	buffer_load_dword v128, v127, s[0:3], 0 offen
	ds_read_b32 v129, v126
	s_waitcnt vmcnt(0) lgkmcnt(0)
	v_mul_f32_e32 v128, v128, v129
	s_cbranch_execz .LBB125_600
	s_branch .LBB125_601
.LBB125_599:
                                        ; implicit-def: $vgpr128
.LBB125_600:
	ds_read_b32 v128, v126
.LBB125_601:
	s_and_saveexec_b64 s[8:9], s[6:7]
	s_cbranch_execz .LBB125_605
; %bb.602:
	v_add_u32_e32 v129, -1, v0
	s_movk_i32 s12, 0x104
	s_mov_b64 s[6:7], 0
.LBB125_603:                            ; =>This Inner Loop Header: Depth=1
	v_mov_b32_e32 v130, s14
	buffer_load_dword v130, v130, s[0:3], 0 offen
	v_mov_b32_e32 v131, s12
	ds_read_b32 v131, v131
	v_add_u32_e32 v129, -1, v129
	s_add_i32 s12, s12, 4
	s_add_i32 s14, s14, 4
	v_cmp_eq_u32_e32 vcc, 0, v129
	s_or_b64 s[6:7], vcc, s[6:7]
	s_waitcnt vmcnt(0) lgkmcnt(0)
	v_fmac_f32_e32 v128, v130, v131
	s_andn2_b64 exec, exec, s[6:7]
	s_cbranch_execnz .LBB125_603
; %bb.604:
	s_or_b64 exec, exec, s[6:7]
.LBB125_605:
	s_or_b64 exec, exec, s[8:9]
	v_mov_b32_e32 v129, 0
	ds_read_b32 v129, v129
	s_waitcnt lgkmcnt(0)
	v_mul_f32_e32 v128, v128, v129
	buffer_store_dword v128, off, s[0:3], 0
.LBB125_606:
	s_or_b64 exec, exec, s[4:5]
	s_mov_b64 s[4:5], 0
.LBB125_607:
	s_and_b64 vcc, exec, s[4:5]
	s_cbranch_vccz .LBB125_1209
; %bb.608:
	buffer_load_dword v128, off, s[0:3], 0 offset:4
	v_cmp_eq_u32_e64 s[6:7], 0, v0
	s_waitcnt vmcnt(0)
	ds_write_b32 v126, v128
	s_waitcnt lgkmcnt(0)
	; wave barrier
	s_and_saveexec_b64 s[4:5], s[6:7]
	s_cbranch_execz .LBB125_614
; %bb.609:
	s_and_b64 vcc, exec, s[10:11]
	s_cbranch_vccz .LBB125_611
; %bb.610:
	buffer_load_dword v128, v127, s[0:3], 0 offen
	ds_read_b32 v129, v126
	s_waitcnt vmcnt(0) lgkmcnt(0)
	v_mul_f32_e32 v128, v128, v129
	s_cbranch_execz .LBB125_612
	s_branch .LBB125_613
.LBB125_611:
                                        ; implicit-def: $vgpr128
.LBB125_612:
	ds_read_b32 v128, v126
.LBB125_613:
	v_mov_b32_e32 v129, 0
	ds_read_b32 v129, v129 offset:4
	s_waitcnt lgkmcnt(0)
	v_mul_f32_e32 v128, v128, v129
	buffer_store_dword v128, off, s[0:3], 0 offset:4
.LBB125_614:
	s_or_b64 exec, exec, s[4:5]
	buffer_load_dword v128, off, s[0:3], 0 offset:8
	v_cndmask_b32_e64 v129, 0, 1, s[10:11]
	v_cmp_gt_u32_e32 vcc, 2, v0
	v_cmp_ne_u32_e64 s[4:5], 1, v129
	s_waitcnt vmcnt(0)
	ds_write_b32 v126, v128
	s_waitcnt lgkmcnt(0)
	; wave barrier
	s_and_saveexec_b64 s[8:9], vcc
	s_cbranch_execz .LBB125_620
; %bb.615:
	s_and_b64 vcc, exec, s[4:5]
	s_cbranch_vccnz .LBB125_617
; %bb.616:
	buffer_load_dword v128, v127, s[0:3], 0 offen
	ds_read_b32 v129, v126
	s_waitcnt vmcnt(0) lgkmcnt(0)
	v_mul_f32_e32 v128, v128, v129
	s_cbranch_execz .LBB125_618
	s_branch .LBB125_619
.LBB125_617:
                                        ; implicit-def: $vgpr128
.LBB125_618:
	ds_read_b32 v128, v126
.LBB125_619:
	buffer_load_dword v131, off, s[0:3], 0 offset:4
	v_mov_b32_e32 v129, 0
	ds_read2_b32 v[129:130], v129 offset0:2 offset1:65
	s_waitcnt vmcnt(0) lgkmcnt(0)
	v_fma_f32 v130, v131, v130, v128
	v_cndmask_b32_e64 v128, v128, v130, s[6:7]
	v_mul_f32_e32 v128, v128, v129
	buffer_store_dword v128, off, s[0:3], 0 offset:8
.LBB125_620:
	s_or_b64 exec, exec, s[8:9]
	buffer_load_dword v128, off, s[0:3], 0 offset:12
	v_cmp_gt_u32_e32 vcc, 3, v0
	s_waitcnt vmcnt(0)
	ds_write_b32 v126, v128
	s_waitcnt lgkmcnt(0)
	; wave barrier
	s_and_saveexec_b64 s[8:9], vcc
	s_cbranch_execz .LBB125_628
; %bb.621:
	s_and_b64 vcc, exec, s[4:5]
	s_cbranch_vccnz .LBB125_623
; %bb.622:
	buffer_load_dword v128, v127, s[0:3], 0 offen
	ds_read_b32 v129, v126
	s_waitcnt vmcnt(0) lgkmcnt(0)
	v_mul_f32_e32 v128, v128, v129
	s_cbranch_execz .LBB125_624
	s_branch .LBB125_625
.LBB125_623:
                                        ; implicit-def: $vgpr128
.LBB125_624:
	ds_read_b32 v128, v126
.LBB125_625:
	v_cmp_ne_u32_e32 vcc, 2, v0
	s_and_saveexec_b64 s[10:11], vcc
	s_cbranch_execz .LBB125_627
; %bb.626:
	buffer_load_dword v129, v127, s[0:3], 0 offen offset:4
	buffer_load_dword v130, off, s[0:3], 0 offset:8
	v_mov_b32_e32 v131, 0
	ds_read_b32 v132, v126 offset:4
	ds_read_b32 v131, v131 offset:264
	s_waitcnt vmcnt(1) lgkmcnt(1)
	v_fmac_f32_e32 v128, v129, v132
	s_waitcnt vmcnt(0) lgkmcnt(0)
	v_fma_f32 v129, v130, v131, v128
	v_cndmask_b32_e64 v128, v128, v129, s[6:7]
.LBB125_627:
	s_or_b64 exec, exec, s[10:11]
	v_mov_b32_e32 v129, 0
	ds_read_b32 v129, v129 offset:12
	s_waitcnt lgkmcnt(0)
	v_mul_f32_e32 v128, v128, v129
	buffer_store_dword v128, off, s[0:3], 0 offset:12
.LBB125_628:
	s_or_b64 exec, exec, s[8:9]
	buffer_load_dword v128, off, s[0:3], 0 offset:16
	v_cmp_gt_u32_e32 vcc, 4, v0
	s_waitcnt vmcnt(0)
	ds_write_b32 v126, v128
	s_waitcnt lgkmcnt(0)
	; wave barrier
	s_and_saveexec_b64 s[6:7], vcc
	s_cbranch_execz .LBB125_638
; %bb.629:
	s_and_b64 vcc, exec, s[4:5]
	s_cbranch_vccnz .LBB125_631
; %bb.630:
	buffer_load_dword v128, v127, s[0:3], 0 offen
	ds_read_b32 v129, v126
	s_waitcnt vmcnt(0) lgkmcnt(0)
	v_mul_f32_e32 v128, v128, v129
	s_cbranch_execz .LBB125_632
	s_branch .LBB125_633
.LBB125_631:
                                        ; implicit-def: $vgpr128
.LBB125_632:
	ds_read_b32 v128, v126
.LBB125_633:
	v_cmp_ne_u32_e32 vcc, 3, v0
	s_and_saveexec_b64 s[8:9], vcc
	s_cbranch_execz .LBB125_637
; %bb.634:
	s_mov_b32 s10, 0
	v_add_u32_e32 v129, 0x104, v125
	v_add3_u32 v130, v125, s10, 4
	s_mov_b64 s[10:11], 0
	v_mov_b32_e32 v131, v0
.LBB125_635:                            ; =>This Inner Loop Header: Depth=1
	buffer_load_dword v132, v130, s[0:3], 0 offen
	ds_read_b32 v133, v129
	v_add_u32_e32 v131, 1, v131
	v_cmp_lt_u32_e32 vcc, 2, v131
	v_add_u32_e32 v129, 4, v129
	v_add_u32_e32 v130, 4, v130
	s_or_b64 s[10:11], vcc, s[10:11]
	s_waitcnt vmcnt(0) lgkmcnt(0)
	v_fmac_f32_e32 v128, v132, v133
	s_andn2_b64 exec, exec, s[10:11]
	s_cbranch_execnz .LBB125_635
; %bb.636:
	s_or_b64 exec, exec, s[10:11]
.LBB125_637:
	s_or_b64 exec, exec, s[8:9]
	v_mov_b32_e32 v129, 0
	ds_read_b32 v129, v129 offset:16
	s_waitcnt lgkmcnt(0)
	v_mul_f32_e32 v128, v128, v129
	buffer_store_dword v128, off, s[0:3], 0 offset:16
.LBB125_638:
	s_or_b64 exec, exec, s[6:7]
	buffer_load_dword v128, off, s[0:3], 0 offset:20
	v_cmp_gt_u32_e32 vcc, 5, v0
	s_waitcnt vmcnt(0)
	ds_write_b32 v126, v128
	s_waitcnt lgkmcnt(0)
	; wave barrier
	s_and_saveexec_b64 s[6:7], vcc
	s_cbranch_execz .LBB125_648
; %bb.639:
	s_and_b64 vcc, exec, s[4:5]
	s_cbranch_vccnz .LBB125_641
; %bb.640:
	buffer_load_dword v128, v127, s[0:3], 0 offen
	ds_read_b32 v129, v126
	s_waitcnt vmcnt(0) lgkmcnt(0)
	v_mul_f32_e32 v128, v128, v129
	s_cbranch_execz .LBB125_642
	s_branch .LBB125_643
.LBB125_641:
                                        ; implicit-def: $vgpr128
.LBB125_642:
	ds_read_b32 v128, v126
.LBB125_643:
	v_cmp_ne_u32_e32 vcc, 4, v0
	s_and_saveexec_b64 s[8:9], vcc
	s_cbranch_execz .LBB125_647
; %bb.644:
	s_mov_b32 s10, 0
	v_add_u32_e32 v129, 0x104, v125
	v_add3_u32 v130, v125, s10, 4
	s_mov_b64 s[10:11], 0
	v_mov_b32_e32 v131, v0
.LBB125_645:                            ; =>This Inner Loop Header: Depth=1
	buffer_load_dword v132, v130, s[0:3], 0 offen
	ds_read_b32 v133, v129
	v_add_u32_e32 v131, 1, v131
	v_cmp_lt_u32_e32 vcc, 3, v131
	v_add_u32_e32 v129, 4, v129
	v_add_u32_e32 v130, 4, v130
	s_or_b64 s[10:11], vcc, s[10:11]
	s_waitcnt vmcnt(0) lgkmcnt(0)
	v_fmac_f32_e32 v128, v132, v133
	s_andn2_b64 exec, exec, s[10:11]
	s_cbranch_execnz .LBB125_645
; %bb.646:
	s_or_b64 exec, exec, s[10:11]
.LBB125_647:
	s_or_b64 exec, exec, s[8:9]
	v_mov_b32_e32 v129, 0
	ds_read_b32 v129, v129 offset:20
	s_waitcnt lgkmcnt(0)
	v_mul_f32_e32 v128, v128, v129
	buffer_store_dword v128, off, s[0:3], 0 offset:20
.LBB125_648:
	s_or_b64 exec, exec, s[6:7]
	buffer_load_dword v128, off, s[0:3], 0 offset:24
	v_cmp_gt_u32_e32 vcc, 6, v0
	s_waitcnt vmcnt(0)
	ds_write_b32 v126, v128
	s_waitcnt lgkmcnt(0)
	; wave barrier
	s_and_saveexec_b64 s[6:7], vcc
	s_cbranch_execz .LBB125_658
; %bb.649:
	s_and_b64 vcc, exec, s[4:5]
	s_cbranch_vccnz .LBB125_651
; %bb.650:
	buffer_load_dword v128, v127, s[0:3], 0 offen
	ds_read_b32 v129, v126
	s_waitcnt vmcnt(0) lgkmcnt(0)
	v_mul_f32_e32 v128, v128, v129
	s_cbranch_execz .LBB125_652
	s_branch .LBB125_653
.LBB125_651:
                                        ; implicit-def: $vgpr128
.LBB125_652:
	ds_read_b32 v128, v126
.LBB125_653:
	v_cmp_ne_u32_e32 vcc, 5, v0
	s_and_saveexec_b64 s[8:9], vcc
	s_cbranch_execz .LBB125_657
; %bb.654:
	s_mov_b32 s10, 0
	v_add_u32_e32 v129, 0x104, v125
	v_add3_u32 v130, v125, s10, 4
	s_mov_b64 s[10:11], 0
	v_mov_b32_e32 v131, v0
.LBB125_655:                            ; =>This Inner Loop Header: Depth=1
	buffer_load_dword v132, v130, s[0:3], 0 offen
	ds_read_b32 v133, v129
	v_add_u32_e32 v131, 1, v131
	v_cmp_lt_u32_e32 vcc, 4, v131
	v_add_u32_e32 v129, 4, v129
	v_add_u32_e32 v130, 4, v130
	s_or_b64 s[10:11], vcc, s[10:11]
	s_waitcnt vmcnt(0) lgkmcnt(0)
	v_fmac_f32_e32 v128, v132, v133
	s_andn2_b64 exec, exec, s[10:11]
	s_cbranch_execnz .LBB125_655
; %bb.656:
	s_or_b64 exec, exec, s[10:11]
.LBB125_657:
	s_or_b64 exec, exec, s[8:9]
	v_mov_b32_e32 v129, 0
	ds_read_b32 v129, v129 offset:24
	s_waitcnt lgkmcnt(0)
	v_mul_f32_e32 v128, v128, v129
	buffer_store_dword v128, off, s[0:3], 0 offset:24
.LBB125_658:
	s_or_b64 exec, exec, s[6:7]
	buffer_load_dword v128, off, s[0:3], 0 offset:28
	v_cmp_gt_u32_e32 vcc, 7, v0
	s_waitcnt vmcnt(0)
	ds_write_b32 v126, v128
	s_waitcnt lgkmcnt(0)
	; wave barrier
	s_and_saveexec_b64 s[6:7], vcc
	s_cbranch_execz .LBB125_668
; %bb.659:
	s_and_b64 vcc, exec, s[4:5]
	s_cbranch_vccnz .LBB125_661
; %bb.660:
	buffer_load_dword v128, v127, s[0:3], 0 offen
	ds_read_b32 v129, v126
	s_waitcnt vmcnt(0) lgkmcnt(0)
	v_mul_f32_e32 v128, v128, v129
	s_cbranch_execz .LBB125_662
	s_branch .LBB125_663
.LBB125_661:
                                        ; implicit-def: $vgpr128
.LBB125_662:
	ds_read_b32 v128, v126
.LBB125_663:
	v_cmp_ne_u32_e32 vcc, 6, v0
	s_and_saveexec_b64 s[8:9], vcc
	s_cbranch_execz .LBB125_667
; %bb.664:
	s_mov_b32 s10, 0
	v_add_u32_e32 v129, 0x104, v125
	v_add3_u32 v130, v125, s10, 4
	s_mov_b64 s[10:11], 0
	v_mov_b32_e32 v131, v0
.LBB125_665:                            ; =>This Inner Loop Header: Depth=1
	buffer_load_dword v132, v130, s[0:3], 0 offen
	ds_read_b32 v133, v129
	v_add_u32_e32 v131, 1, v131
	v_cmp_lt_u32_e32 vcc, 5, v131
	v_add_u32_e32 v129, 4, v129
	v_add_u32_e32 v130, 4, v130
	s_or_b64 s[10:11], vcc, s[10:11]
	s_waitcnt vmcnt(0) lgkmcnt(0)
	v_fmac_f32_e32 v128, v132, v133
	s_andn2_b64 exec, exec, s[10:11]
	s_cbranch_execnz .LBB125_665
; %bb.666:
	s_or_b64 exec, exec, s[10:11]
.LBB125_667:
	s_or_b64 exec, exec, s[8:9]
	v_mov_b32_e32 v129, 0
	ds_read_b32 v129, v129 offset:28
	s_waitcnt lgkmcnt(0)
	v_mul_f32_e32 v128, v128, v129
	buffer_store_dword v128, off, s[0:3], 0 offset:28
.LBB125_668:
	s_or_b64 exec, exec, s[6:7]
	buffer_load_dword v128, off, s[0:3], 0 offset:32
	v_cmp_gt_u32_e32 vcc, 8, v0
	s_waitcnt vmcnt(0)
	ds_write_b32 v126, v128
	s_waitcnt lgkmcnt(0)
	; wave barrier
	s_and_saveexec_b64 s[6:7], vcc
	s_cbranch_execz .LBB125_678
; %bb.669:
	s_and_b64 vcc, exec, s[4:5]
	s_cbranch_vccnz .LBB125_671
; %bb.670:
	buffer_load_dword v128, v127, s[0:3], 0 offen
	ds_read_b32 v129, v126
	s_waitcnt vmcnt(0) lgkmcnt(0)
	v_mul_f32_e32 v128, v128, v129
	s_cbranch_execz .LBB125_672
	s_branch .LBB125_673
.LBB125_671:
                                        ; implicit-def: $vgpr128
.LBB125_672:
	ds_read_b32 v128, v126
.LBB125_673:
	v_cmp_ne_u32_e32 vcc, 7, v0
	s_and_saveexec_b64 s[8:9], vcc
	s_cbranch_execz .LBB125_677
; %bb.674:
	s_mov_b32 s10, 0
	v_add_u32_e32 v129, 0x104, v125
	v_add3_u32 v130, v125, s10, 4
	s_mov_b64 s[10:11], 0
	v_mov_b32_e32 v131, v0
.LBB125_675:                            ; =>This Inner Loop Header: Depth=1
	buffer_load_dword v132, v130, s[0:3], 0 offen
	ds_read_b32 v133, v129
	v_add_u32_e32 v131, 1, v131
	v_cmp_lt_u32_e32 vcc, 6, v131
	v_add_u32_e32 v129, 4, v129
	v_add_u32_e32 v130, 4, v130
	s_or_b64 s[10:11], vcc, s[10:11]
	s_waitcnt vmcnt(0) lgkmcnt(0)
	v_fmac_f32_e32 v128, v132, v133
	s_andn2_b64 exec, exec, s[10:11]
	s_cbranch_execnz .LBB125_675
; %bb.676:
	s_or_b64 exec, exec, s[10:11]
.LBB125_677:
	s_or_b64 exec, exec, s[8:9]
	v_mov_b32_e32 v129, 0
	ds_read_b32 v129, v129 offset:32
	s_waitcnt lgkmcnt(0)
	v_mul_f32_e32 v128, v128, v129
	buffer_store_dword v128, off, s[0:3], 0 offset:32
.LBB125_678:
	s_or_b64 exec, exec, s[6:7]
	buffer_load_dword v128, off, s[0:3], 0 offset:36
	v_cmp_gt_u32_e32 vcc, 9, v0
	s_waitcnt vmcnt(0)
	ds_write_b32 v126, v128
	s_waitcnt lgkmcnt(0)
	; wave barrier
	s_and_saveexec_b64 s[6:7], vcc
	s_cbranch_execz .LBB125_688
; %bb.679:
	s_and_b64 vcc, exec, s[4:5]
	s_cbranch_vccnz .LBB125_681
; %bb.680:
	buffer_load_dword v128, v127, s[0:3], 0 offen
	ds_read_b32 v129, v126
	s_waitcnt vmcnt(0) lgkmcnt(0)
	v_mul_f32_e32 v128, v128, v129
	s_cbranch_execz .LBB125_682
	s_branch .LBB125_683
.LBB125_681:
                                        ; implicit-def: $vgpr128
.LBB125_682:
	ds_read_b32 v128, v126
.LBB125_683:
	v_cmp_ne_u32_e32 vcc, 8, v0
	s_and_saveexec_b64 s[8:9], vcc
	s_cbranch_execz .LBB125_687
; %bb.684:
	s_mov_b32 s10, 0
	v_add_u32_e32 v129, 0x104, v125
	v_add3_u32 v130, v125, s10, 4
	s_mov_b64 s[10:11], 0
	v_mov_b32_e32 v131, v0
.LBB125_685:                            ; =>This Inner Loop Header: Depth=1
	buffer_load_dword v132, v130, s[0:3], 0 offen
	ds_read_b32 v133, v129
	v_add_u32_e32 v131, 1, v131
	v_cmp_lt_u32_e32 vcc, 7, v131
	v_add_u32_e32 v129, 4, v129
	v_add_u32_e32 v130, 4, v130
	s_or_b64 s[10:11], vcc, s[10:11]
	s_waitcnt vmcnt(0) lgkmcnt(0)
	v_fmac_f32_e32 v128, v132, v133
	s_andn2_b64 exec, exec, s[10:11]
	s_cbranch_execnz .LBB125_685
; %bb.686:
	s_or_b64 exec, exec, s[10:11]
.LBB125_687:
	s_or_b64 exec, exec, s[8:9]
	v_mov_b32_e32 v129, 0
	ds_read_b32 v129, v129 offset:36
	s_waitcnt lgkmcnt(0)
	v_mul_f32_e32 v128, v128, v129
	buffer_store_dword v128, off, s[0:3], 0 offset:36
.LBB125_688:
	s_or_b64 exec, exec, s[6:7]
	buffer_load_dword v128, off, s[0:3], 0 offset:40
	v_cmp_gt_u32_e32 vcc, 10, v0
	s_waitcnt vmcnt(0)
	ds_write_b32 v126, v128
	s_waitcnt lgkmcnt(0)
	; wave barrier
	s_and_saveexec_b64 s[6:7], vcc
	s_cbranch_execz .LBB125_698
; %bb.689:
	s_and_b64 vcc, exec, s[4:5]
	s_cbranch_vccnz .LBB125_691
; %bb.690:
	buffer_load_dword v128, v127, s[0:3], 0 offen
	ds_read_b32 v129, v126
	s_waitcnt vmcnt(0) lgkmcnt(0)
	v_mul_f32_e32 v128, v128, v129
	s_cbranch_execz .LBB125_692
	s_branch .LBB125_693
.LBB125_691:
                                        ; implicit-def: $vgpr128
.LBB125_692:
	ds_read_b32 v128, v126
.LBB125_693:
	v_cmp_ne_u32_e32 vcc, 9, v0
	s_and_saveexec_b64 s[8:9], vcc
	s_cbranch_execz .LBB125_697
; %bb.694:
	s_mov_b32 s10, 0
	v_add_u32_e32 v129, 0x104, v125
	v_add3_u32 v130, v125, s10, 4
	s_mov_b64 s[10:11], 0
	v_mov_b32_e32 v131, v0
.LBB125_695:                            ; =>This Inner Loop Header: Depth=1
	buffer_load_dword v132, v130, s[0:3], 0 offen
	ds_read_b32 v133, v129
	v_add_u32_e32 v131, 1, v131
	v_cmp_lt_u32_e32 vcc, 8, v131
	v_add_u32_e32 v129, 4, v129
	v_add_u32_e32 v130, 4, v130
	s_or_b64 s[10:11], vcc, s[10:11]
	s_waitcnt vmcnt(0) lgkmcnt(0)
	v_fmac_f32_e32 v128, v132, v133
	s_andn2_b64 exec, exec, s[10:11]
	s_cbranch_execnz .LBB125_695
; %bb.696:
	s_or_b64 exec, exec, s[10:11]
.LBB125_697:
	s_or_b64 exec, exec, s[8:9]
	v_mov_b32_e32 v129, 0
	ds_read_b32 v129, v129 offset:40
	s_waitcnt lgkmcnt(0)
	v_mul_f32_e32 v128, v128, v129
	buffer_store_dword v128, off, s[0:3], 0 offset:40
.LBB125_698:
	s_or_b64 exec, exec, s[6:7]
	buffer_load_dword v128, off, s[0:3], 0 offset:44
	v_cmp_gt_u32_e32 vcc, 11, v0
	s_waitcnt vmcnt(0)
	ds_write_b32 v126, v128
	s_waitcnt lgkmcnt(0)
	; wave barrier
	s_and_saveexec_b64 s[6:7], vcc
	s_cbranch_execz .LBB125_708
; %bb.699:
	s_and_b64 vcc, exec, s[4:5]
	s_cbranch_vccnz .LBB125_701
; %bb.700:
	buffer_load_dword v128, v127, s[0:3], 0 offen
	ds_read_b32 v129, v126
	s_waitcnt vmcnt(0) lgkmcnt(0)
	v_mul_f32_e32 v128, v128, v129
	s_cbranch_execz .LBB125_702
	s_branch .LBB125_703
.LBB125_701:
                                        ; implicit-def: $vgpr128
.LBB125_702:
	ds_read_b32 v128, v126
.LBB125_703:
	v_cmp_ne_u32_e32 vcc, 10, v0
	s_and_saveexec_b64 s[8:9], vcc
	s_cbranch_execz .LBB125_707
; %bb.704:
	s_mov_b32 s10, 0
	v_add_u32_e32 v129, 0x104, v125
	v_add3_u32 v130, v125, s10, 4
	s_mov_b64 s[10:11], 0
	v_mov_b32_e32 v131, v0
.LBB125_705:                            ; =>This Inner Loop Header: Depth=1
	buffer_load_dword v132, v130, s[0:3], 0 offen
	ds_read_b32 v133, v129
	v_add_u32_e32 v131, 1, v131
	v_cmp_lt_u32_e32 vcc, 9, v131
	v_add_u32_e32 v129, 4, v129
	v_add_u32_e32 v130, 4, v130
	s_or_b64 s[10:11], vcc, s[10:11]
	s_waitcnt vmcnt(0) lgkmcnt(0)
	v_fmac_f32_e32 v128, v132, v133
	s_andn2_b64 exec, exec, s[10:11]
	s_cbranch_execnz .LBB125_705
; %bb.706:
	s_or_b64 exec, exec, s[10:11]
.LBB125_707:
	s_or_b64 exec, exec, s[8:9]
	v_mov_b32_e32 v129, 0
	ds_read_b32 v129, v129 offset:44
	s_waitcnt lgkmcnt(0)
	v_mul_f32_e32 v128, v128, v129
	buffer_store_dword v128, off, s[0:3], 0 offset:44
.LBB125_708:
	s_or_b64 exec, exec, s[6:7]
	buffer_load_dword v128, off, s[0:3], 0 offset:48
	v_cmp_gt_u32_e32 vcc, 12, v0
	s_waitcnt vmcnt(0)
	ds_write_b32 v126, v128
	s_waitcnt lgkmcnt(0)
	; wave barrier
	s_and_saveexec_b64 s[6:7], vcc
	s_cbranch_execz .LBB125_718
; %bb.709:
	s_and_b64 vcc, exec, s[4:5]
	s_cbranch_vccnz .LBB125_711
; %bb.710:
	buffer_load_dword v128, v127, s[0:3], 0 offen
	ds_read_b32 v129, v126
	s_waitcnt vmcnt(0) lgkmcnt(0)
	v_mul_f32_e32 v128, v128, v129
	s_cbranch_execz .LBB125_712
	s_branch .LBB125_713
.LBB125_711:
                                        ; implicit-def: $vgpr128
.LBB125_712:
	ds_read_b32 v128, v126
.LBB125_713:
	v_cmp_ne_u32_e32 vcc, 11, v0
	s_and_saveexec_b64 s[8:9], vcc
	s_cbranch_execz .LBB125_717
; %bb.714:
	s_mov_b32 s10, 0
	v_add_u32_e32 v129, 0x104, v125
	v_add3_u32 v130, v125, s10, 4
	s_mov_b64 s[10:11], 0
	v_mov_b32_e32 v131, v0
.LBB125_715:                            ; =>This Inner Loop Header: Depth=1
	buffer_load_dword v132, v130, s[0:3], 0 offen
	ds_read_b32 v133, v129
	v_add_u32_e32 v131, 1, v131
	v_cmp_lt_u32_e32 vcc, 10, v131
	v_add_u32_e32 v129, 4, v129
	v_add_u32_e32 v130, 4, v130
	s_or_b64 s[10:11], vcc, s[10:11]
	s_waitcnt vmcnt(0) lgkmcnt(0)
	v_fmac_f32_e32 v128, v132, v133
	s_andn2_b64 exec, exec, s[10:11]
	s_cbranch_execnz .LBB125_715
; %bb.716:
	s_or_b64 exec, exec, s[10:11]
.LBB125_717:
	s_or_b64 exec, exec, s[8:9]
	v_mov_b32_e32 v129, 0
	ds_read_b32 v129, v129 offset:48
	s_waitcnt lgkmcnt(0)
	v_mul_f32_e32 v128, v128, v129
	buffer_store_dword v128, off, s[0:3], 0 offset:48
.LBB125_718:
	s_or_b64 exec, exec, s[6:7]
	buffer_load_dword v128, off, s[0:3], 0 offset:52
	v_cmp_gt_u32_e32 vcc, 13, v0
	s_waitcnt vmcnt(0)
	ds_write_b32 v126, v128
	s_waitcnt lgkmcnt(0)
	; wave barrier
	s_and_saveexec_b64 s[6:7], vcc
	s_cbranch_execz .LBB125_728
; %bb.719:
	s_and_b64 vcc, exec, s[4:5]
	s_cbranch_vccnz .LBB125_721
; %bb.720:
	buffer_load_dword v128, v127, s[0:3], 0 offen
	ds_read_b32 v129, v126
	s_waitcnt vmcnt(0) lgkmcnt(0)
	v_mul_f32_e32 v128, v128, v129
	s_cbranch_execz .LBB125_722
	s_branch .LBB125_723
.LBB125_721:
                                        ; implicit-def: $vgpr128
.LBB125_722:
	ds_read_b32 v128, v126
.LBB125_723:
	v_cmp_ne_u32_e32 vcc, 12, v0
	s_and_saveexec_b64 s[8:9], vcc
	s_cbranch_execz .LBB125_727
; %bb.724:
	s_mov_b32 s10, 0
	v_add_u32_e32 v129, 0x104, v125
	v_add3_u32 v130, v125, s10, 4
	s_mov_b64 s[10:11], 0
	v_mov_b32_e32 v131, v0
.LBB125_725:                            ; =>This Inner Loop Header: Depth=1
	buffer_load_dword v132, v130, s[0:3], 0 offen
	ds_read_b32 v133, v129
	v_add_u32_e32 v131, 1, v131
	v_cmp_lt_u32_e32 vcc, 11, v131
	v_add_u32_e32 v129, 4, v129
	v_add_u32_e32 v130, 4, v130
	s_or_b64 s[10:11], vcc, s[10:11]
	s_waitcnt vmcnt(0) lgkmcnt(0)
	v_fmac_f32_e32 v128, v132, v133
	s_andn2_b64 exec, exec, s[10:11]
	s_cbranch_execnz .LBB125_725
; %bb.726:
	s_or_b64 exec, exec, s[10:11]
.LBB125_727:
	s_or_b64 exec, exec, s[8:9]
	v_mov_b32_e32 v129, 0
	ds_read_b32 v129, v129 offset:52
	s_waitcnt lgkmcnt(0)
	v_mul_f32_e32 v128, v128, v129
	buffer_store_dword v128, off, s[0:3], 0 offset:52
.LBB125_728:
	s_or_b64 exec, exec, s[6:7]
	buffer_load_dword v128, off, s[0:3], 0 offset:56
	v_cmp_gt_u32_e32 vcc, 14, v0
	s_waitcnt vmcnt(0)
	ds_write_b32 v126, v128
	s_waitcnt lgkmcnt(0)
	; wave barrier
	s_and_saveexec_b64 s[6:7], vcc
	s_cbranch_execz .LBB125_738
; %bb.729:
	s_and_b64 vcc, exec, s[4:5]
	s_cbranch_vccnz .LBB125_731
; %bb.730:
	buffer_load_dword v128, v127, s[0:3], 0 offen
	ds_read_b32 v129, v126
	s_waitcnt vmcnt(0) lgkmcnt(0)
	v_mul_f32_e32 v128, v128, v129
	s_cbranch_execz .LBB125_732
	s_branch .LBB125_733
.LBB125_731:
                                        ; implicit-def: $vgpr128
.LBB125_732:
	ds_read_b32 v128, v126
.LBB125_733:
	v_cmp_ne_u32_e32 vcc, 13, v0
	s_and_saveexec_b64 s[8:9], vcc
	s_cbranch_execz .LBB125_737
; %bb.734:
	s_mov_b32 s10, 0
	v_add_u32_e32 v129, 0x104, v125
	v_add3_u32 v130, v125, s10, 4
	s_mov_b64 s[10:11], 0
	v_mov_b32_e32 v131, v0
.LBB125_735:                            ; =>This Inner Loop Header: Depth=1
	buffer_load_dword v132, v130, s[0:3], 0 offen
	ds_read_b32 v133, v129
	v_add_u32_e32 v131, 1, v131
	v_cmp_lt_u32_e32 vcc, 12, v131
	v_add_u32_e32 v129, 4, v129
	v_add_u32_e32 v130, 4, v130
	s_or_b64 s[10:11], vcc, s[10:11]
	s_waitcnt vmcnt(0) lgkmcnt(0)
	v_fmac_f32_e32 v128, v132, v133
	s_andn2_b64 exec, exec, s[10:11]
	s_cbranch_execnz .LBB125_735
; %bb.736:
	s_or_b64 exec, exec, s[10:11]
.LBB125_737:
	s_or_b64 exec, exec, s[8:9]
	v_mov_b32_e32 v129, 0
	ds_read_b32 v129, v129 offset:56
	s_waitcnt lgkmcnt(0)
	v_mul_f32_e32 v128, v128, v129
	buffer_store_dword v128, off, s[0:3], 0 offset:56
.LBB125_738:
	s_or_b64 exec, exec, s[6:7]
	buffer_load_dword v128, off, s[0:3], 0 offset:60
	v_cmp_gt_u32_e32 vcc, 15, v0
	s_waitcnt vmcnt(0)
	ds_write_b32 v126, v128
	s_waitcnt lgkmcnt(0)
	; wave barrier
	s_and_saveexec_b64 s[6:7], vcc
	s_cbranch_execz .LBB125_748
; %bb.739:
	s_and_b64 vcc, exec, s[4:5]
	s_cbranch_vccnz .LBB125_741
; %bb.740:
	buffer_load_dword v128, v127, s[0:3], 0 offen
	ds_read_b32 v129, v126
	s_waitcnt vmcnt(0) lgkmcnt(0)
	v_mul_f32_e32 v128, v128, v129
	s_cbranch_execz .LBB125_742
	s_branch .LBB125_743
.LBB125_741:
                                        ; implicit-def: $vgpr128
.LBB125_742:
	ds_read_b32 v128, v126
.LBB125_743:
	v_cmp_ne_u32_e32 vcc, 14, v0
	s_and_saveexec_b64 s[8:9], vcc
	s_cbranch_execz .LBB125_747
; %bb.744:
	s_mov_b32 s10, 0
	v_add_u32_e32 v129, 0x104, v125
	v_add3_u32 v130, v125, s10, 4
	s_mov_b64 s[10:11], 0
	v_mov_b32_e32 v131, v0
.LBB125_745:                            ; =>This Inner Loop Header: Depth=1
	buffer_load_dword v132, v130, s[0:3], 0 offen
	ds_read_b32 v133, v129
	v_add_u32_e32 v131, 1, v131
	v_cmp_lt_u32_e32 vcc, 13, v131
	v_add_u32_e32 v129, 4, v129
	v_add_u32_e32 v130, 4, v130
	s_or_b64 s[10:11], vcc, s[10:11]
	s_waitcnt vmcnt(0) lgkmcnt(0)
	v_fmac_f32_e32 v128, v132, v133
	s_andn2_b64 exec, exec, s[10:11]
	s_cbranch_execnz .LBB125_745
; %bb.746:
	s_or_b64 exec, exec, s[10:11]
.LBB125_747:
	s_or_b64 exec, exec, s[8:9]
	v_mov_b32_e32 v129, 0
	ds_read_b32 v129, v129 offset:60
	s_waitcnt lgkmcnt(0)
	v_mul_f32_e32 v128, v128, v129
	buffer_store_dword v128, off, s[0:3], 0 offset:60
.LBB125_748:
	s_or_b64 exec, exec, s[6:7]
	buffer_load_dword v128, off, s[0:3], 0 offset:64
	v_cmp_gt_u32_e32 vcc, 16, v0
	s_waitcnt vmcnt(0)
	ds_write_b32 v126, v128
	s_waitcnt lgkmcnt(0)
	; wave barrier
	s_and_saveexec_b64 s[6:7], vcc
	s_cbranch_execz .LBB125_758
; %bb.749:
	s_and_b64 vcc, exec, s[4:5]
	s_cbranch_vccnz .LBB125_751
; %bb.750:
	buffer_load_dword v128, v127, s[0:3], 0 offen
	ds_read_b32 v129, v126
	s_waitcnt vmcnt(0) lgkmcnt(0)
	v_mul_f32_e32 v128, v128, v129
	s_cbranch_execz .LBB125_752
	s_branch .LBB125_753
.LBB125_751:
                                        ; implicit-def: $vgpr128
.LBB125_752:
	ds_read_b32 v128, v126
.LBB125_753:
	v_cmp_ne_u32_e32 vcc, 15, v0
	s_and_saveexec_b64 s[8:9], vcc
	s_cbranch_execz .LBB125_757
; %bb.754:
	s_mov_b32 s10, 0
	v_add_u32_e32 v129, 0x104, v125
	v_add3_u32 v130, v125, s10, 4
	s_mov_b64 s[10:11], 0
	v_mov_b32_e32 v131, v0
.LBB125_755:                            ; =>This Inner Loop Header: Depth=1
	buffer_load_dword v132, v130, s[0:3], 0 offen
	ds_read_b32 v133, v129
	v_add_u32_e32 v131, 1, v131
	v_cmp_lt_u32_e32 vcc, 14, v131
	v_add_u32_e32 v129, 4, v129
	v_add_u32_e32 v130, 4, v130
	s_or_b64 s[10:11], vcc, s[10:11]
	s_waitcnt vmcnt(0) lgkmcnt(0)
	v_fmac_f32_e32 v128, v132, v133
	s_andn2_b64 exec, exec, s[10:11]
	s_cbranch_execnz .LBB125_755
; %bb.756:
	s_or_b64 exec, exec, s[10:11]
.LBB125_757:
	s_or_b64 exec, exec, s[8:9]
	v_mov_b32_e32 v129, 0
	ds_read_b32 v129, v129 offset:64
	s_waitcnt lgkmcnt(0)
	v_mul_f32_e32 v128, v128, v129
	buffer_store_dword v128, off, s[0:3], 0 offset:64
.LBB125_758:
	s_or_b64 exec, exec, s[6:7]
	buffer_load_dword v128, off, s[0:3], 0 offset:68
	v_cmp_gt_u32_e32 vcc, 17, v0
	s_waitcnt vmcnt(0)
	ds_write_b32 v126, v128
	s_waitcnt lgkmcnt(0)
	; wave barrier
	s_and_saveexec_b64 s[6:7], vcc
	s_cbranch_execz .LBB125_768
; %bb.759:
	s_and_b64 vcc, exec, s[4:5]
	s_cbranch_vccnz .LBB125_761
; %bb.760:
	buffer_load_dword v128, v127, s[0:3], 0 offen
	ds_read_b32 v129, v126
	s_waitcnt vmcnt(0) lgkmcnt(0)
	v_mul_f32_e32 v128, v128, v129
	s_cbranch_execz .LBB125_762
	s_branch .LBB125_763
.LBB125_761:
                                        ; implicit-def: $vgpr128
.LBB125_762:
	ds_read_b32 v128, v126
.LBB125_763:
	v_cmp_ne_u32_e32 vcc, 16, v0
	s_and_saveexec_b64 s[8:9], vcc
	s_cbranch_execz .LBB125_767
; %bb.764:
	s_mov_b32 s10, 0
	v_add_u32_e32 v129, 0x104, v125
	v_add3_u32 v130, v125, s10, 4
	s_mov_b64 s[10:11], 0
	v_mov_b32_e32 v131, v0
.LBB125_765:                            ; =>This Inner Loop Header: Depth=1
	buffer_load_dword v132, v130, s[0:3], 0 offen
	ds_read_b32 v133, v129
	v_add_u32_e32 v131, 1, v131
	v_cmp_lt_u32_e32 vcc, 15, v131
	v_add_u32_e32 v129, 4, v129
	v_add_u32_e32 v130, 4, v130
	s_or_b64 s[10:11], vcc, s[10:11]
	s_waitcnt vmcnt(0) lgkmcnt(0)
	v_fmac_f32_e32 v128, v132, v133
	s_andn2_b64 exec, exec, s[10:11]
	s_cbranch_execnz .LBB125_765
; %bb.766:
	s_or_b64 exec, exec, s[10:11]
.LBB125_767:
	s_or_b64 exec, exec, s[8:9]
	v_mov_b32_e32 v129, 0
	ds_read_b32 v129, v129 offset:68
	s_waitcnt lgkmcnt(0)
	v_mul_f32_e32 v128, v128, v129
	buffer_store_dword v128, off, s[0:3], 0 offset:68
.LBB125_768:
	s_or_b64 exec, exec, s[6:7]
	buffer_load_dword v128, off, s[0:3], 0 offset:72
	v_cmp_gt_u32_e32 vcc, 18, v0
	s_waitcnt vmcnt(0)
	ds_write_b32 v126, v128
	s_waitcnt lgkmcnt(0)
	; wave barrier
	s_and_saveexec_b64 s[6:7], vcc
	s_cbranch_execz .LBB125_778
; %bb.769:
	s_and_b64 vcc, exec, s[4:5]
	s_cbranch_vccnz .LBB125_771
; %bb.770:
	buffer_load_dword v128, v127, s[0:3], 0 offen
	ds_read_b32 v129, v126
	s_waitcnt vmcnt(0) lgkmcnt(0)
	v_mul_f32_e32 v128, v128, v129
	s_cbranch_execz .LBB125_772
	s_branch .LBB125_773
.LBB125_771:
                                        ; implicit-def: $vgpr128
.LBB125_772:
	ds_read_b32 v128, v126
.LBB125_773:
	v_cmp_ne_u32_e32 vcc, 17, v0
	s_and_saveexec_b64 s[8:9], vcc
	s_cbranch_execz .LBB125_777
; %bb.774:
	s_mov_b32 s10, 0
	v_add_u32_e32 v129, 0x104, v125
	v_add3_u32 v130, v125, s10, 4
	s_mov_b64 s[10:11], 0
	v_mov_b32_e32 v131, v0
.LBB125_775:                            ; =>This Inner Loop Header: Depth=1
	buffer_load_dword v132, v130, s[0:3], 0 offen
	ds_read_b32 v133, v129
	v_add_u32_e32 v131, 1, v131
	v_cmp_lt_u32_e32 vcc, 16, v131
	v_add_u32_e32 v129, 4, v129
	v_add_u32_e32 v130, 4, v130
	s_or_b64 s[10:11], vcc, s[10:11]
	s_waitcnt vmcnt(0) lgkmcnt(0)
	v_fmac_f32_e32 v128, v132, v133
	s_andn2_b64 exec, exec, s[10:11]
	s_cbranch_execnz .LBB125_775
; %bb.776:
	s_or_b64 exec, exec, s[10:11]
.LBB125_777:
	s_or_b64 exec, exec, s[8:9]
	v_mov_b32_e32 v129, 0
	ds_read_b32 v129, v129 offset:72
	s_waitcnt lgkmcnt(0)
	v_mul_f32_e32 v128, v128, v129
	buffer_store_dword v128, off, s[0:3], 0 offset:72
.LBB125_778:
	s_or_b64 exec, exec, s[6:7]
	buffer_load_dword v128, off, s[0:3], 0 offset:76
	v_cmp_gt_u32_e32 vcc, 19, v0
	s_waitcnt vmcnt(0)
	ds_write_b32 v126, v128
	s_waitcnt lgkmcnt(0)
	; wave barrier
	s_and_saveexec_b64 s[6:7], vcc
	s_cbranch_execz .LBB125_788
; %bb.779:
	s_and_b64 vcc, exec, s[4:5]
	s_cbranch_vccnz .LBB125_781
; %bb.780:
	buffer_load_dword v128, v127, s[0:3], 0 offen
	ds_read_b32 v129, v126
	s_waitcnt vmcnt(0) lgkmcnt(0)
	v_mul_f32_e32 v128, v128, v129
	s_cbranch_execz .LBB125_782
	s_branch .LBB125_783
.LBB125_781:
                                        ; implicit-def: $vgpr128
.LBB125_782:
	ds_read_b32 v128, v126
.LBB125_783:
	v_cmp_ne_u32_e32 vcc, 18, v0
	s_and_saveexec_b64 s[8:9], vcc
	s_cbranch_execz .LBB125_787
; %bb.784:
	s_mov_b32 s10, 0
	v_add_u32_e32 v129, 0x104, v125
	v_add3_u32 v130, v125, s10, 4
	s_mov_b64 s[10:11], 0
	v_mov_b32_e32 v131, v0
.LBB125_785:                            ; =>This Inner Loop Header: Depth=1
	buffer_load_dword v132, v130, s[0:3], 0 offen
	ds_read_b32 v133, v129
	v_add_u32_e32 v131, 1, v131
	v_cmp_lt_u32_e32 vcc, 17, v131
	v_add_u32_e32 v129, 4, v129
	v_add_u32_e32 v130, 4, v130
	s_or_b64 s[10:11], vcc, s[10:11]
	s_waitcnt vmcnt(0) lgkmcnt(0)
	v_fmac_f32_e32 v128, v132, v133
	s_andn2_b64 exec, exec, s[10:11]
	s_cbranch_execnz .LBB125_785
; %bb.786:
	s_or_b64 exec, exec, s[10:11]
.LBB125_787:
	s_or_b64 exec, exec, s[8:9]
	v_mov_b32_e32 v129, 0
	ds_read_b32 v129, v129 offset:76
	s_waitcnt lgkmcnt(0)
	v_mul_f32_e32 v128, v128, v129
	buffer_store_dword v128, off, s[0:3], 0 offset:76
.LBB125_788:
	s_or_b64 exec, exec, s[6:7]
	buffer_load_dword v128, off, s[0:3], 0 offset:80
	v_cmp_gt_u32_e32 vcc, 20, v0
	s_waitcnt vmcnt(0)
	ds_write_b32 v126, v128
	s_waitcnt lgkmcnt(0)
	; wave barrier
	s_and_saveexec_b64 s[6:7], vcc
	s_cbranch_execz .LBB125_798
; %bb.789:
	s_and_b64 vcc, exec, s[4:5]
	s_cbranch_vccnz .LBB125_791
; %bb.790:
	buffer_load_dword v128, v127, s[0:3], 0 offen
	ds_read_b32 v129, v126
	s_waitcnt vmcnt(0) lgkmcnt(0)
	v_mul_f32_e32 v128, v128, v129
	s_cbranch_execz .LBB125_792
	s_branch .LBB125_793
.LBB125_791:
                                        ; implicit-def: $vgpr128
.LBB125_792:
	ds_read_b32 v128, v126
.LBB125_793:
	v_cmp_ne_u32_e32 vcc, 19, v0
	s_and_saveexec_b64 s[8:9], vcc
	s_cbranch_execz .LBB125_797
; %bb.794:
	s_mov_b32 s10, 0
	v_add_u32_e32 v129, 0x104, v125
	v_add3_u32 v130, v125, s10, 4
	s_mov_b64 s[10:11], 0
	v_mov_b32_e32 v131, v0
.LBB125_795:                            ; =>This Inner Loop Header: Depth=1
	buffer_load_dword v132, v130, s[0:3], 0 offen
	ds_read_b32 v133, v129
	v_add_u32_e32 v131, 1, v131
	v_cmp_lt_u32_e32 vcc, 18, v131
	v_add_u32_e32 v129, 4, v129
	v_add_u32_e32 v130, 4, v130
	s_or_b64 s[10:11], vcc, s[10:11]
	s_waitcnt vmcnt(0) lgkmcnt(0)
	v_fmac_f32_e32 v128, v132, v133
	s_andn2_b64 exec, exec, s[10:11]
	s_cbranch_execnz .LBB125_795
; %bb.796:
	s_or_b64 exec, exec, s[10:11]
.LBB125_797:
	s_or_b64 exec, exec, s[8:9]
	v_mov_b32_e32 v129, 0
	ds_read_b32 v129, v129 offset:80
	s_waitcnt lgkmcnt(0)
	v_mul_f32_e32 v128, v128, v129
	buffer_store_dword v128, off, s[0:3], 0 offset:80
.LBB125_798:
	s_or_b64 exec, exec, s[6:7]
	buffer_load_dword v128, off, s[0:3], 0 offset:84
	v_cmp_gt_u32_e32 vcc, 21, v0
	s_waitcnt vmcnt(0)
	ds_write_b32 v126, v128
	s_waitcnt lgkmcnt(0)
	; wave barrier
	s_and_saveexec_b64 s[6:7], vcc
	s_cbranch_execz .LBB125_808
; %bb.799:
	s_and_b64 vcc, exec, s[4:5]
	s_cbranch_vccnz .LBB125_801
; %bb.800:
	buffer_load_dword v128, v127, s[0:3], 0 offen
	ds_read_b32 v129, v126
	s_waitcnt vmcnt(0) lgkmcnt(0)
	v_mul_f32_e32 v128, v128, v129
	s_cbranch_execz .LBB125_802
	s_branch .LBB125_803
.LBB125_801:
                                        ; implicit-def: $vgpr128
.LBB125_802:
	ds_read_b32 v128, v126
.LBB125_803:
	v_cmp_ne_u32_e32 vcc, 20, v0
	s_and_saveexec_b64 s[8:9], vcc
	s_cbranch_execz .LBB125_807
; %bb.804:
	s_mov_b32 s10, 0
	v_add_u32_e32 v129, 0x104, v125
	v_add3_u32 v130, v125, s10, 4
	s_mov_b64 s[10:11], 0
	v_mov_b32_e32 v131, v0
.LBB125_805:                            ; =>This Inner Loop Header: Depth=1
	buffer_load_dword v132, v130, s[0:3], 0 offen
	ds_read_b32 v133, v129
	v_add_u32_e32 v131, 1, v131
	v_cmp_lt_u32_e32 vcc, 19, v131
	v_add_u32_e32 v129, 4, v129
	v_add_u32_e32 v130, 4, v130
	s_or_b64 s[10:11], vcc, s[10:11]
	s_waitcnt vmcnt(0) lgkmcnt(0)
	v_fmac_f32_e32 v128, v132, v133
	s_andn2_b64 exec, exec, s[10:11]
	s_cbranch_execnz .LBB125_805
; %bb.806:
	s_or_b64 exec, exec, s[10:11]
.LBB125_807:
	s_or_b64 exec, exec, s[8:9]
	v_mov_b32_e32 v129, 0
	ds_read_b32 v129, v129 offset:84
	s_waitcnt lgkmcnt(0)
	v_mul_f32_e32 v128, v128, v129
	buffer_store_dword v128, off, s[0:3], 0 offset:84
.LBB125_808:
	s_or_b64 exec, exec, s[6:7]
	buffer_load_dword v128, off, s[0:3], 0 offset:88
	v_cmp_gt_u32_e32 vcc, 22, v0
	s_waitcnt vmcnt(0)
	ds_write_b32 v126, v128
	s_waitcnt lgkmcnt(0)
	; wave barrier
	s_and_saveexec_b64 s[6:7], vcc
	s_cbranch_execz .LBB125_818
; %bb.809:
	s_and_b64 vcc, exec, s[4:5]
	s_cbranch_vccnz .LBB125_811
; %bb.810:
	buffer_load_dword v128, v127, s[0:3], 0 offen
	ds_read_b32 v129, v126
	s_waitcnt vmcnt(0) lgkmcnt(0)
	v_mul_f32_e32 v128, v128, v129
	s_cbranch_execz .LBB125_812
	s_branch .LBB125_813
.LBB125_811:
                                        ; implicit-def: $vgpr128
.LBB125_812:
	ds_read_b32 v128, v126
.LBB125_813:
	v_cmp_ne_u32_e32 vcc, 21, v0
	s_and_saveexec_b64 s[8:9], vcc
	s_cbranch_execz .LBB125_817
; %bb.814:
	s_mov_b32 s10, 0
	v_add_u32_e32 v129, 0x104, v125
	v_add3_u32 v130, v125, s10, 4
	s_mov_b64 s[10:11], 0
	v_mov_b32_e32 v131, v0
.LBB125_815:                            ; =>This Inner Loop Header: Depth=1
	buffer_load_dword v132, v130, s[0:3], 0 offen
	ds_read_b32 v133, v129
	v_add_u32_e32 v131, 1, v131
	v_cmp_lt_u32_e32 vcc, 20, v131
	v_add_u32_e32 v129, 4, v129
	v_add_u32_e32 v130, 4, v130
	s_or_b64 s[10:11], vcc, s[10:11]
	s_waitcnt vmcnt(0) lgkmcnt(0)
	v_fmac_f32_e32 v128, v132, v133
	s_andn2_b64 exec, exec, s[10:11]
	s_cbranch_execnz .LBB125_815
; %bb.816:
	s_or_b64 exec, exec, s[10:11]
.LBB125_817:
	s_or_b64 exec, exec, s[8:9]
	v_mov_b32_e32 v129, 0
	ds_read_b32 v129, v129 offset:88
	s_waitcnt lgkmcnt(0)
	v_mul_f32_e32 v128, v128, v129
	buffer_store_dword v128, off, s[0:3], 0 offset:88
.LBB125_818:
	s_or_b64 exec, exec, s[6:7]
	buffer_load_dword v128, off, s[0:3], 0 offset:92
	v_cmp_gt_u32_e32 vcc, 23, v0
	s_waitcnt vmcnt(0)
	ds_write_b32 v126, v128
	s_waitcnt lgkmcnt(0)
	; wave barrier
	s_and_saveexec_b64 s[6:7], vcc
	s_cbranch_execz .LBB125_828
; %bb.819:
	s_and_b64 vcc, exec, s[4:5]
	s_cbranch_vccnz .LBB125_821
; %bb.820:
	buffer_load_dword v128, v127, s[0:3], 0 offen
	ds_read_b32 v129, v126
	s_waitcnt vmcnt(0) lgkmcnt(0)
	v_mul_f32_e32 v128, v128, v129
	s_cbranch_execz .LBB125_822
	s_branch .LBB125_823
.LBB125_821:
                                        ; implicit-def: $vgpr128
.LBB125_822:
	ds_read_b32 v128, v126
.LBB125_823:
	v_cmp_ne_u32_e32 vcc, 22, v0
	s_and_saveexec_b64 s[8:9], vcc
	s_cbranch_execz .LBB125_827
; %bb.824:
	s_mov_b32 s10, 0
	v_add_u32_e32 v129, 0x104, v125
	v_add3_u32 v130, v125, s10, 4
	s_mov_b64 s[10:11], 0
	v_mov_b32_e32 v131, v0
.LBB125_825:                            ; =>This Inner Loop Header: Depth=1
	buffer_load_dword v132, v130, s[0:3], 0 offen
	ds_read_b32 v133, v129
	v_add_u32_e32 v131, 1, v131
	v_cmp_lt_u32_e32 vcc, 21, v131
	v_add_u32_e32 v129, 4, v129
	v_add_u32_e32 v130, 4, v130
	s_or_b64 s[10:11], vcc, s[10:11]
	s_waitcnt vmcnt(0) lgkmcnt(0)
	v_fmac_f32_e32 v128, v132, v133
	s_andn2_b64 exec, exec, s[10:11]
	s_cbranch_execnz .LBB125_825
; %bb.826:
	s_or_b64 exec, exec, s[10:11]
.LBB125_827:
	s_or_b64 exec, exec, s[8:9]
	v_mov_b32_e32 v129, 0
	ds_read_b32 v129, v129 offset:92
	s_waitcnt lgkmcnt(0)
	v_mul_f32_e32 v128, v128, v129
	buffer_store_dword v128, off, s[0:3], 0 offset:92
.LBB125_828:
	s_or_b64 exec, exec, s[6:7]
	buffer_load_dword v128, off, s[0:3], 0 offset:96
	v_cmp_gt_u32_e32 vcc, 24, v0
	s_waitcnt vmcnt(0)
	ds_write_b32 v126, v128
	s_waitcnt lgkmcnt(0)
	; wave barrier
	s_and_saveexec_b64 s[6:7], vcc
	s_cbranch_execz .LBB125_838
; %bb.829:
	s_and_b64 vcc, exec, s[4:5]
	s_cbranch_vccnz .LBB125_831
; %bb.830:
	buffer_load_dword v128, v127, s[0:3], 0 offen
	ds_read_b32 v129, v126
	s_waitcnt vmcnt(0) lgkmcnt(0)
	v_mul_f32_e32 v128, v128, v129
	s_cbranch_execz .LBB125_832
	s_branch .LBB125_833
.LBB125_831:
                                        ; implicit-def: $vgpr128
.LBB125_832:
	ds_read_b32 v128, v126
.LBB125_833:
	v_cmp_ne_u32_e32 vcc, 23, v0
	s_and_saveexec_b64 s[8:9], vcc
	s_cbranch_execz .LBB125_837
; %bb.834:
	s_mov_b32 s10, 0
	v_add_u32_e32 v129, 0x104, v125
	v_add3_u32 v130, v125, s10, 4
	s_mov_b64 s[10:11], 0
	v_mov_b32_e32 v131, v0
.LBB125_835:                            ; =>This Inner Loop Header: Depth=1
	buffer_load_dword v132, v130, s[0:3], 0 offen
	ds_read_b32 v133, v129
	v_add_u32_e32 v131, 1, v131
	v_cmp_lt_u32_e32 vcc, 22, v131
	v_add_u32_e32 v129, 4, v129
	v_add_u32_e32 v130, 4, v130
	s_or_b64 s[10:11], vcc, s[10:11]
	s_waitcnt vmcnt(0) lgkmcnt(0)
	v_fmac_f32_e32 v128, v132, v133
	s_andn2_b64 exec, exec, s[10:11]
	s_cbranch_execnz .LBB125_835
; %bb.836:
	s_or_b64 exec, exec, s[10:11]
.LBB125_837:
	s_or_b64 exec, exec, s[8:9]
	v_mov_b32_e32 v129, 0
	ds_read_b32 v129, v129 offset:96
	s_waitcnt lgkmcnt(0)
	v_mul_f32_e32 v128, v128, v129
	buffer_store_dword v128, off, s[0:3], 0 offset:96
.LBB125_838:
	s_or_b64 exec, exec, s[6:7]
	buffer_load_dword v128, off, s[0:3], 0 offset:100
	v_cmp_gt_u32_e32 vcc, 25, v0
	s_waitcnt vmcnt(0)
	ds_write_b32 v126, v128
	s_waitcnt lgkmcnt(0)
	; wave barrier
	s_and_saveexec_b64 s[6:7], vcc
	s_cbranch_execz .LBB125_848
; %bb.839:
	s_and_b64 vcc, exec, s[4:5]
	s_cbranch_vccnz .LBB125_841
; %bb.840:
	buffer_load_dword v128, v127, s[0:3], 0 offen
	ds_read_b32 v129, v126
	s_waitcnt vmcnt(0) lgkmcnt(0)
	v_mul_f32_e32 v128, v128, v129
	s_cbranch_execz .LBB125_842
	s_branch .LBB125_843
.LBB125_841:
                                        ; implicit-def: $vgpr128
.LBB125_842:
	ds_read_b32 v128, v126
.LBB125_843:
	v_cmp_ne_u32_e32 vcc, 24, v0
	s_and_saveexec_b64 s[8:9], vcc
	s_cbranch_execz .LBB125_847
; %bb.844:
	s_mov_b32 s10, 0
	v_add_u32_e32 v129, 0x104, v125
	v_add3_u32 v130, v125, s10, 4
	s_mov_b64 s[10:11], 0
	v_mov_b32_e32 v131, v0
.LBB125_845:                            ; =>This Inner Loop Header: Depth=1
	buffer_load_dword v132, v130, s[0:3], 0 offen
	ds_read_b32 v133, v129
	v_add_u32_e32 v131, 1, v131
	v_cmp_lt_u32_e32 vcc, 23, v131
	v_add_u32_e32 v129, 4, v129
	v_add_u32_e32 v130, 4, v130
	s_or_b64 s[10:11], vcc, s[10:11]
	s_waitcnt vmcnt(0) lgkmcnt(0)
	v_fmac_f32_e32 v128, v132, v133
	s_andn2_b64 exec, exec, s[10:11]
	s_cbranch_execnz .LBB125_845
; %bb.846:
	s_or_b64 exec, exec, s[10:11]
.LBB125_847:
	s_or_b64 exec, exec, s[8:9]
	v_mov_b32_e32 v129, 0
	ds_read_b32 v129, v129 offset:100
	s_waitcnt lgkmcnt(0)
	v_mul_f32_e32 v128, v128, v129
	buffer_store_dword v128, off, s[0:3], 0 offset:100
.LBB125_848:
	s_or_b64 exec, exec, s[6:7]
	buffer_load_dword v128, off, s[0:3], 0 offset:104
	v_cmp_gt_u32_e32 vcc, 26, v0
	s_waitcnt vmcnt(0)
	ds_write_b32 v126, v128
	s_waitcnt lgkmcnt(0)
	; wave barrier
	s_and_saveexec_b64 s[6:7], vcc
	s_cbranch_execz .LBB125_858
; %bb.849:
	s_and_b64 vcc, exec, s[4:5]
	s_cbranch_vccnz .LBB125_851
; %bb.850:
	buffer_load_dword v128, v127, s[0:3], 0 offen
	ds_read_b32 v129, v126
	s_waitcnt vmcnt(0) lgkmcnt(0)
	v_mul_f32_e32 v128, v128, v129
	s_cbranch_execz .LBB125_852
	s_branch .LBB125_853
.LBB125_851:
                                        ; implicit-def: $vgpr128
.LBB125_852:
	ds_read_b32 v128, v126
.LBB125_853:
	v_cmp_ne_u32_e32 vcc, 25, v0
	s_and_saveexec_b64 s[8:9], vcc
	s_cbranch_execz .LBB125_857
; %bb.854:
	s_mov_b32 s10, 0
	v_add_u32_e32 v129, 0x104, v125
	v_add3_u32 v130, v125, s10, 4
	s_mov_b64 s[10:11], 0
	v_mov_b32_e32 v131, v0
.LBB125_855:                            ; =>This Inner Loop Header: Depth=1
	buffer_load_dword v132, v130, s[0:3], 0 offen
	ds_read_b32 v133, v129
	v_add_u32_e32 v131, 1, v131
	v_cmp_lt_u32_e32 vcc, 24, v131
	v_add_u32_e32 v129, 4, v129
	v_add_u32_e32 v130, 4, v130
	s_or_b64 s[10:11], vcc, s[10:11]
	s_waitcnt vmcnt(0) lgkmcnt(0)
	v_fmac_f32_e32 v128, v132, v133
	s_andn2_b64 exec, exec, s[10:11]
	s_cbranch_execnz .LBB125_855
; %bb.856:
	s_or_b64 exec, exec, s[10:11]
.LBB125_857:
	s_or_b64 exec, exec, s[8:9]
	v_mov_b32_e32 v129, 0
	ds_read_b32 v129, v129 offset:104
	s_waitcnt lgkmcnt(0)
	v_mul_f32_e32 v128, v128, v129
	buffer_store_dword v128, off, s[0:3], 0 offset:104
.LBB125_858:
	s_or_b64 exec, exec, s[6:7]
	buffer_load_dword v128, off, s[0:3], 0 offset:108
	v_cmp_gt_u32_e32 vcc, 27, v0
	s_waitcnt vmcnt(0)
	ds_write_b32 v126, v128
	s_waitcnt lgkmcnt(0)
	; wave barrier
	s_and_saveexec_b64 s[6:7], vcc
	s_cbranch_execz .LBB125_868
; %bb.859:
	s_and_b64 vcc, exec, s[4:5]
	s_cbranch_vccnz .LBB125_861
; %bb.860:
	buffer_load_dword v128, v127, s[0:3], 0 offen
	ds_read_b32 v129, v126
	s_waitcnt vmcnt(0) lgkmcnt(0)
	v_mul_f32_e32 v128, v128, v129
	s_cbranch_execz .LBB125_862
	s_branch .LBB125_863
.LBB125_861:
                                        ; implicit-def: $vgpr128
.LBB125_862:
	ds_read_b32 v128, v126
.LBB125_863:
	v_cmp_ne_u32_e32 vcc, 26, v0
	s_and_saveexec_b64 s[8:9], vcc
	s_cbranch_execz .LBB125_867
; %bb.864:
	s_mov_b32 s10, 0
	v_add_u32_e32 v129, 0x104, v125
	v_add3_u32 v130, v125, s10, 4
	s_mov_b64 s[10:11], 0
	v_mov_b32_e32 v131, v0
.LBB125_865:                            ; =>This Inner Loop Header: Depth=1
	buffer_load_dword v132, v130, s[0:3], 0 offen
	ds_read_b32 v133, v129
	v_add_u32_e32 v131, 1, v131
	v_cmp_lt_u32_e32 vcc, 25, v131
	v_add_u32_e32 v129, 4, v129
	v_add_u32_e32 v130, 4, v130
	s_or_b64 s[10:11], vcc, s[10:11]
	s_waitcnt vmcnt(0) lgkmcnt(0)
	v_fmac_f32_e32 v128, v132, v133
	s_andn2_b64 exec, exec, s[10:11]
	s_cbranch_execnz .LBB125_865
; %bb.866:
	s_or_b64 exec, exec, s[10:11]
.LBB125_867:
	s_or_b64 exec, exec, s[8:9]
	v_mov_b32_e32 v129, 0
	ds_read_b32 v129, v129 offset:108
	s_waitcnt lgkmcnt(0)
	v_mul_f32_e32 v128, v128, v129
	buffer_store_dword v128, off, s[0:3], 0 offset:108
.LBB125_868:
	s_or_b64 exec, exec, s[6:7]
	buffer_load_dword v128, off, s[0:3], 0 offset:112
	v_cmp_gt_u32_e32 vcc, 28, v0
	s_waitcnt vmcnt(0)
	ds_write_b32 v126, v128
	s_waitcnt lgkmcnt(0)
	; wave barrier
	s_and_saveexec_b64 s[6:7], vcc
	s_cbranch_execz .LBB125_878
; %bb.869:
	s_and_b64 vcc, exec, s[4:5]
	s_cbranch_vccnz .LBB125_871
; %bb.870:
	buffer_load_dword v128, v127, s[0:3], 0 offen
	ds_read_b32 v129, v126
	s_waitcnt vmcnt(0) lgkmcnt(0)
	v_mul_f32_e32 v128, v128, v129
	s_cbranch_execz .LBB125_872
	s_branch .LBB125_873
.LBB125_871:
                                        ; implicit-def: $vgpr128
.LBB125_872:
	ds_read_b32 v128, v126
.LBB125_873:
	v_cmp_ne_u32_e32 vcc, 27, v0
	s_and_saveexec_b64 s[8:9], vcc
	s_cbranch_execz .LBB125_877
; %bb.874:
	s_mov_b32 s10, 0
	v_add_u32_e32 v129, 0x104, v125
	v_add3_u32 v130, v125, s10, 4
	s_mov_b64 s[10:11], 0
	v_mov_b32_e32 v131, v0
.LBB125_875:                            ; =>This Inner Loop Header: Depth=1
	buffer_load_dword v132, v130, s[0:3], 0 offen
	ds_read_b32 v133, v129
	v_add_u32_e32 v131, 1, v131
	v_cmp_lt_u32_e32 vcc, 26, v131
	v_add_u32_e32 v129, 4, v129
	v_add_u32_e32 v130, 4, v130
	s_or_b64 s[10:11], vcc, s[10:11]
	s_waitcnt vmcnt(0) lgkmcnt(0)
	v_fmac_f32_e32 v128, v132, v133
	s_andn2_b64 exec, exec, s[10:11]
	s_cbranch_execnz .LBB125_875
; %bb.876:
	s_or_b64 exec, exec, s[10:11]
.LBB125_877:
	s_or_b64 exec, exec, s[8:9]
	v_mov_b32_e32 v129, 0
	ds_read_b32 v129, v129 offset:112
	s_waitcnt lgkmcnt(0)
	v_mul_f32_e32 v128, v128, v129
	buffer_store_dword v128, off, s[0:3], 0 offset:112
.LBB125_878:
	s_or_b64 exec, exec, s[6:7]
	buffer_load_dword v128, off, s[0:3], 0 offset:116
	v_cmp_gt_u32_e32 vcc, 29, v0
	s_waitcnt vmcnt(0)
	ds_write_b32 v126, v128
	s_waitcnt lgkmcnt(0)
	; wave barrier
	s_and_saveexec_b64 s[6:7], vcc
	s_cbranch_execz .LBB125_888
; %bb.879:
	s_and_b64 vcc, exec, s[4:5]
	s_cbranch_vccnz .LBB125_881
; %bb.880:
	buffer_load_dword v128, v127, s[0:3], 0 offen
	ds_read_b32 v129, v126
	s_waitcnt vmcnt(0) lgkmcnt(0)
	v_mul_f32_e32 v128, v128, v129
	s_cbranch_execz .LBB125_882
	s_branch .LBB125_883
.LBB125_881:
                                        ; implicit-def: $vgpr128
.LBB125_882:
	ds_read_b32 v128, v126
.LBB125_883:
	v_cmp_ne_u32_e32 vcc, 28, v0
	s_and_saveexec_b64 s[8:9], vcc
	s_cbranch_execz .LBB125_887
; %bb.884:
	s_mov_b32 s10, 0
	v_add_u32_e32 v129, 0x104, v125
	v_add3_u32 v130, v125, s10, 4
	s_mov_b64 s[10:11], 0
	v_mov_b32_e32 v131, v0
.LBB125_885:                            ; =>This Inner Loop Header: Depth=1
	buffer_load_dword v132, v130, s[0:3], 0 offen
	ds_read_b32 v133, v129
	v_add_u32_e32 v131, 1, v131
	v_cmp_lt_u32_e32 vcc, 27, v131
	v_add_u32_e32 v129, 4, v129
	v_add_u32_e32 v130, 4, v130
	s_or_b64 s[10:11], vcc, s[10:11]
	s_waitcnt vmcnt(0) lgkmcnt(0)
	v_fmac_f32_e32 v128, v132, v133
	s_andn2_b64 exec, exec, s[10:11]
	s_cbranch_execnz .LBB125_885
; %bb.886:
	s_or_b64 exec, exec, s[10:11]
.LBB125_887:
	s_or_b64 exec, exec, s[8:9]
	v_mov_b32_e32 v129, 0
	ds_read_b32 v129, v129 offset:116
	s_waitcnt lgkmcnt(0)
	v_mul_f32_e32 v128, v128, v129
	buffer_store_dword v128, off, s[0:3], 0 offset:116
.LBB125_888:
	s_or_b64 exec, exec, s[6:7]
	buffer_load_dword v128, off, s[0:3], 0 offset:120
	v_cmp_gt_u32_e32 vcc, 30, v0
	s_waitcnt vmcnt(0)
	ds_write_b32 v126, v128
	s_waitcnt lgkmcnt(0)
	; wave barrier
	s_and_saveexec_b64 s[6:7], vcc
	s_cbranch_execz .LBB125_898
; %bb.889:
	s_and_b64 vcc, exec, s[4:5]
	s_cbranch_vccnz .LBB125_891
; %bb.890:
	buffer_load_dword v128, v127, s[0:3], 0 offen
	ds_read_b32 v129, v126
	s_waitcnt vmcnt(0) lgkmcnt(0)
	v_mul_f32_e32 v128, v128, v129
	s_cbranch_execz .LBB125_892
	s_branch .LBB125_893
.LBB125_891:
                                        ; implicit-def: $vgpr128
.LBB125_892:
	ds_read_b32 v128, v126
.LBB125_893:
	v_cmp_ne_u32_e32 vcc, 29, v0
	s_and_saveexec_b64 s[8:9], vcc
	s_cbranch_execz .LBB125_897
; %bb.894:
	s_mov_b32 s10, 0
	v_add_u32_e32 v129, 0x104, v125
	v_add3_u32 v130, v125, s10, 4
	s_mov_b64 s[10:11], 0
	v_mov_b32_e32 v131, v0
.LBB125_895:                            ; =>This Inner Loop Header: Depth=1
	buffer_load_dword v132, v130, s[0:3], 0 offen
	ds_read_b32 v133, v129
	v_add_u32_e32 v131, 1, v131
	v_cmp_lt_u32_e32 vcc, 28, v131
	v_add_u32_e32 v129, 4, v129
	v_add_u32_e32 v130, 4, v130
	s_or_b64 s[10:11], vcc, s[10:11]
	s_waitcnt vmcnt(0) lgkmcnt(0)
	v_fmac_f32_e32 v128, v132, v133
	s_andn2_b64 exec, exec, s[10:11]
	s_cbranch_execnz .LBB125_895
; %bb.896:
	s_or_b64 exec, exec, s[10:11]
.LBB125_897:
	s_or_b64 exec, exec, s[8:9]
	v_mov_b32_e32 v129, 0
	ds_read_b32 v129, v129 offset:120
	s_waitcnt lgkmcnt(0)
	v_mul_f32_e32 v128, v128, v129
	buffer_store_dword v128, off, s[0:3], 0 offset:120
.LBB125_898:
	s_or_b64 exec, exec, s[6:7]
	buffer_load_dword v128, off, s[0:3], 0 offset:124
	v_cmp_gt_u32_e32 vcc, 31, v0
	s_waitcnt vmcnt(0)
	ds_write_b32 v126, v128
	s_waitcnt lgkmcnt(0)
	; wave barrier
	s_and_saveexec_b64 s[6:7], vcc
	s_cbranch_execz .LBB125_908
; %bb.899:
	s_and_b64 vcc, exec, s[4:5]
	s_cbranch_vccnz .LBB125_901
; %bb.900:
	buffer_load_dword v128, v127, s[0:3], 0 offen
	ds_read_b32 v129, v126
	s_waitcnt vmcnt(0) lgkmcnt(0)
	v_mul_f32_e32 v128, v128, v129
	s_cbranch_execz .LBB125_902
	s_branch .LBB125_903
.LBB125_901:
                                        ; implicit-def: $vgpr128
.LBB125_902:
	ds_read_b32 v128, v126
.LBB125_903:
	v_cmp_ne_u32_e32 vcc, 30, v0
	s_and_saveexec_b64 s[8:9], vcc
	s_cbranch_execz .LBB125_907
; %bb.904:
	s_mov_b32 s10, 0
	v_add_u32_e32 v129, 0x104, v125
	v_add3_u32 v130, v125, s10, 4
	s_mov_b64 s[10:11], 0
	v_mov_b32_e32 v131, v0
.LBB125_905:                            ; =>This Inner Loop Header: Depth=1
	buffer_load_dword v132, v130, s[0:3], 0 offen
	ds_read_b32 v133, v129
	v_add_u32_e32 v131, 1, v131
	v_cmp_lt_u32_e32 vcc, 29, v131
	v_add_u32_e32 v129, 4, v129
	v_add_u32_e32 v130, 4, v130
	s_or_b64 s[10:11], vcc, s[10:11]
	s_waitcnt vmcnt(0) lgkmcnt(0)
	v_fmac_f32_e32 v128, v132, v133
	s_andn2_b64 exec, exec, s[10:11]
	s_cbranch_execnz .LBB125_905
; %bb.906:
	s_or_b64 exec, exec, s[10:11]
.LBB125_907:
	s_or_b64 exec, exec, s[8:9]
	v_mov_b32_e32 v129, 0
	ds_read_b32 v129, v129 offset:124
	s_waitcnt lgkmcnt(0)
	v_mul_f32_e32 v128, v128, v129
	buffer_store_dword v128, off, s[0:3], 0 offset:124
.LBB125_908:
	s_or_b64 exec, exec, s[6:7]
	buffer_load_dword v128, off, s[0:3], 0 offset:128
	v_cmp_gt_u32_e32 vcc, 32, v0
	s_waitcnt vmcnt(0)
	ds_write_b32 v126, v128
	s_waitcnt lgkmcnt(0)
	; wave barrier
	s_and_saveexec_b64 s[6:7], vcc
	s_cbranch_execz .LBB125_918
; %bb.909:
	s_and_b64 vcc, exec, s[4:5]
	s_cbranch_vccnz .LBB125_911
; %bb.910:
	buffer_load_dword v128, v127, s[0:3], 0 offen
	ds_read_b32 v129, v126
	s_waitcnt vmcnt(0) lgkmcnt(0)
	v_mul_f32_e32 v128, v128, v129
	s_cbranch_execz .LBB125_912
	s_branch .LBB125_913
.LBB125_911:
                                        ; implicit-def: $vgpr128
.LBB125_912:
	ds_read_b32 v128, v126
.LBB125_913:
	v_cmp_ne_u32_e32 vcc, 31, v0
	s_and_saveexec_b64 s[8:9], vcc
	s_cbranch_execz .LBB125_917
; %bb.914:
	s_mov_b32 s10, 0
	v_add_u32_e32 v129, 0x104, v125
	v_add3_u32 v130, v125, s10, 4
	s_mov_b64 s[10:11], 0
	v_mov_b32_e32 v131, v0
.LBB125_915:                            ; =>This Inner Loop Header: Depth=1
	buffer_load_dword v132, v130, s[0:3], 0 offen
	ds_read_b32 v133, v129
	v_add_u32_e32 v131, 1, v131
	v_cmp_lt_u32_e32 vcc, 30, v131
	v_add_u32_e32 v129, 4, v129
	v_add_u32_e32 v130, 4, v130
	s_or_b64 s[10:11], vcc, s[10:11]
	s_waitcnt vmcnt(0) lgkmcnt(0)
	v_fmac_f32_e32 v128, v132, v133
	s_andn2_b64 exec, exec, s[10:11]
	s_cbranch_execnz .LBB125_915
; %bb.916:
	s_or_b64 exec, exec, s[10:11]
.LBB125_917:
	s_or_b64 exec, exec, s[8:9]
	v_mov_b32_e32 v129, 0
	ds_read_b32 v129, v129 offset:128
	s_waitcnt lgkmcnt(0)
	v_mul_f32_e32 v128, v128, v129
	buffer_store_dword v128, off, s[0:3], 0 offset:128
.LBB125_918:
	s_or_b64 exec, exec, s[6:7]
	buffer_load_dword v128, off, s[0:3], 0 offset:132
	v_cmp_gt_u32_e32 vcc, 33, v0
	s_waitcnt vmcnt(0)
	ds_write_b32 v126, v128
	s_waitcnt lgkmcnt(0)
	; wave barrier
	s_and_saveexec_b64 s[6:7], vcc
	s_cbranch_execz .LBB125_928
; %bb.919:
	s_and_b64 vcc, exec, s[4:5]
	s_cbranch_vccnz .LBB125_921
; %bb.920:
	buffer_load_dword v128, v127, s[0:3], 0 offen
	ds_read_b32 v129, v126
	s_waitcnt vmcnt(0) lgkmcnt(0)
	v_mul_f32_e32 v128, v128, v129
	s_cbranch_execz .LBB125_922
	s_branch .LBB125_923
.LBB125_921:
                                        ; implicit-def: $vgpr128
.LBB125_922:
	ds_read_b32 v128, v126
.LBB125_923:
	v_cmp_ne_u32_e32 vcc, 32, v0
	s_and_saveexec_b64 s[8:9], vcc
	s_cbranch_execz .LBB125_927
; %bb.924:
	s_mov_b32 s10, 0
	v_add_u32_e32 v129, 0x104, v125
	v_add3_u32 v130, v125, s10, 4
	s_mov_b64 s[10:11], 0
	v_mov_b32_e32 v131, v0
.LBB125_925:                            ; =>This Inner Loop Header: Depth=1
	buffer_load_dword v132, v130, s[0:3], 0 offen
	ds_read_b32 v133, v129
	v_add_u32_e32 v131, 1, v131
	v_cmp_lt_u32_e32 vcc, 31, v131
	v_add_u32_e32 v129, 4, v129
	v_add_u32_e32 v130, 4, v130
	s_or_b64 s[10:11], vcc, s[10:11]
	s_waitcnt vmcnt(0) lgkmcnt(0)
	v_fmac_f32_e32 v128, v132, v133
	s_andn2_b64 exec, exec, s[10:11]
	s_cbranch_execnz .LBB125_925
; %bb.926:
	s_or_b64 exec, exec, s[10:11]
.LBB125_927:
	s_or_b64 exec, exec, s[8:9]
	v_mov_b32_e32 v129, 0
	ds_read_b32 v129, v129 offset:132
	s_waitcnt lgkmcnt(0)
	v_mul_f32_e32 v128, v128, v129
	buffer_store_dword v128, off, s[0:3], 0 offset:132
.LBB125_928:
	s_or_b64 exec, exec, s[6:7]
	buffer_load_dword v128, off, s[0:3], 0 offset:136
	v_cmp_gt_u32_e32 vcc, 34, v0
	s_waitcnt vmcnt(0)
	ds_write_b32 v126, v128
	s_waitcnt lgkmcnt(0)
	; wave barrier
	s_and_saveexec_b64 s[6:7], vcc
	s_cbranch_execz .LBB125_938
; %bb.929:
	s_and_b64 vcc, exec, s[4:5]
	s_cbranch_vccnz .LBB125_931
; %bb.930:
	buffer_load_dword v128, v127, s[0:3], 0 offen
	ds_read_b32 v129, v126
	s_waitcnt vmcnt(0) lgkmcnt(0)
	v_mul_f32_e32 v128, v128, v129
	s_cbranch_execz .LBB125_932
	s_branch .LBB125_933
.LBB125_931:
                                        ; implicit-def: $vgpr128
.LBB125_932:
	ds_read_b32 v128, v126
.LBB125_933:
	v_cmp_ne_u32_e32 vcc, 33, v0
	s_and_saveexec_b64 s[8:9], vcc
	s_cbranch_execz .LBB125_937
; %bb.934:
	s_mov_b32 s10, 0
	v_add_u32_e32 v129, 0x104, v125
	v_add3_u32 v130, v125, s10, 4
	s_mov_b64 s[10:11], 0
	v_mov_b32_e32 v131, v0
.LBB125_935:                            ; =>This Inner Loop Header: Depth=1
	buffer_load_dword v132, v130, s[0:3], 0 offen
	ds_read_b32 v133, v129
	v_add_u32_e32 v131, 1, v131
	v_cmp_lt_u32_e32 vcc, 32, v131
	v_add_u32_e32 v129, 4, v129
	v_add_u32_e32 v130, 4, v130
	s_or_b64 s[10:11], vcc, s[10:11]
	s_waitcnt vmcnt(0) lgkmcnt(0)
	v_fmac_f32_e32 v128, v132, v133
	s_andn2_b64 exec, exec, s[10:11]
	s_cbranch_execnz .LBB125_935
; %bb.936:
	s_or_b64 exec, exec, s[10:11]
.LBB125_937:
	s_or_b64 exec, exec, s[8:9]
	v_mov_b32_e32 v129, 0
	ds_read_b32 v129, v129 offset:136
	s_waitcnt lgkmcnt(0)
	v_mul_f32_e32 v128, v128, v129
	buffer_store_dword v128, off, s[0:3], 0 offset:136
.LBB125_938:
	s_or_b64 exec, exec, s[6:7]
	buffer_load_dword v128, off, s[0:3], 0 offset:140
	v_cmp_gt_u32_e32 vcc, 35, v0
	s_waitcnt vmcnt(0)
	ds_write_b32 v126, v128
	s_waitcnt lgkmcnt(0)
	; wave barrier
	s_and_saveexec_b64 s[6:7], vcc
	s_cbranch_execz .LBB125_948
; %bb.939:
	s_and_b64 vcc, exec, s[4:5]
	s_cbranch_vccnz .LBB125_941
; %bb.940:
	buffer_load_dword v128, v127, s[0:3], 0 offen
	ds_read_b32 v129, v126
	s_waitcnt vmcnt(0) lgkmcnt(0)
	v_mul_f32_e32 v128, v128, v129
	s_cbranch_execz .LBB125_942
	s_branch .LBB125_943
.LBB125_941:
                                        ; implicit-def: $vgpr128
.LBB125_942:
	ds_read_b32 v128, v126
.LBB125_943:
	v_cmp_ne_u32_e32 vcc, 34, v0
	s_and_saveexec_b64 s[8:9], vcc
	s_cbranch_execz .LBB125_947
; %bb.944:
	s_mov_b32 s10, 0
	v_add_u32_e32 v129, 0x104, v125
	v_add3_u32 v130, v125, s10, 4
	s_mov_b64 s[10:11], 0
	v_mov_b32_e32 v131, v0
.LBB125_945:                            ; =>This Inner Loop Header: Depth=1
	buffer_load_dword v132, v130, s[0:3], 0 offen
	ds_read_b32 v133, v129
	v_add_u32_e32 v131, 1, v131
	v_cmp_lt_u32_e32 vcc, 33, v131
	v_add_u32_e32 v129, 4, v129
	v_add_u32_e32 v130, 4, v130
	s_or_b64 s[10:11], vcc, s[10:11]
	s_waitcnt vmcnt(0) lgkmcnt(0)
	v_fmac_f32_e32 v128, v132, v133
	s_andn2_b64 exec, exec, s[10:11]
	s_cbranch_execnz .LBB125_945
; %bb.946:
	s_or_b64 exec, exec, s[10:11]
.LBB125_947:
	s_or_b64 exec, exec, s[8:9]
	v_mov_b32_e32 v129, 0
	ds_read_b32 v129, v129 offset:140
	s_waitcnt lgkmcnt(0)
	v_mul_f32_e32 v128, v128, v129
	buffer_store_dword v128, off, s[0:3], 0 offset:140
.LBB125_948:
	s_or_b64 exec, exec, s[6:7]
	buffer_load_dword v128, off, s[0:3], 0 offset:144
	v_cmp_gt_u32_e32 vcc, 36, v0
	s_waitcnt vmcnt(0)
	ds_write_b32 v126, v128
	s_waitcnt lgkmcnt(0)
	; wave barrier
	s_and_saveexec_b64 s[6:7], vcc
	s_cbranch_execz .LBB125_958
; %bb.949:
	s_and_b64 vcc, exec, s[4:5]
	s_cbranch_vccnz .LBB125_951
; %bb.950:
	buffer_load_dword v128, v127, s[0:3], 0 offen
	ds_read_b32 v129, v126
	s_waitcnt vmcnt(0) lgkmcnt(0)
	v_mul_f32_e32 v128, v128, v129
	s_cbranch_execz .LBB125_952
	s_branch .LBB125_953
.LBB125_951:
                                        ; implicit-def: $vgpr128
.LBB125_952:
	ds_read_b32 v128, v126
.LBB125_953:
	v_cmp_ne_u32_e32 vcc, 35, v0
	s_and_saveexec_b64 s[8:9], vcc
	s_cbranch_execz .LBB125_957
; %bb.954:
	s_mov_b32 s10, 0
	v_add_u32_e32 v129, 0x104, v125
	v_add3_u32 v130, v125, s10, 4
	s_mov_b64 s[10:11], 0
	v_mov_b32_e32 v131, v0
.LBB125_955:                            ; =>This Inner Loop Header: Depth=1
	buffer_load_dword v132, v130, s[0:3], 0 offen
	ds_read_b32 v133, v129
	v_add_u32_e32 v131, 1, v131
	v_cmp_lt_u32_e32 vcc, 34, v131
	v_add_u32_e32 v129, 4, v129
	v_add_u32_e32 v130, 4, v130
	s_or_b64 s[10:11], vcc, s[10:11]
	s_waitcnt vmcnt(0) lgkmcnt(0)
	v_fmac_f32_e32 v128, v132, v133
	s_andn2_b64 exec, exec, s[10:11]
	s_cbranch_execnz .LBB125_955
; %bb.956:
	s_or_b64 exec, exec, s[10:11]
.LBB125_957:
	s_or_b64 exec, exec, s[8:9]
	v_mov_b32_e32 v129, 0
	ds_read_b32 v129, v129 offset:144
	s_waitcnt lgkmcnt(0)
	v_mul_f32_e32 v128, v128, v129
	buffer_store_dword v128, off, s[0:3], 0 offset:144
.LBB125_958:
	s_or_b64 exec, exec, s[6:7]
	buffer_load_dword v128, off, s[0:3], 0 offset:148
	v_cmp_gt_u32_e32 vcc, 37, v0
	s_waitcnt vmcnt(0)
	ds_write_b32 v126, v128
	s_waitcnt lgkmcnt(0)
	; wave barrier
	s_and_saveexec_b64 s[6:7], vcc
	s_cbranch_execz .LBB125_968
; %bb.959:
	s_and_b64 vcc, exec, s[4:5]
	s_cbranch_vccnz .LBB125_961
; %bb.960:
	buffer_load_dword v128, v127, s[0:3], 0 offen
	ds_read_b32 v129, v126
	s_waitcnt vmcnt(0) lgkmcnt(0)
	v_mul_f32_e32 v128, v128, v129
	s_cbranch_execz .LBB125_962
	s_branch .LBB125_963
.LBB125_961:
                                        ; implicit-def: $vgpr128
.LBB125_962:
	ds_read_b32 v128, v126
.LBB125_963:
	v_cmp_ne_u32_e32 vcc, 36, v0
	s_and_saveexec_b64 s[8:9], vcc
	s_cbranch_execz .LBB125_967
; %bb.964:
	s_mov_b32 s10, 0
	v_add_u32_e32 v129, 0x104, v125
	v_add3_u32 v130, v125, s10, 4
	s_mov_b64 s[10:11], 0
	v_mov_b32_e32 v131, v0
.LBB125_965:                            ; =>This Inner Loop Header: Depth=1
	buffer_load_dword v132, v130, s[0:3], 0 offen
	ds_read_b32 v133, v129
	v_add_u32_e32 v131, 1, v131
	v_cmp_lt_u32_e32 vcc, 35, v131
	v_add_u32_e32 v129, 4, v129
	v_add_u32_e32 v130, 4, v130
	s_or_b64 s[10:11], vcc, s[10:11]
	s_waitcnt vmcnt(0) lgkmcnt(0)
	v_fmac_f32_e32 v128, v132, v133
	s_andn2_b64 exec, exec, s[10:11]
	s_cbranch_execnz .LBB125_965
; %bb.966:
	s_or_b64 exec, exec, s[10:11]
.LBB125_967:
	s_or_b64 exec, exec, s[8:9]
	v_mov_b32_e32 v129, 0
	ds_read_b32 v129, v129 offset:148
	s_waitcnt lgkmcnt(0)
	v_mul_f32_e32 v128, v128, v129
	buffer_store_dword v128, off, s[0:3], 0 offset:148
.LBB125_968:
	s_or_b64 exec, exec, s[6:7]
	buffer_load_dword v128, off, s[0:3], 0 offset:152
	v_cmp_gt_u32_e32 vcc, 38, v0
	s_waitcnt vmcnt(0)
	ds_write_b32 v126, v128
	s_waitcnt lgkmcnt(0)
	; wave barrier
	s_and_saveexec_b64 s[6:7], vcc
	s_cbranch_execz .LBB125_978
; %bb.969:
	s_and_b64 vcc, exec, s[4:5]
	s_cbranch_vccnz .LBB125_971
; %bb.970:
	buffer_load_dword v128, v127, s[0:3], 0 offen
	ds_read_b32 v129, v126
	s_waitcnt vmcnt(0) lgkmcnt(0)
	v_mul_f32_e32 v128, v128, v129
	s_cbranch_execz .LBB125_972
	s_branch .LBB125_973
.LBB125_971:
                                        ; implicit-def: $vgpr128
.LBB125_972:
	ds_read_b32 v128, v126
.LBB125_973:
	v_cmp_ne_u32_e32 vcc, 37, v0
	s_and_saveexec_b64 s[8:9], vcc
	s_cbranch_execz .LBB125_977
; %bb.974:
	s_mov_b32 s10, 0
	v_add_u32_e32 v129, 0x104, v125
	v_add3_u32 v130, v125, s10, 4
	s_mov_b64 s[10:11], 0
	v_mov_b32_e32 v131, v0
.LBB125_975:                            ; =>This Inner Loop Header: Depth=1
	buffer_load_dword v132, v130, s[0:3], 0 offen
	ds_read_b32 v133, v129
	v_add_u32_e32 v131, 1, v131
	v_cmp_lt_u32_e32 vcc, 36, v131
	v_add_u32_e32 v129, 4, v129
	v_add_u32_e32 v130, 4, v130
	s_or_b64 s[10:11], vcc, s[10:11]
	s_waitcnt vmcnt(0) lgkmcnt(0)
	v_fmac_f32_e32 v128, v132, v133
	s_andn2_b64 exec, exec, s[10:11]
	s_cbranch_execnz .LBB125_975
; %bb.976:
	s_or_b64 exec, exec, s[10:11]
.LBB125_977:
	s_or_b64 exec, exec, s[8:9]
	v_mov_b32_e32 v129, 0
	ds_read_b32 v129, v129 offset:152
	s_waitcnt lgkmcnt(0)
	v_mul_f32_e32 v128, v128, v129
	buffer_store_dword v128, off, s[0:3], 0 offset:152
.LBB125_978:
	s_or_b64 exec, exec, s[6:7]
	buffer_load_dword v128, off, s[0:3], 0 offset:156
	v_cmp_gt_u32_e32 vcc, 39, v0
	s_waitcnt vmcnt(0)
	ds_write_b32 v126, v128
	s_waitcnt lgkmcnt(0)
	; wave barrier
	s_and_saveexec_b64 s[6:7], vcc
	s_cbranch_execz .LBB125_988
; %bb.979:
	s_and_b64 vcc, exec, s[4:5]
	s_cbranch_vccnz .LBB125_981
; %bb.980:
	buffer_load_dword v128, v127, s[0:3], 0 offen
	ds_read_b32 v129, v126
	s_waitcnt vmcnt(0) lgkmcnt(0)
	v_mul_f32_e32 v128, v128, v129
	s_cbranch_execz .LBB125_982
	s_branch .LBB125_983
.LBB125_981:
                                        ; implicit-def: $vgpr128
.LBB125_982:
	ds_read_b32 v128, v126
.LBB125_983:
	v_cmp_ne_u32_e32 vcc, 38, v0
	s_and_saveexec_b64 s[8:9], vcc
	s_cbranch_execz .LBB125_987
; %bb.984:
	s_mov_b32 s10, 0
	v_add_u32_e32 v129, 0x104, v125
	v_add3_u32 v130, v125, s10, 4
	s_mov_b64 s[10:11], 0
	v_mov_b32_e32 v131, v0
.LBB125_985:                            ; =>This Inner Loop Header: Depth=1
	buffer_load_dword v132, v130, s[0:3], 0 offen
	ds_read_b32 v133, v129
	v_add_u32_e32 v131, 1, v131
	v_cmp_lt_u32_e32 vcc, 37, v131
	v_add_u32_e32 v129, 4, v129
	v_add_u32_e32 v130, 4, v130
	s_or_b64 s[10:11], vcc, s[10:11]
	s_waitcnt vmcnt(0) lgkmcnt(0)
	v_fmac_f32_e32 v128, v132, v133
	s_andn2_b64 exec, exec, s[10:11]
	s_cbranch_execnz .LBB125_985
; %bb.986:
	s_or_b64 exec, exec, s[10:11]
.LBB125_987:
	s_or_b64 exec, exec, s[8:9]
	v_mov_b32_e32 v129, 0
	ds_read_b32 v129, v129 offset:156
	s_waitcnt lgkmcnt(0)
	v_mul_f32_e32 v128, v128, v129
	buffer_store_dword v128, off, s[0:3], 0 offset:156
.LBB125_988:
	s_or_b64 exec, exec, s[6:7]
	buffer_load_dword v128, off, s[0:3], 0 offset:160
	v_cmp_gt_u32_e32 vcc, 40, v0
	s_waitcnt vmcnt(0)
	ds_write_b32 v126, v128
	s_waitcnt lgkmcnt(0)
	; wave barrier
	s_and_saveexec_b64 s[6:7], vcc
	s_cbranch_execz .LBB125_998
; %bb.989:
	s_and_b64 vcc, exec, s[4:5]
	s_cbranch_vccnz .LBB125_991
; %bb.990:
	buffer_load_dword v128, v127, s[0:3], 0 offen
	ds_read_b32 v129, v126
	s_waitcnt vmcnt(0) lgkmcnt(0)
	v_mul_f32_e32 v128, v128, v129
	s_cbranch_execz .LBB125_992
	s_branch .LBB125_993
.LBB125_991:
                                        ; implicit-def: $vgpr128
.LBB125_992:
	ds_read_b32 v128, v126
.LBB125_993:
	v_cmp_ne_u32_e32 vcc, 39, v0
	s_and_saveexec_b64 s[8:9], vcc
	s_cbranch_execz .LBB125_997
; %bb.994:
	s_mov_b32 s10, 0
	v_add_u32_e32 v129, 0x104, v125
	v_add3_u32 v130, v125, s10, 4
	s_mov_b64 s[10:11], 0
	v_mov_b32_e32 v131, v0
.LBB125_995:                            ; =>This Inner Loop Header: Depth=1
	buffer_load_dword v132, v130, s[0:3], 0 offen
	ds_read_b32 v133, v129
	v_add_u32_e32 v131, 1, v131
	v_cmp_lt_u32_e32 vcc, 38, v131
	v_add_u32_e32 v129, 4, v129
	v_add_u32_e32 v130, 4, v130
	s_or_b64 s[10:11], vcc, s[10:11]
	s_waitcnt vmcnt(0) lgkmcnt(0)
	v_fmac_f32_e32 v128, v132, v133
	s_andn2_b64 exec, exec, s[10:11]
	s_cbranch_execnz .LBB125_995
; %bb.996:
	s_or_b64 exec, exec, s[10:11]
.LBB125_997:
	s_or_b64 exec, exec, s[8:9]
	v_mov_b32_e32 v129, 0
	ds_read_b32 v129, v129 offset:160
	s_waitcnt lgkmcnt(0)
	v_mul_f32_e32 v128, v128, v129
	buffer_store_dword v128, off, s[0:3], 0 offset:160
.LBB125_998:
	s_or_b64 exec, exec, s[6:7]
	buffer_load_dword v128, off, s[0:3], 0 offset:164
	v_cmp_gt_u32_e32 vcc, 41, v0
	s_waitcnt vmcnt(0)
	ds_write_b32 v126, v128
	s_waitcnt lgkmcnt(0)
	; wave barrier
	s_and_saveexec_b64 s[6:7], vcc
	s_cbranch_execz .LBB125_1008
; %bb.999:
	s_and_b64 vcc, exec, s[4:5]
	s_cbranch_vccnz .LBB125_1001
; %bb.1000:
	buffer_load_dword v128, v127, s[0:3], 0 offen
	ds_read_b32 v129, v126
	s_waitcnt vmcnt(0) lgkmcnt(0)
	v_mul_f32_e32 v128, v128, v129
	s_cbranch_execz .LBB125_1002
	s_branch .LBB125_1003
.LBB125_1001:
                                        ; implicit-def: $vgpr128
.LBB125_1002:
	ds_read_b32 v128, v126
.LBB125_1003:
	v_cmp_ne_u32_e32 vcc, 40, v0
	s_and_saveexec_b64 s[8:9], vcc
	s_cbranch_execz .LBB125_1007
; %bb.1004:
	s_mov_b32 s10, 0
	v_add_u32_e32 v129, 0x104, v125
	v_add3_u32 v130, v125, s10, 4
	s_mov_b64 s[10:11], 0
	v_mov_b32_e32 v131, v0
.LBB125_1005:                           ; =>This Inner Loop Header: Depth=1
	buffer_load_dword v132, v130, s[0:3], 0 offen
	ds_read_b32 v133, v129
	v_add_u32_e32 v131, 1, v131
	v_cmp_lt_u32_e32 vcc, 39, v131
	v_add_u32_e32 v129, 4, v129
	v_add_u32_e32 v130, 4, v130
	s_or_b64 s[10:11], vcc, s[10:11]
	s_waitcnt vmcnt(0) lgkmcnt(0)
	v_fmac_f32_e32 v128, v132, v133
	s_andn2_b64 exec, exec, s[10:11]
	s_cbranch_execnz .LBB125_1005
; %bb.1006:
	s_or_b64 exec, exec, s[10:11]
.LBB125_1007:
	s_or_b64 exec, exec, s[8:9]
	v_mov_b32_e32 v129, 0
	ds_read_b32 v129, v129 offset:164
	s_waitcnt lgkmcnt(0)
	v_mul_f32_e32 v128, v128, v129
	buffer_store_dword v128, off, s[0:3], 0 offset:164
.LBB125_1008:
	s_or_b64 exec, exec, s[6:7]
	buffer_load_dword v128, off, s[0:3], 0 offset:168
	v_cmp_gt_u32_e32 vcc, 42, v0
	s_waitcnt vmcnt(0)
	ds_write_b32 v126, v128
	s_waitcnt lgkmcnt(0)
	; wave barrier
	s_and_saveexec_b64 s[6:7], vcc
	s_cbranch_execz .LBB125_1018
; %bb.1009:
	s_and_b64 vcc, exec, s[4:5]
	s_cbranch_vccnz .LBB125_1011
; %bb.1010:
	buffer_load_dword v128, v127, s[0:3], 0 offen
	ds_read_b32 v129, v126
	s_waitcnt vmcnt(0) lgkmcnt(0)
	v_mul_f32_e32 v128, v128, v129
	s_cbranch_execz .LBB125_1012
	s_branch .LBB125_1013
.LBB125_1011:
                                        ; implicit-def: $vgpr128
.LBB125_1012:
	ds_read_b32 v128, v126
.LBB125_1013:
	v_cmp_ne_u32_e32 vcc, 41, v0
	s_and_saveexec_b64 s[8:9], vcc
	s_cbranch_execz .LBB125_1017
; %bb.1014:
	s_mov_b32 s10, 0
	v_add_u32_e32 v129, 0x104, v125
	v_add3_u32 v130, v125, s10, 4
	s_mov_b64 s[10:11], 0
	v_mov_b32_e32 v131, v0
.LBB125_1015:                           ; =>This Inner Loop Header: Depth=1
	buffer_load_dword v132, v130, s[0:3], 0 offen
	ds_read_b32 v133, v129
	v_add_u32_e32 v131, 1, v131
	v_cmp_lt_u32_e32 vcc, 40, v131
	v_add_u32_e32 v129, 4, v129
	v_add_u32_e32 v130, 4, v130
	s_or_b64 s[10:11], vcc, s[10:11]
	s_waitcnt vmcnt(0) lgkmcnt(0)
	v_fmac_f32_e32 v128, v132, v133
	s_andn2_b64 exec, exec, s[10:11]
	s_cbranch_execnz .LBB125_1015
; %bb.1016:
	s_or_b64 exec, exec, s[10:11]
.LBB125_1017:
	s_or_b64 exec, exec, s[8:9]
	v_mov_b32_e32 v129, 0
	ds_read_b32 v129, v129 offset:168
	s_waitcnt lgkmcnt(0)
	v_mul_f32_e32 v128, v128, v129
	buffer_store_dword v128, off, s[0:3], 0 offset:168
.LBB125_1018:
	;; [unrolled: 55-line block ×19, first 2 shown]
	s_or_b64 exec, exec, s[6:7]
	buffer_load_dword v128, off, s[0:3], 0 offset:240
	v_cmp_gt_u32_e64 s[6:7], 60, v0
	s_waitcnt vmcnt(0)
	ds_write_b32 v126, v128
	s_waitcnt lgkmcnt(0)
	; wave barrier
	s_and_saveexec_b64 s[8:9], s[6:7]
	s_cbranch_execz .LBB125_1198
; %bb.1189:
	s_and_b64 vcc, exec, s[4:5]
	s_cbranch_vccnz .LBB125_1191
; %bb.1190:
	buffer_load_dword v128, v127, s[0:3], 0 offen
	ds_read_b32 v129, v126
	s_waitcnt vmcnt(0) lgkmcnt(0)
	v_mul_f32_e32 v128, v128, v129
	s_cbranch_execz .LBB125_1192
	s_branch .LBB125_1193
.LBB125_1191:
                                        ; implicit-def: $vgpr128
.LBB125_1192:
	ds_read_b32 v128, v126
.LBB125_1193:
	v_cmp_ne_u32_e32 vcc, 59, v0
	s_and_saveexec_b64 s[10:11], vcc
	s_cbranch_execz .LBB125_1197
; %bb.1194:
	s_mov_b32 s12, 0
	v_add_u32_e32 v129, 0x104, v125
	v_add3_u32 v130, v125, s12, 4
	s_mov_b64 s[12:13], 0
	v_mov_b32_e32 v131, v0
.LBB125_1195:                           ; =>This Inner Loop Header: Depth=1
	buffer_load_dword v132, v130, s[0:3], 0 offen
	ds_read_b32 v133, v129
	v_add_u32_e32 v131, 1, v131
	v_cmp_lt_u32_e32 vcc, 58, v131
	v_add_u32_e32 v129, 4, v129
	v_add_u32_e32 v130, 4, v130
	s_or_b64 s[12:13], vcc, s[12:13]
	s_waitcnt vmcnt(0) lgkmcnt(0)
	v_fmac_f32_e32 v128, v132, v133
	s_andn2_b64 exec, exec, s[12:13]
	s_cbranch_execnz .LBB125_1195
; %bb.1196:
	s_or_b64 exec, exec, s[12:13]
.LBB125_1197:
	s_or_b64 exec, exec, s[10:11]
	v_mov_b32_e32 v129, 0
	ds_read_b32 v129, v129 offset:240
	s_waitcnt lgkmcnt(0)
	v_mul_f32_e32 v128, v128, v129
	buffer_store_dword v128, off, s[0:3], 0 offset:240
.LBB125_1198:
	s_or_b64 exec, exec, s[8:9]
	buffer_load_dword v128, off, s[0:3], 0 offset:244
	v_cmp_ne_u32_e32 vcc, 61, v0
	s_waitcnt vmcnt(0)
	ds_write_b32 v126, v128
	s_waitcnt lgkmcnt(0)
	; wave barrier
	s_and_saveexec_b64 s[8:9], vcc
	s_cbranch_execz .LBB125_1208
; %bb.1199:
	s_and_b64 vcc, exec, s[4:5]
	s_cbranch_vccnz .LBB125_1201
; %bb.1200:
	buffer_load_dword v127, v127, s[0:3], 0 offen
	ds_read_b32 v128, v126
	s_waitcnt vmcnt(0) lgkmcnt(0)
	v_mul_f32_e32 v127, v127, v128
	s_cbranch_execz .LBB125_1202
	s_branch .LBB125_1203
.LBB125_1201:
                                        ; implicit-def: $vgpr127
.LBB125_1202:
	ds_read_b32 v127, v126
.LBB125_1203:
	s_and_saveexec_b64 s[4:5], s[6:7]
	s_cbranch_execz .LBB125_1207
; %bb.1204:
	s_mov_b32 s6, 0
	v_add_u32_e32 v126, 0x104, v125
	v_add3_u32 v125, v125, s6, 4
	s_mov_b64 s[6:7], 0
.LBB125_1205:                           ; =>This Inner Loop Header: Depth=1
	buffer_load_dword v128, v125, s[0:3], 0 offen
	ds_read_b32 v129, v126
	v_add_u32_e32 v0, 1, v0
	v_cmp_lt_u32_e32 vcc, 59, v0
	v_add_u32_e32 v126, 4, v126
	v_add_u32_e32 v125, 4, v125
	s_or_b64 s[6:7], vcc, s[6:7]
	s_waitcnt vmcnt(0) lgkmcnt(0)
	v_fmac_f32_e32 v127, v128, v129
	s_andn2_b64 exec, exec, s[6:7]
	s_cbranch_execnz .LBB125_1205
; %bb.1206:
	s_or_b64 exec, exec, s[6:7]
.LBB125_1207:
	s_or_b64 exec, exec, s[4:5]
	v_mov_b32_e32 v0, 0
	ds_read_b32 v0, v0 offset:244
	s_waitcnt lgkmcnt(0)
	v_mul_f32_e32 v0, v127, v0
	buffer_store_dword v0, off, s[0:3], 0 offset:244
.LBB125_1208:
	s_or_b64 exec, exec, s[8:9]
.LBB125_1209:
	buffer_load_dword v0, off, s[0:3], 0
	s_waitcnt vmcnt(0)
	flat_store_dword v[1:2], v0
	buffer_load_dword v0, off, s[0:3], 0 offset:4
	s_waitcnt vmcnt(0)
	flat_store_dword v[3:4], v0
	buffer_load_dword v0, off, s[0:3], 0 offset:8
	;; [unrolled: 3-line block ×61, first 2 shown]
	s_waitcnt vmcnt(0)
	flat_store_dword v[123:124], v0
.LBB125_1210:
	s_endpgm
	.section	.rodata,"a",@progbits
	.p2align	6, 0x0
	.amdhsa_kernel _ZN9rocsolver6v33100L18trti2_kernel_smallILi62EfPKPfEEv13rocblas_fill_17rocblas_diagonal_T1_iil
		.amdhsa_group_segment_fixed_size 504
		.amdhsa_private_segment_fixed_size 256
		.amdhsa_kernarg_size 32
		.amdhsa_user_sgpr_count 6
		.amdhsa_user_sgpr_private_segment_buffer 1
		.amdhsa_user_sgpr_dispatch_ptr 0
		.amdhsa_user_sgpr_queue_ptr 0
		.amdhsa_user_sgpr_kernarg_segment_ptr 1
		.amdhsa_user_sgpr_dispatch_id 0
		.amdhsa_user_sgpr_flat_scratch_init 0
		.amdhsa_user_sgpr_private_segment_size 0
		.amdhsa_uses_dynamic_stack 0
		.amdhsa_system_sgpr_private_segment_wavefront_offset 1
		.amdhsa_system_sgpr_workgroup_id_x 1
		.amdhsa_system_sgpr_workgroup_id_y 0
		.amdhsa_system_sgpr_workgroup_id_z 0
		.amdhsa_system_sgpr_workgroup_info 0
		.amdhsa_system_vgpr_workitem_id 0
		.amdhsa_next_free_vgpr 134
		.amdhsa_next_free_sgpr 75
		.amdhsa_reserve_vcc 1
		.amdhsa_reserve_flat_scratch 0
		.amdhsa_float_round_mode_32 0
		.amdhsa_float_round_mode_16_64 0
		.amdhsa_float_denorm_mode_32 3
		.amdhsa_float_denorm_mode_16_64 3
		.amdhsa_dx10_clamp 1
		.amdhsa_ieee_mode 1
		.amdhsa_fp16_overflow 0
		.amdhsa_exception_fp_ieee_invalid_op 0
		.amdhsa_exception_fp_denorm_src 0
		.amdhsa_exception_fp_ieee_div_zero 0
		.amdhsa_exception_fp_ieee_overflow 0
		.amdhsa_exception_fp_ieee_underflow 0
		.amdhsa_exception_fp_ieee_inexact 0
		.amdhsa_exception_int_div_zero 0
	.end_amdhsa_kernel
	.section	.text._ZN9rocsolver6v33100L18trti2_kernel_smallILi62EfPKPfEEv13rocblas_fill_17rocblas_diagonal_T1_iil,"axG",@progbits,_ZN9rocsolver6v33100L18trti2_kernel_smallILi62EfPKPfEEv13rocblas_fill_17rocblas_diagonal_T1_iil,comdat
.Lfunc_end125:
	.size	_ZN9rocsolver6v33100L18trti2_kernel_smallILi62EfPKPfEEv13rocblas_fill_17rocblas_diagonal_T1_iil, .Lfunc_end125-_ZN9rocsolver6v33100L18trti2_kernel_smallILi62EfPKPfEEv13rocblas_fill_17rocblas_diagonal_T1_iil
                                        ; -- End function
	.set _ZN9rocsolver6v33100L18trti2_kernel_smallILi62EfPKPfEEv13rocblas_fill_17rocblas_diagonal_T1_iil.num_vgpr, 134
	.set _ZN9rocsolver6v33100L18trti2_kernel_smallILi62EfPKPfEEv13rocblas_fill_17rocblas_diagonal_T1_iil.num_agpr, 0
	.set _ZN9rocsolver6v33100L18trti2_kernel_smallILi62EfPKPfEEv13rocblas_fill_17rocblas_diagonal_T1_iil.numbered_sgpr, 75
	.set _ZN9rocsolver6v33100L18trti2_kernel_smallILi62EfPKPfEEv13rocblas_fill_17rocblas_diagonal_T1_iil.num_named_barrier, 0
	.set _ZN9rocsolver6v33100L18trti2_kernel_smallILi62EfPKPfEEv13rocblas_fill_17rocblas_diagonal_T1_iil.private_seg_size, 256
	.set _ZN9rocsolver6v33100L18trti2_kernel_smallILi62EfPKPfEEv13rocblas_fill_17rocblas_diagonal_T1_iil.uses_vcc, 1
	.set _ZN9rocsolver6v33100L18trti2_kernel_smallILi62EfPKPfEEv13rocblas_fill_17rocblas_diagonal_T1_iil.uses_flat_scratch, 0
	.set _ZN9rocsolver6v33100L18trti2_kernel_smallILi62EfPKPfEEv13rocblas_fill_17rocblas_diagonal_T1_iil.has_dyn_sized_stack, 0
	.set _ZN9rocsolver6v33100L18trti2_kernel_smallILi62EfPKPfEEv13rocblas_fill_17rocblas_diagonal_T1_iil.has_recursion, 0
	.set _ZN9rocsolver6v33100L18trti2_kernel_smallILi62EfPKPfEEv13rocblas_fill_17rocblas_diagonal_T1_iil.has_indirect_call, 0
	.section	.AMDGPU.csdata,"",@progbits
; Kernel info:
; codeLenInByte = 30240
; TotalNumSgprs: 79
; NumVgprs: 134
; ScratchSize: 256
; MemoryBound: 0
; FloatMode: 240
; IeeeMode: 1
; LDSByteSize: 504 bytes/workgroup (compile time only)
; SGPRBlocks: 9
; VGPRBlocks: 33
; NumSGPRsForWavesPerEU: 79
; NumVGPRsForWavesPerEU: 134
; Occupancy: 1
; WaveLimiterHint : 1
; COMPUTE_PGM_RSRC2:SCRATCH_EN: 1
; COMPUTE_PGM_RSRC2:USER_SGPR: 6
; COMPUTE_PGM_RSRC2:TRAP_HANDLER: 0
; COMPUTE_PGM_RSRC2:TGID_X_EN: 1
; COMPUTE_PGM_RSRC2:TGID_Y_EN: 0
; COMPUTE_PGM_RSRC2:TGID_Z_EN: 0
; COMPUTE_PGM_RSRC2:TIDIG_COMP_CNT: 0
	.section	.text._ZN9rocsolver6v33100L18trti2_kernel_smallILi63EfPKPfEEv13rocblas_fill_17rocblas_diagonal_T1_iil,"axG",@progbits,_ZN9rocsolver6v33100L18trti2_kernel_smallILi63EfPKPfEEv13rocblas_fill_17rocblas_diagonal_T1_iil,comdat
	.globl	_ZN9rocsolver6v33100L18trti2_kernel_smallILi63EfPKPfEEv13rocblas_fill_17rocblas_diagonal_T1_iil ; -- Begin function _ZN9rocsolver6v33100L18trti2_kernel_smallILi63EfPKPfEEv13rocblas_fill_17rocblas_diagonal_T1_iil
	.p2align	8
	.type	_ZN9rocsolver6v33100L18trti2_kernel_smallILi63EfPKPfEEv13rocblas_fill_17rocblas_diagonal_T1_iil,@function
_ZN9rocsolver6v33100L18trti2_kernel_smallILi63EfPKPfEEv13rocblas_fill_17rocblas_diagonal_T1_iil: ; @_ZN9rocsolver6v33100L18trti2_kernel_smallILi63EfPKPfEEv13rocblas_fill_17rocblas_diagonal_T1_iil
; %bb.0:
	s_add_u32 s0, s0, s7
	s_addc_u32 s1, s1, 0
	v_cmp_gt_u32_e32 vcc, 63, v0
	s_and_saveexec_b64 s[8:9], vcc
	s_cbranch_execz .LBB126_1230
; %bb.1:
	s_load_dwordx2 s[12:13], s[4:5], 0x10
	s_load_dwordx4 s[8:11], s[4:5], 0x0
	s_ashr_i32 s7, s6, 31
	s_lshl_b64 s[6:7], s[6:7], 3
	v_lshlrev_b32_e32 v127, 2, v0
	s_waitcnt lgkmcnt(0)
	s_ashr_i32 s5, s12, 31
	s_add_u32 s6, s10, s6
	s_addc_u32 s7, s11, s7
	s_load_dwordx2 s[6:7], s[6:7], 0x0
	s_mov_b32 s4, s12
	s_lshl_b64 s[4:5], s[4:5], 2
	s_movk_i32 s12, 0x84
	s_waitcnt lgkmcnt(0)
	s_add_u32 s4, s6, s4
	s_addc_u32 s5, s7, s5
	v_mov_b32_e32 v2, s5
	v_add_co_u32_e32 v1, vcc, s4, v127
	v_addc_co_u32_e32 v2, vcc, 0, v2, vcc
	flat_load_dword v5, v[1:2]
	s_mov_b32 s6, s13
	s_ashr_i32 s7, s13, 31
	s_lshl_b64 s[6:7], s[6:7], 2
	v_mov_b32_e32 v4, s7
	v_add_co_u32_e32 v3, vcc, s6, v1
	v_addc_co_u32_e32 v4, vcc, v2, v4, vcc
	s_add_i32 s6, s13, s13
	v_add_u32_e32 v7, s6, v0
	v_ashrrev_i32_e32 v8, 31, v7
	v_mov_b32_e32 v10, s5
	v_mov_b32_e32 v12, s5
	;; [unrolled: 1-line block ×60, first 2 shown]
	s_cmpk_lg_i32 s9, 0x84
	s_cselect_b64 s[10:11], -1, 0
	s_cmpk_eq_i32 s9, 0x84
	s_waitcnt vmcnt(0) lgkmcnt(0)
	buffer_store_dword v5, off, s[0:3], 0
	flat_load_dword v9, v[3:4]
	v_lshlrev_b64 v[5:6], 2, v[7:8]
	v_add_co_u32_e32 v5, vcc, s4, v5
	v_addc_co_u32_e32 v6, vcc, v10, v6, vcc
	s_waitcnt vmcnt(0) lgkmcnt(0)
	buffer_store_dword v9, off, s[0:3], 0 offset:4
	flat_load_dword v11, v[5:6]
	v_add_u32_e32 v9, s13, v7
	v_ashrrev_i32_e32 v10, 31, v9
	v_lshlrev_b64 v[7:8], 2, v[9:10]
	v_add_co_u32_e32 v7, vcc, s4, v7
	v_addc_co_u32_e32 v8, vcc, v12, v8, vcc
	s_waitcnt vmcnt(0) lgkmcnt(0)
	buffer_store_dword v11, off, s[0:3], 0 offset:8
	flat_load_dword v13, v[7:8]
	v_add_u32_e32 v11, s13, v9
	v_ashrrev_i32_e32 v12, 31, v11
	;; [unrolled: 8-line block ×59, first 2 shown]
	v_lshlrev_b64 v[123:124], 2, v[125:126]
	v_add_u32_e32 v125, s13, v125
	v_add_co_u32_e32 v123, vcc, s4, v123
	v_addc_co_u32_e32 v124, vcc, v129, v124, vcc
	v_ashrrev_i32_e32 v126, 31, v125
	v_lshlrev_b64 v[125:126], 2, v[125:126]
	v_add_co_u32_e32 v125, vcc, s4, v125
	v_addc_co_u32_e32 v126, vcc, v129, v126, vcc
	s_waitcnt vmcnt(0) lgkmcnt(0)
	buffer_store_dword v128, off, s[0:3], 0 offset:240
	flat_load_dword v128, v[123:124]
	s_waitcnt vmcnt(0) lgkmcnt(0)
	buffer_store_dword v128, off, s[0:3], 0 offset:244
	flat_load_dword v128, v[125:126]
	s_waitcnt vmcnt(0) lgkmcnt(0)
	buffer_store_dword v128, off, s[0:3], 0 offset:248
	v_mov_b32_e32 v128, -1.0
	s_cbranch_scc1 .LBB126_3
; %bb.2:
	v_mov_b32_e32 v128, 0
	v_lshl_add_u32 v128, v0, 2, v128
	buffer_load_dword v129, v128, s[0:3], 0 offen
	s_waitcnt vmcnt(0)
	v_div_scale_f32 v130, s[4:5], v129, v129, 1.0
	v_div_scale_f32 v131, vcc, 1.0, v129, 1.0
	v_rcp_f32_e32 v132, v130
	v_fma_f32 v133, -v130, v132, 1.0
	v_fmac_f32_e32 v132, v133, v132
	v_mul_f32_e32 v133, v131, v132
	v_fma_f32 v134, -v130, v133, v131
	v_fmac_f32_e32 v133, v134, v132
	v_fma_f32 v130, -v130, v133, v131
	v_div_fmas_f32 v130, v130, v132, v133
	v_div_fixup_f32 v129, v130, v129, 1.0
	buffer_store_dword v129, v128, s[0:3], 0 offen
	v_xor_b32_e32 v128, 0x80000000, v129
.LBB126_3:
	ds_write_b32 v127, v128
	s_cmpk_eq_i32 s8, 0x79
	v_or_b32_e32 v128, 0x100, v127
	v_mov_b32_e32 v129, v127
	s_mov_b64 s[4:5], -1
	s_cbranch_scc1 .LBB126_617
; %bb.4:
	buffer_load_dword v130, off, s[0:3], 0 offset:244
	s_movk_i32 s30, 0x44
	s_movk_i32 s31, 0x48
	;; [unrolled: 1-line block ×43, first 2 shown]
	v_cmp_eq_u32_e64 s[4:5], 62, v0
	s_waitcnt vmcnt(0)
	ds_write_b32 v128, v130
	s_waitcnt lgkmcnt(0)
	; wave barrier
	s_and_saveexec_b64 s[6:7], s[4:5]
	s_cbranch_execz .LBB126_10
; %bb.5:
	s_and_b64 vcc, exec, s[10:11]
	s_cbranch_vccz .LBB126_7
; %bb.6:
	buffer_load_dword v130, v129, s[0:3], 0 offen
	ds_read_b32 v131, v128
	s_waitcnt vmcnt(0) lgkmcnt(0)
	v_mul_f32_e32 v130, v130, v131
	s_cbranch_execz .LBB126_8
	s_branch .LBB126_9
.LBB126_7:
                                        ; implicit-def: $vgpr130
.LBB126_8:
	ds_read_b32 v130, v128
.LBB126_9:
	v_mov_b32_e32 v131, 0
	ds_read_b32 v131, v131 offset:244
	s_waitcnt lgkmcnt(0)
	v_mul_f32_e32 v130, v130, v131
	buffer_store_dword v130, off, s[0:3], 0 offset:244
.LBB126_10:
	s_or_b64 exec, exec, s[6:7]
	buffer_load_dword v130, off, s[0:3], 0 offset:240
	s_or_b32 s14, 0, 4
	s_or_b32 s15, 0, 8
	;; [unrolled: 1-line block ×3, first 2 shown]
	s_mov_b32 s17, 16
	s_mov_b32 s18, 20
	;; [unrolled: 1-line block ×15, first 2 shown]
	v_cmp_lt_u32_e64 s[6:7], 60, v0
	s_waitcnt vmcnt(0)
	ds_write_b32 v128, v130
	s_waitcnt lgkmcnt(0)
	; wave barrier
	s_and_saveexec_b64 s[8:9], s[6:7]
	s_cbranch_execz .LBB126_16
; %bb.11:
	s_andn2_b64 vcc, exec, s[10:11]
	s_cbranch_vccnz .LBB126_13
; %bb.12:
	buffer_load_dword v130, v129, s[0:3], 0 offen
	ds_read_b32 v131, v128
	s_waitcnt vmcnt(0) lgkmcnt(0)
	v_mul_f32_e32 v130, v130, v131
	s_cbranch_execz .LBB126_14
	s_branch .LBB126_15
.LBB126_13:
                                        ; implicit-def: $vgpr130
.LBB126_14:
	ds_read_b32 v130, v128
.LBB126_15:
	buffer_load_dword v133, off, s[0:3], 0 offset:244
	v_mov_b32_e32 v131, 0
	ds_read2_b32 v[131:132], v131 offset0:60 offset1:125
	s_waitcnt vmcnt(0) lgkmcnt(0)
	v_fma_f32 v132, v133, v132, v130
	v_cndmask_b32_e64 v130, v130, v132, s[4:5]
	v_mul_f32_e32 v130, v130, v131
	buffer_store_dword v130, off, s[0:3], 0 offset:240
.LBB126_16:
	s_or_b64 exec, exec, s[8:9]
	buffer_load_dword v130, off, s[0:3], 0 offset:236
	v_cmp_lt_u32_e64 s[4:5], 59, v0
	s_waitcnt vmcnt(0)
	ds_write_b32 v128, v130
	s_waitcnt lgkmcnt(0)
	; wave barrier
	s_and_saveexec_b64 s[8:9], s[4:5]
	s_cbranch_execz .LBB126_26
; %bb.17:
	s_andn2_b64 vcc, exec, s[10:11]
	s_cbranch_vccnz .LBB126_19
; %bb.18:
	buffer_load_dword v130, v129, s[0:3], 0 offen
	ds_read_b32 v131, v128
	s_waitcnt vmcnt(0) lgkmcnt(0)
	v_mul_f32_e32 v130, v130, v131
	s_cbranch_execz .LBB126_20
	s_branch .LBB126_21
.LBB126_19:
                                        ; implicit-def: $vgpr130
.LBB126_20:
	ds_read_b32 v130, v128
.LBB126_21:
	s_and_saveexec_b64 s[12:13], s[6:7]
	s_cbranch_execz .LBB126_25
; %bb.22:
	v_subrev_u32_e32 v131, 60, v0
	s_movk_i32 s75, 0x1f0
	s_mov_b64 s[6:7], 0
.LBB126_23:                             ; =>This Inner Loop Header: Depth=1
	v_mov_b32_e32 v132, s74
	buffer_load_dword v132, v132, s[0:3], 0 offen
	v_mov_b32_e32 v133, s75
	ds_read_b32 v133, v133
	v_add_u32_e32 v131, -1, v131
	s_add_i32 s75, s75, 4
	s_add_i32 s74, s74, 4
	v_cmp_eq_u32_e32 vcc, 0, v131
	s_or_b64 s[6:7], vcc, s[6:7]
	s_waitcnt vmcnt(0) lgkmcnt(0)
	v_fmac_f32_e32 v130, v132, v133
	s_andn2_b64 exec, exec, s[6:7]
	s_cbranch_execnz .LBB126_23
; %bb.24:
	s_or_b64 exec, exec, s[6:7]
.LBB126_25:
	s_or_b64 exec, exec, s[12:13]
	v_mov_b32_e32 v131, 0
	ds_read_b32 v131, v131 offset:236
	s_waitcnt lgkmcnt(0)
	v_mul_f32_e32 v130, v130, v131
	buffer_store_dword v130, off, s[0:3], 0 offset:236
.LBB126_26:
	s_or_b64 exec, exec, s[8:9]
	buffer_load_dword v130, off, s[0:3], 0 offset:232
	v_cmp_lt_u32_e64 s[6:7], 58, v0
	s_waitcnt vmcnt(0)
	ds_write_b32 v128, v130
	s_waitcnt lgkmcnt(0)
	; wave barrier
	s_and_saveexec_b64 s[8:9], s[6:7]
	s_cbranch_execz .LBB126_36
; %bb.27:
	s_andn2_b64 vcc, exec, s[10:11]
	s_cbranch_vccnz .LBB126_29
; %bb.28:
	buffer_load_dword v130, v129, s[0:3], 0 offen
	ds_read_b32 v131, v128
	s_waitcnt vmcnt(0) lgkmcnt(0)
	v_mul_f32_e32 v130, v130, v131
	s_cbranch_execz .LBB126_30
	s_branch .LBB126_31
.LBB126_29:
                                        ; implicit-def: $vgpr130
.LBB126_30:
	ds_read_b32 v130, v128
.LBB126_31:
	s_and_saveexec_b64 s[12:13], s[4:5]
	s_cbranch_execz .LBB126_35
; %bb.32:
	v_subrev_u32_e32 v131, 59, v0
	s_movk_i32 s74, 0x1ec
	s_mov_b64 s[4:5], 0
.LBB126_33:                             ; =>This Inner Loop Header: Depth=1
	v_mov_b32_e32 v132, s73
	buffer_load_dword v132, v132, s[0:3], 0 offen
	v_mov_b32_e32 v133, s74
	ds_read_b32 v133, v133
	v_add_u32_e32 v131, -1, v131
	s_add_i32 s74, s74, 4
	s_add_i32 s73, s73, 4
	v_cmp_eq_u32_e32 vcc, 0, v131
	s_or_b64 s[4:5], vcc, s[4:5]
	s_waitcnt vmcnt(0) lgkmcnt(0)
	v_fmac_f32_e32 v130, v132, v133
	s_andn2_b64 exec, exec, s[4:5]
	s_cbranch_execnz .LBB126_33
; %bb.34:
	s_or_b64 exec, exec, s[4:5]
.LBB126_35:
	s_or_b64 exec, exec, s[12:13]
	v_mov_b32_e32 v131, 0
	ds_read_b32 v131, v131 offset:232
	s_waitcnt lgkmcnt(0)
	v_mul_f32_e32 v130, v130, v131
	buffer_store_dword v130, off, s[0:3], 0 offset:232
.LBB126_36:
	;; [unrolled: 54-line block ×8, first 2 shown]
	s_or_b64 exec, exec, s[8:9]
	buffer_load_dword v130, off, s[0:3], 0 offset:204
	v_cmp_lt_u32_e64 s[4:5], 51, v0
	s_waitcnt vmcnt(0)
	ds_write_b32 v128, v130
	s_waitcnt lgkmcnt(0)
	; wave barrier
	s_and_saveexec_b64 s[8:9], s[4:5]
	s_cbranch_execz .LBB126_106
; %bb.97:
	s_andn2_b64 vcc, exec, s[10:11]
	s_cbranch_vccnz .LBB126_99
; %bb.98:
	buffer_load_dword v130, v129, s[0:3], 0 offen
	ds_read_b32 v131, v128
	s_waitcnt vmcnt(0) lgkmcnt(0)
	v_mul_f32_e32 v130, v130, v131
	s_cbranch_execz .LBB126_100
	s_branch .LBB126_101
.LBB126_99:
                                        ; implicit-def: $vgpr130
.LBB126_100:
	ds_read_b32 v130, v128
.LBB126_101:
	s_and_saveexec_b64 s[12:13], s[6:7]
	s_cbranch_execz .LBB126_105
; %bb.102:
	v_subrev_u32_e32 v131, 52, v0
	s_movk_i32 s67, 0x1d0
	s_mov_b64 s[6:7], 0
.LBB126_103:                            ; =>This Inner Loop Header: Depth=1
	v_mov_b32_e32 v132, s66
	buffer_load_dword v132, v132, s[0:3], 0 offen
	v_mov_b32_e32 v133, s67
	ds_read_b32 v133, v133
	v_add_u32_e32 v131, -1, v131
	s_add_i32 s67, s67, 4
	s_add_i32 s66, s66, 4
	v_cmp_eq_u32_e32 vcc, 0, v131
	s_or_b64 s[6:7], vcc, s[6:7]
	s_waitcnt vmcnt(0) lgkmcnt(0)
	v_fmac_f32_e32 v130, v132, v133
	s_andn2_b64 exec, exec, s[6:7]
	s_cbranch_execnz .LBB126_103
; %bb.104:
	s_or_b64 exec, exec, s[6:7]
.LBB126_105:
	s_or_b64 exec, exec, s[12:13]
	v_mov_b32_e32 v131, 0
	ds_read_b32 v131, v131 offset:204
	s_waitcnt lgkmcnt(0)
	v_mul_f32_e32 v130, v130, v131
	buffer_store_dword v130, off, s[0:3], 0 offset:204
.LBB126_106:
	s_or_b64 exec, exec, s[8:9]
	buffer_load_dword v130, off, s[0:3], 0 offset:200
	v_cmp_lt_u32_e64 s[6:7], 50, v0
	s_waitcnt vmcnt(0)
	ds_write_b32 v128, v130
	s_waitcnt lgkmcnt(0)
	; wave barrier
	s_and_saveexec_b64 s[8:9], s[6:7]
	s_cbranch_execz .LBB126_116
; %bb.107:
	s_andn2_b64 vcc, exec, s[10:11]
	s_cbranch_vccnz .LBB126_109
; %bb.108:
	buffer_load_dword v130, v129, s[0:3], 0 offen
	ds_read_b32 v131, v128
	s_waitcnt vmcnt(0) lgkmcnt(0)
	v_mul_f32_e32 v130, v130, v131
	s_cbranch_execz .LBB126_110
	s_branch .LBB126_111
.LBB126_109:
                                        ; implicit-def: $vgpr130
.LBB126_110:
	ds_read_b32 v130, v128
.LBB126_111:
	s_and_saveexec_b64 s[12:13], s[4:5]
	s_cbranch_execz .LBB126_115
; %bb.112:
	v_subrev_u32_e32 v131, 51, v0
	s_movk_i32 s66, 0x1cc
	s_mov_b64 s[4:5], 0
.LBB126_113:                            ; =>This Inner Loop Header: Depth=1
	v_mov_b32_e32 v132, s65
	buffer_load_dword v132, v132, s[0:3], 0 offen
	v_mov_b32_e32 v133, s66
	ds_read_b32 v133, v133
	v_add_u32_e32 v131, -1, v131
	s_add_i32 s66, s66, 4
	s_add_i32 s65, s65, 4
	v_cmp_eq_u32_e32 vcc, 0, v131
	s_or_b64 s[4:5], vcc, s[4:5]
	s_waitcnt vmcnt(0) lgkmcnt(0)
	v_fmac_f32_e32 v130, v132, v133
	s_andn2_b64 exec, exec, s[4:5]
	s_cbranch_execnz .LBB126_113
; %bb.114:
	s_or_b64 exec, exec, s[4:5]
.LBB126_115:
	s_or_b64 exec, exec, s[12:13]
	v_mov_b32_e32 v131, 0
	ds_read_b32 v131, v131 offset:200
	s_waitcnt lgkmcnt(0)
	v_mul_f32_e32 v130, v130, v131
	buffer_store_dword v130, off, s[0:3], 0 offset:200
.LBB126_116:
	;; [unrolled: 54-line block ×36, first 2 shown]
	s_or_b64 exec, exec, s[8:9]
	buffer_load_dword v130, off, s[0:3], 0 offset:60
	v_cmp_lt_u32_e64 s[4:5], 15, v0
	s_waitcnt vmcnt(0)
	ds_write_b32 v128, v130
	s_waitcnt lgkmcnt(0)
	; wave barrier
	s_and_saveexec_b64 s[8:9], s[4:5]
	s_cbranch_execz .LBB126_466
; %bb.457:
	s_andn2_b64 vcc, exec, s[10:11]
	s_cbranch_vccnz .LBB126_459
; %bb.458:
	buffer_load_dword v130, v129, s[0:3], 0 offen
	ds_read_b32 v131, v128
	s_waitcnt vmcnt(0) lgkmcnt(0)
	v_mul_f32_e32 v130, v130, v131
	s_cbranch_execz .LBB126_460
	s_branch .LBB126_461
.LBB126_459:
                                        ; implicit-def: $vgpr130
.LBB126_460:
	ds_read_b32 v130, v128
.LBB126_461:
	s_and_saveexec_b64 s[12:13], s[6:7]
	s_cbranch_execz .LBB126_465
; %bb.462:
	v_add_u32_e32 v131, -16, v0
	s_movk_i32 s30, 0x140
	s_mov_b64 s[6:7], 0
.LBB126_463:                            ; =>This Inner Loop Header: Depth=1
	v_mov_b32_e32 v132, s29
	buffer_load_dword v132, v132, s[0:3], 0 offen
	v_mov_b32_e32 v133, s30
	ds_read_b32 v133, v133
	v_add_u32_e32 v131, -1, v131
	s_add_i32 s30, s30, 4
	s_add_i32 s29, s29, 4
	v_cmp_eq_u32_e32 vcc, 0, v131
	s_or_b64 s[6:7], vcc, s[6:7]
	s_waitcnt vmcnt(0) lgkmcnt(0)
	v_fmac_f32_e32 v130, v132, v133
	s_andn2_b64 exec, exec, s[6:7]
	s_cbranch_execnz .LBB126_463
; %bb.464:
	s_or_b64 exec, exec, s[6:7]
.LBB126_465:
	s_or_b64 exec, exec, s[12:13]
	v_mov_b32_e32 v131, 0
	ds_read_b32 v131, v131 offset:60
	s_waitcnt lgkmcnt(0)
	v_mul_f32_e32 v130, v130, v131
	buffer_store_dword v130, off, s[0:3], 0 offset:60
.LBB126_466:
	s_or_b64 exec, exec, s[8:9]
	buffer_load_dword v130, off, s[0:3], 0 offset:56
	v_cmp_lt_u32_e64 s[6:7], 14, v0
	s_waitcnt vmcnt(0)
	ds_write_b32 v128, v130
	s_waitcnt lgkmcnt(0)
	; wave barrier
	s_and_saveexec_b64 s[8:9], s[6:7]
	s_cbranch_execz .LBB126_476
; %bb.467:
	s_andn2_b64 vcc, exec, s[10:11]
	s_cbranch_vccnz .LBB126_469
; %bb.468:
	buffer_load_dword v130, v129, s[0:3], 0 offen
	ds_read_b32 v131, v128
	s_waitcnt vmcnt(0) lgkmcnt(0)
	v_mul_f32_e32 v130, v130, v131
	s_cbranch_execz .LBB126_470
	s_branch .LBB126_471
.LBB126_469:
                                        ; implicit-def: $vgpr130
.LBB126_470:
	ds_read_b32 v130, v128
.LBB126_471:
	s_and_saveexec_b64 s[12:13], s[4:5]
	s_cbranch_execz .LBB126_475
; %bb.472:
	v_add_u32_e32 v131, -15, v0
	s_movk_i32 s29, 0x13c
	s_mov_b64 s[4:5], 0
.LBB126_473:                            ; =>This Inner Loop Header: Depth=1
	v_mov_b32_e32 v132, s28
	buffer_load_dword v132, v132, s[0:3], 0 offen
	v_mov_b32_e32 v133, s29
	ds_read_b32 v133, v133
	v_add_u32_e32 v131, -1, v131
	s_add_i32 s29, s29, 4
	s_add_i32 s28, s28, 4
	v_cmp_eq_u32_e32 vcc, 0, v131
	s_or_b64 s[4:5], vcc, s[4:5]
	s_waitcnt vmcnt(0) lgkmcnt(0)
	v_fmac_f32_e32 v130, v132, v133
	s_andn2_b64 exec, exec, s[4:5]
	s_cbranch_execnz .LBB126_473
; %bb.474:
	s_or_b64 exec, exec, s[4:5]
.LBB126_475:
	s_or_b64 exec, exec, s[12:13]
	v_mov_b32_e32 v131, 0
	ds_read_b32 v131, v131 offset:56
	s_waitcnt lgkmcnt(0)
	v_mul_f32_e32 v130, v130, v131
	buffer_store_dword v130, off, s[0:3], 0 offset:56
.LBB126_476:
	;; [unrolled: 54-line block ×15, first 2 shown]
	s_or_b64 exec, exec, s[8:9]
	buffer_load_dword v130, off, s[0:3], 0
	v_cmp_ne_u32_e32 vcc, 0, v0
	s_waitcnt vmcnt(0)
	ds_write_b32 v128, v130
	s_waitcnt lgkmcnt(0)
	; wave barrier
	s_and_saveexec_b64 s[6:7], vcc
	s_cbranch_execz .LBB126_616
; %bb.607:
	s_andn2_b64 vcc, exec, s[10:11]
	s_cbranch_vccnz .LBB126_609
; %bb.608:
	buffer_load_dword v130, v129, s[0:3], 0 offen
	ds_read_b32 v131, v128
	s_waitcnt vmcnt(0) lgkmcnt(0)
	v_mul_f32_e32 v130, v130, v131
	s_cbranch_execz .LBB126_610
	s_branch .LBB126_611
.LBB126_609:
                                        ; implicit-def: $vgpr130
.LBB126_610:
	ds_read_b32 v130, v128
.LBB126_611:
	s_and_saveexec_b64 s[8:9], s[4:5]
	s_cbranch_execz .LBB126_615
; %bb.612:
	v_add_u32_e32 v131, -1, v0
	s_movk_i32 s12, 0x104
	s_mov_b64 s[4:5], 0
.LBB126_613:                            ; =>This Inner Loop Header: Depth=1
	v_mov_b32_e32 v132, s14
	buffer_load_dword v132, v132, s[0:3], 0 offen
	v_mov_b32_e32 v133, s12
	ds_read_b32 v133, v133
	v_add_u32_e32 v131, -1, v131
	s_add_i32 s12, s12, 4
	s_add_i32 s14, s14, 4
	v_cmp_eq_u32_e32 vcc, 0, v131
	s_or_b64 s[4:5], vcc, s[4:5]
	s_waitcnt vmcnt(0) lgkmcnt(0)
	v_fmac_f32_e32 v130, v132, v133
	s_andn2_b64 exec, exec, s[4:5]
	s_cbranch_execnz .LBB126_613
; %bb.614:
	s_or_b64 exec, exec, s[4:5]
.LBB126_615:
	s_or_b64 exec, exec, s[8:9]
	v_mov_b32_e32 v131, 0
	ds_read_b32 v131, v131
	s_waitcnt lgkmcnt(0)
	v_mul_f32_e32 v130, v130, v131
	buffer_store_dword v130, off, s[0:3], 0
.LBB126_616:
	s_or_b64 exec, exec, s[6:7]
	s_mov_b64 s[4:5], 0
.LBB126_617:
	s_and_b64 vcc, exec, s[4:5]
	s_cbranch_vccz .LBB126_1229
; %bb.618:
	buffer_load_dword v130, off, s[0:3], 0 offset:4
	v_cmp_eq_u32_e64 s[6:7], 0, v0
	s_waitcnt vmcnt(0)
	ds_write_b32 v128, v130
	s_waitcnt lgkmcnt(0)
	; wave barrier
	s_and_saveexec_b64 s[4:5], s[6:7]
	s_cbranch_execz .LBB126_624
; %bb.619:
	s_and_b64 vcc, exec, s[10:11]
	s_cbranch_vccz .LBB126_621
; %bb.620:
	buffer_load_dword v130, v129, s[0:3], 0 offen
	ds_read_b32 v131, v128
	s_waitcnt vmcnt(0) lgkmcnt(0)
	v_mul_f32_e32 v130, v130, v131
	s_cbranch_execz .LBB126_622
	s_branch .LBB126_623
.LBB126_621:
                                        ; implicit-def: $vgpr130
.LBB126_622:
	ds_read_b32 v130, v128
.LBB126_623:
	v_mov_b32_e32 v131, 0
	ds_read_b32 v131, v131 offset:4
	s_waitcnt lgkmcnt(0)
	v_mul_f32_e32 v130, v130, v131
	buffer_store_dword v130, off, s[0:3], 0 offset:4
.LBB126_624:
	s_or_b64 exec, exec, s[4:5]
	buffer_load_dword v130, off, s[0:3], 0 offset:8
	v_cndmask_b32_e64 v131, 0, 1, s[10:11]
	v_cmp_gt_u32_e32 vcc, 2, v0
	v_cmp_ne_u32_e64 s[4:5], 1, v131
	s_waitcnt vmcnt(0)
	ds_write_b32 v128, v130
	s_waitcnt lgkmcnt(0)
	; wave barrier
	s_and_saveexec_b64 s[8:9], vcc
	s_cbranch_execz .LBB126_630
; %bb.625:
	s_and_b64 vcc, exec, s[4:5]
	s_cbranch_vccnz .LBB126_627
; %bb.626:
	buffer_load_dword v130, v129, s[0:3], 0 offen
	ds_read_b32 v131, v128
	s_waitcnt vmcnt(0) lgkmcnt(0)
	v_mul_f32_e32 v130, v130, v131
	s_cbranch_execz .LBB126_628
	s_branch .LBB126_629
.LBB126_627:
                                        ; implicit-def: $vgpr130
.LBB126_628:
	ds_read_b32 v130, v128
.LBB126_629:
	buffer_load_dword v133, off, s[0:3], 0 offset:4
	v_mov_b32_e32 v131, 0
	ds_read2_b32 v[131:132], v131 offset0:2 offset1:65
	s_waitcnt vmcnt(0) lgkmcnt(0)
	v_fma_f32 v132, v133, v132, v130
	v_cndmask_b32_e64 v130, v130, v132, s[6:7]
	v_mul_f32_e32 v130, v130, v131
	buffer_store_dword v130, off, s[0:3], 0 offset:8
.LBB126_630:
	s_or_b64 exec, exec, s[8:9]
	buffer_load_dword v130, off, s[0:3], 0 offset:12
	v_cmp_gt_u32_e32 vcc, 3, v0
	s_waitcnt vmcnt(0)
	ds_write_b32 v128, v130
	s_waitcnt lgkmcnt(0)
	; wave barrier
	s_and_saveexec_b64 s[8:9], vcc
	s_cbranch_execz .LBB126_638
; %bb.631:
	s_and_b64 vcc, exec, s[4:5]
	s_cbranch_vccnz .LBB126_633
; %bb.632:
	buffer_load_dword v130, v129, s[0:3], 0 offen
	ds_read_b32 v131, v128
	s_waitcnt vmcnt(0) lgkmcnt(0)
	v_mul_f32_e32 v130, v130, v131
	s_cbranch_execz .LBB126_634
	s_branch .LBB126_635
.LBB126_633:
                                        ; implicit-def: $vgpr130
.LBB126_634:
	ds_read_b32 v130, v128
.LBB126_635:
	v_cmp_ne_u32_e32 vcc, 2, v0
	s_and_saveexec_b64 s[10:11], vcc
	s_cbranch_execz .LBB126_637
; %bb.636:
	buffer_load_dword v131, v129, s[0:3], 0 offen offset:4
	buffer_load_dword v132, off, s[0:3], 0 offset:8
	v_mov_b32_e32 v133, 0
	ds_read_b32 v134, v128 offset:4
	ds_read_b32 v133, v133 offset:264
	s_waitcnt vmcnt(1) lgkmcnt(1)
	v_fmac_f32_e32 v130, v131, v134
	s_waitcnt vmcnt(0) lgkmcnt(0)
	v_fma_f32 v131, v132, v133, v130
	v_cndmask_b32_e64 v130, v130, v131, s[6:7]
.LBB126_637:
	s_or_b64 exec, exec, s[10:11]
	v_mov_b32_e32 v131, 0
	ds_read_b32 v131, v131 offset:12
	s_waitcnt lgkmcnt(0)
	v_mul_f32_e32 v130, v130, v131
	buffer_store_dword v130, off, s[0:3], 0 offset:12
.LBB126_638:
	s_or_b64 exec, exec, s[8:9]
	buffer_load_dword v130, off, s[0:3], 0 offset:16
	v_cmp_gt_u32_e32 vcc, 4, v0
	s_waitcnt vmcnt(0)
	ds_write_b32 v128, v130
	s_waitcnt lgkmcnt(0)
	; wave barrier
	s_and_saveexec_b64 s[6:7], vcc
	s_cbranch_execz .LBB126_648
; %bb.639:
	s_and_b64 vcc, exec, s[4:5]
	s_cbranch_vccnz .LBB126_641
; %bb.640:
	buffer_load_dword v130, v129, s[0:3], 0 offen
	ds_read_b32 v131, v128
	s_waitcnt vmcnt(0) lgkmcnt(0)
	v_mul_f32_e32 v130, v130, v131
	s_cbranch_execz .LBB126_642
	s_branch .LBB126_643
.LBB126_641:
                                        ; implicit-def: $vgpr130
.LBB126_642:
	ds_read_b32 v130, v128
.LBB126_643:
	v_cmp_ne_u32_e32 vcc, 3, v0
	s_and_saveexec_b64 s[8:9], vcc
	s_cbranch_execz .LBB126_647
; %bb.644:
	s_mov_b32 s10, 0
	v_add_u32_e32 v131, 0x104, v127
	v_add3_u32 v132, v127, s10, 4
	s_mov_b64 s[10:11], 0
	v_mov_b32_e32 v133, v0
.LBB126_645:                            ; =>This Inner Loop Header: Depth=1
	buffer_load_dword v134, v132, s[0:3], 0 offen
	ds_read_b32 v135, v131
	v_add_u32_e32 v133, 1, v133
	v_cmp_lt_u32_e32 vcc, 2, v133
	v_add_u32_e32 v131, 4, v131
	v_add_u32_e32 v132, 4, v132
	s_or_b64 s[10:11], vcc, s[10:11]
	s_waitcnt vmcnt(0) lgkmcnt(0)
	v_fmac_f32_e32 v130, v134, v135
	s_andn2_b64 exec, exec, s[10:11]
	s_cbranch_execnz .LBB126_645
; %bb.646:
	s_or_b64 exec, exec, s[10:11]
.LBB126_647:
	s_or_b64 exec, exec, s[8:9]
	v_mov_b32_e32 v131, 0
	ds_read_b32 v131, v131 offset:16
	s_waitcnt lgkmcnt(0)
	v_mul_f32_e32 v130, v130, v131
	buffer_store_dword v130, off, s[0:3], 0 offset:16
.LBB126_648:
	s_or_b64 exec, exec, s[6:7]
	buffer_load_dword v130, off, s[0:3], 0 offset:20
	v_cmp_gt_u32_e32 vcc, 5, v0
	s_waitcnt vmcnt(0)
	ds_write_b32 v128, v130
	s_waitcnt lgkmcnt(0)
	; wave barrier
	s_and_saveexec_b64 s[6:7], vcc
	s_cbranch_execz .LBB126_658
; %bb.649:
	s_and_b64 vcc, exec, s[4:5]
	s_cbranch_vccnz .LBB126_651
; %bb.650:
	buffer_load_dword v130, v129, s[0:3], 0 offen
	ds_read_b32 v131, v128
	s_waitcnt vmcnt(0) lgkmcnt(0)
	v_mul_f32_e32 v130, v130, v131
	s_cbranch_execz .LBB126_652
	s_branch .LBB126_653
.LBB126_651:
                                        ; implicit-def: $vgpr130
.LBB126_652:
	ds_read_b32 v130, v128
.LBB126_653:
	v_cmp_ne_u32_e32 vcc, 4, v0
	s_and_saveexec_b64 s[8:9], vcc
	s_cbranch_execz .LBB126_657
; %bb.654:
	s_mov_b32 s10, 0
	v_add_u32_e32 v131, 0x104, v127
	v_add3_u32 v132, v127, s10, 4
	s_mov_b64 s[10:11], 0
	v_mov_b32_e32 v133, v0
.LBB126_655:                            ; =>This Inner Loop Header: Depth=1
	buffer_load_dword v134, v132, s[0:3], 0 offen
	ds_read_b32 v135, v131
	v_add_u32_e32 v133, 1, v133
	v_cmp_lt_u32_e32 vcc, 3, v133
	v_add_u32_e32 v131, 4, v131
	v_add_u32_e32 v132, 4, v132
	s_or_b64 s[10:11], vcc, s[10:11]
	s_waitcnt vmcnt(0) lgkmcnt(0)
	v_fmac_f32_e32 v130, v134, v135
	s_andn2_b64 exec, exec, s[10:11]
	s_cbranch_execnz .LBB126_655
; %bb.656:
	s_or_b64 exec, exec, s[10:11]
.LBB126_657:
	s_or_b64 exec, exec, s[8:9]
	v_mov_b32_e32 v131, 0
	ds_read_b32 v131, v131 offset:20
	s_waitcnt lgkmcnt(0)
	v_mul_f32_e32 v130, v130, v131
	buffer_store_dword v130, off, s[0:3], 0 offset:20
.LBB126_658:
	;; [unrolled: 55-line block ×36, first 2 shown]
	s_or_b64 exec, exec, s[6:7]
	buffer_load_dword v130, off, s[0:3], 0 offset:160
	v_cmp_gt_u32_e32 vcc, 40, v0
	s_waitcnt vmcnt(0)
	ds_write_b32 v128, v130
	s_waitcnt lgkmcnt(0)
	; wave barrier
	s_and_saveexec_b64 s[6:7], vcc
	s_cbranch_execz .LBB126_1008
; %bb.999:
	s_and_b64 vcc, exec, s[4:5]
	s_cbranch_vccnz .LBB126_1001
; %bb.1000:
	buffer_load_dword v130, v129, s[0:3], 0 offen
	ds_read_b32 v131, v128
	s_waitcnt vmcnt(0) lgkmcnt(0)
	v_mul_f32_e32 v130, v130, v131
	s_cbranch_execz .LBB126_1002
	s_branch .LBB126_1003
.LBB126_1001:
                                        ; implicit-def: $vgpr130
.LBB126_1002:
	ds_read_b32 v130, v128
.LBB126_1003:
	v_cmp_ne_u32_e32 vcc, 39, v0
	s_and_saveexec_b64 s[8:9], vcc
	s_cbranch_execz .LBB126_1007
; %bb.1004:
	s_mov_b32 s10, 0
	v_add_u32_e32 v131, 0x104, v127
	v_add3_u32 v132, v127, s10, 4
	s_mov_b64 s[10:11], 0
	v_mov_b32_e32 v133, v0
.LBB126_1005:                           ; =>This Inner Loop Header: Depth=1
	buffer_load_dword v134, v132, s[0:3], 0 offen
	ds_read_b32 v135, v131
	v_add_u32_e32 v133, 1, v133
	v_cmp_lt_u32_e32 vcc, 38, v133
	v_add_u32_e32 v131, 4, v131
	v_add_u32_e32 v132, 4, v132
	s_or_b64 s[10:11], vcc, s[10:11]
	s_waitcnt vmcnt(0) lgkmcnt(0)
	v_fmac_f32_e32 v130, v134, v135
	s_andn2_b64 exec, exec, s[10:11]
	s_cbranch_execnz .LBB126_1005
; %bb.1006:
	s_or_b64 exec, exec, s[10:11]
.LBB126_1007:
	s_or_b64 exec, exec, s[8:9]
	v_mov_b32_e32 v131, 0
	ds_read_b32 v131, v131 offset:160
	s_waitcnt lgkmcnt(0)
	v_mul_f32_e32 v130, v130, v131
	buffer_store_dword v130, off, s[0:3], 0 offset:160
.LBB126_1008:
	s_or_b64 exec, exec, s[6:7]
	buffer_load_dword v130, off, s[0:3], 0 offset:164
	v_cmp_gt_u32_e32 vcc, 41, v0
	s_waitcnt vmcnt(0)
	ds_write_b32 v128, v130
	s_waitcnt lgkmcnt(0)
	; wave barrier
	s_and_saveexec_b64 s[6:7], vcc
	s_cbranch_execz .LBB126_1018
; %bb.1009:
	s_and_b64 vcc, exec, s[4:5]
	s_cbranch_vccnz .LBB126_1011
; %bb.1010:
	buffer_load_dword v130, v129, s[0:3], 0 offen
	ds_read_b32 v131, v128
	s_waitcnt vmcnt(0) lgkmcnt(0)
	v_mul_f32_e32 v130, v130, v131
	s_cbranch_execz .LBB126_1012
	s_branch .LBB126_1013
.LBB126_1011:
                                        ; implicit-def: $vgpr130
.LBB126_1012:
	ds_read_b32 v130, v128
.LBB126_1013:
	v_cmp_ne_u32_e32 vcc, 40, v0
	s_and_saveexec_b64 s[8:9], vcc
	s_cbranch_execz .LBB126_1017
; %bb.1014:
	s_mov_b32 s10, 0
	v_add_u32_e32 v131, 0x104, v127
	v_add3_u32 v132, v127, s10, 4
	s_mov_b64 s[10:11], 0
	v_mov_b32_e32 v133, v0
.LBB126_1015:                           ; =>This Inner Loop Header: Depth=1
	buffer_load_dword v134, v132, s[0:3], 0 offen
	ds_read_b32 v135, v131
	v_add_u32_e32 v133, 1, v133
	v_cmp_lt_u32_e32 vcc, 39, v133
	v_add_u32_e32 v131, 4, v131
	v_add_u32_e32 v132, 4, v132
	s_or_b64 s[10:11], vcc, s[10:11]
	s_waitcnt vmcnt(0) lgkmcnt(0)
	v_fmac_f32_e32 v130, v134, v135
	s_andn2_b64 exec, exec, s[10:11]
	s_cbranch_execnz .LBB126_1015
; %bb.1016:
	s_or_b64 exec, exec, s[10:11]
.LBB126_1017:
	s_or_b64 exec, exec, s[8:9]
	v_mov_b32_e32 v131, 0
	ds_read_b32 v131, v131 offset:164
	s_waitcnt lgkmcnt(0)
	v_mul_f32_e32 v130, v130, v131
	buffer_store_dword v130, off, s[0:3], 0 offset:164
.LBB126_1018:
	;; [unrolled: 55-line block ×21, first 2 shown]
	s_or_b64 exec, exec, s[6:7]
	buffer_load_dword v130, off, s[0:3], 0 offset:244
	v_cmp_gt_u32_e64 s[6:7], 61, v0
	s_waitcnt vmcnt(0)
	ds_write_b32 v128, v130
	s_waitcnt lgkmcnt(0)
	; wave barrier
	s_and_saveexec_b64 s[8:9], s[6:7]
	s_cbranch_execz .LBB126_1218
; %bb.1209:
	s_and_b64 vcc, exec, s[4:5]
	s_cbranch_vccnz .LBB126_1211
; %bb.1210:
	buffer_load_dword v130, v129, s[0:3], 0 offen
	ds_read_b32 v131, v128
	s_waitcnt vmcnt(0) lgkmcnt(0)
	v_mul_f32_e32 v130, v130, v131
	s_cbranch_execz .LBB126_1212
	s_branch .LBB126_1213
.LBB126_1211:
                                        ; implicit-def: $vgpr130
.LBB126_1212:
	ds_read_b32 v130, v128
.LBB126_1213:
	v_cmp_ne_u32_e32 vcc, 60, v0
	s_and_saveexec_b64 s[10:11], vcc
	s_cbranch_execz .LBB126_1217
; %bb.1214:
	s_mov_b32 s12, 0
	v_add_u32_e32 v131, 0x104, v127
	v_add3_u32 v132, v127, s12, 4
	s_mov_b64 s[12:13], 0
	v_mov_b32_e32 v133, v0
.LBB126_1215:                           ; =>This Inner Loop Header: Depth=1
	buffer_load_dword v134, v132, s[0:3], 0 offen
	ds_read_b32 v135, v131
	v_add_u32_e32 v133, 1, v133
	v_cmp_lt_u32_e32 vcc, 59, v133
	v_add_u32_e32 v131, 4, v131
	v_add_u32_e32 v132, 4, v132
	s_or_b64 s[12:13], vcc, s[12:13]
	s_waitcnt vmcnt(0) lgkmcnt(0)
	v_fmac_f32_e32 v130, v134, v135
	s_andn2_b64 exec, exec, s[12:13]
	s_cbranch_execnz .LBB126_1215
; %bb.1216:
	s_or_b64 exec, exec, s[12:13]
.LBB126_1217:
	s_or_b64 exec, exec, s[10:11]
	v_mov_b32_e32 v131, 0
	ds_read_b32 v131, v131 offset:244
	s_waitcnt lgkmcnt(0)
	v_mul_f32_e32 v130, v130, v131
	buffer_store_dword v130, off, s[0:3], 0 offset:244
.LBB126_1218:
	s_or_b64 exec, exec, s[8:9]
	buffer_load_dword v130, off, s[0:3], 0 offset:248
	v_cmp_ne_u32_e32 vcc, 62, v0
	s_waitcnt vmcnt(0)
	ds_write_b32 v128, v130
	s_waitcnt lgkmcnt(0)
	; wave barrier
	s_and_saveexec_b64 s[8:9], vcc
	s_cbranch_execz .LBB126_1228
; %bb.1219:
	s_and_b64 vcc, exec, s[4:5]
	s_cbranch_vccnz .LBB126_1221
; %bb.1220:
	buffer_load_dword v129, v129, s[0:3], 0 offen
	ds_read_b32 v130, v128
	s_waitcnt vmcnt(0) lgkmcnt(0)
	v_mul_f32_e32 v129, v129, v130
	s_cbranch_execz .LBB126_1222
	s_branch .LBB126_1223
.LBB126_1221:
                                        ; implicit-def: $vgpr129
.LBB126_1222:
	ds_read_b32 v129, v128
.LBB126_1223:
	s_and_saveexec_b64 s[4:5], s[6:7]
	s_cbranch_execz .LBB126_1227
; %bb.1224:
	s_mov_b32 s6, 0
	v_add_u32_e32 v128, 0x104, v127
	v_add3_u32 v127, v127, s6, 4
	s_mov_b64 s[6:7], 0
.LBB126_1225:                           ; =>This Inner Loop Header: Depth=1
	buffer_load_dword v130, v127, s[0:3], 0 offen
	ds_read_b32 v131, v128
	v_add_u32_e32 v0, 1, v0
	v_cmp_lt_u32_e32 vcc, 60, v0
	v_add_u32_e32 v128, 4, v128
	v_add_u32_e32 v127, 4, v127
	s_or_b64 s[6:7], vcc, s[6:7]
	s_waitcnt vmcnt(0) lgkmcnt(0)
	v_fmac_f32_e32 v129, v130, v131
	s_andn2_b64 exec, exec, s[6:7]
	s_cbranch_execnz .LBB126_1225
; %bb.1226:
	s_or_b64 exec, exec, s[6:7]
.LBB126_1227:
	s_or_b64 exec, exec, s[4:5]
	v_mov_b32_e32 v0, 0
	ds_read_b32 v0, v0 offset:248
	s_waitcnt lgkmcnt(0)
	v_mul_f32_e32 v0, v129, v0
	buffer_store_dword v0, off, s[0:3], 0 offset:248
.LBB126_1228:
	s_or_b64 exec, exec, s[8:9]
.LBB126_1229:
	buffer_load_dword v0, off, s[0:3], 0
	s_waitcnt vmcnt(0)
	flat_store_dword v[1:2], v0
	buffer_load_dword v0, off, s[0:3], 0 offset:4
	s_waitcnt vmcnt(0)
	flat_store_dword v[3:4], v0
	buffer_load_dword v0, off, s[0:3], 0 offset:8
	;; [unrolled: 3-line block ×62, first 2 shown]
	s_waitcnt vmcnt(0)
	flat_store_dword v[125:126], v0
.LBB126_1230:
	s_endpgm
	.section	.rodata,"a",@progbits
	.p2align	6, 0x0
	.amdhsa_kernel _ZN9rocsolver6v33100L18trti2_kernel_smallILi63EfPKPfEEv13rocblas_fill_17rocblas_diagonal_T1_iil
		.amdhsa_group_segment_fixed_size 508
		.amdhsa_private_segment_fixed_size 256
		.amdhsa_kernarg_size 32
		.amdhsa_user_sgpr_count 6
		.amdhsa_user_sgpr_private_segment_buffer 1
		.amdhsa_user_sgpr_dispatch_ptr 0
		.amdhsa_user_sgpr_queue_ptr 0
		.amdhsa_user_sgpr_kernarg_segment_ptr 1
		.amdhsa_user_sgpr_dispatch_id 0
		.amdhsa_user_sgpr_flat_scratch_init 0
		.amdhsa_user_sgpr_private_segment_size 0
		.amdhsa_uses_dynamic_stack 0
		.amdhsa_system_sgpr_private_segment_wavefront_offset 1
		.amdhsa_system_sgpr_workgroup_id_x 1
		.amdhsa_system_sgpr_workgroup_id_y 0
		.amdhsa_system_sgpr_workgroup_id_z 0
		.amdhsa_system_sgpr_workgroup_info 0
		.amdhsa_system_vgpr_workitem_id 0
		.amdhsa_next_free_vgpr 136
		.amdhsa_next_free_sgpr 76
		.amdhsa_reserve_vcc 1
		.amdhsa_reserve_flat_scratch 0
		.amdhsa_float_round_mode_32 0
		.amdhsa_float_round_mode_16_64 0
		.amdhsa_float_denorm_mode_32 3
		.amdhsa_float_denorm_mode_16_64 3
		.amdhsa_dx10_clamp 1
		.amdhsa_ieee_mode 1
		.amdhsa_fp16_overflow 0
		.amdhsa_exception_fp_ieee_invalid_op 0
		.amdhsa_exception_fp_denorm_src 0
		.amdhsa_exception_fp_ieee_div_zero 0
		.amdhsa_exception_fp_ieee_overflow 0
		.amdhsa_exception_fp_ieee_underflow 0
		.amdhsa_exception_fp_ieee_inexact 0
		.amdhsa_exception_int_div_zero 0
	.end_amdhsa_kernel
	.section	.text._ZN9rocsolver6v33100L18trti2_kernel_smallILi63EfPKPfEEv13rocblas_fill_17rocblas_diagonal_T1_iil,"axG",@progbits,_ZN9rocsolver6v33100L18trti2_kernel_smallILi63EfPKPfEEv13rocblas_fill_17rocblas_diagonal_T1_iil,comdat
.Lfunc_end126:
	.size	_ZN9rocsolver6v33100L18trti2_kernel_smallILi63EfPKPfEEv13rocblas_fill_17rocblas_diagonal_T1_iil, .Lfunc_end126-_ZN9rocsolver6v33100L18trti2_kernel_smallILi63EfPKPfEEv13rocblas_fill_17rocblas_diagonal_T1_iil
                                        ; -- End function
	.set _ZN9rocsolver6v33100L18trti2_kernel_smallILi63EfPKPfEEv13rocblas_fill_17rocblas_diagonal_T1_iil.num_vgpr, 136
	.set _ZN9rocsolver6v33100L18trti2_kernel_smallILi63EfPKPfEEv13rocblas_fill_17rocblas_diagonal_T1_iil.num_agpr, 0
	.set _ZN9rocsolver6v33100L18trti2_kernel_smallILi63EfPKPfEEv13rocblas_fill_17rocblas_diagonal_T1_iil.numbered_sgpr, 76
	.set _ZN9rocsolver6v33100L18trti2_kernel_smallILi63EfPKPfEEv13rocblas_fill_17rocblas_diagonal_T1_iil.num_named_barrier, 0
	.set _ZN9rocsolver6v33100L18trti2_kernel_smallILi63EfPKPfEEv13rocblas_fill_17rocblas_diagonal_T1_iil.private_seg_size, 256
	.set _ZN9rocsolver6v33100L18trti2_kernel_smallILi63EfPKPfEEv13rocblas_fill_17rocblas_diagonal_T1_iil.uses_vcc, 1
	.set _ZN9rocsolver6v33100L18trti2_kernel_smallILi63EfPKPfEEv13rocblas_fill_17rocblas_diagonal_T1_iil.uses_flat_scratch, 0
	.set _ZN9rocsolver6v33100L18trti2_kernel_smallILi63EfPKPfEEv13rocblas_fill_17rocblas_diagonal_T1_iil.has_dyn_sized_stack, 0
	.set _ZN9rocsolver6v33100L18trti2_kernel_smallILi63EfPKPfEEv13rocblas_fill_17rocblas_diagonal_T1_iil.has_recursion, 0
	.set _ZN9rocsolver6v33100L18trti2_kernel_smallILi63EfPKPfEEv13rocblas_fill_17rocblas_diagonal_T1_iil.has_indirect_call, 0
	.section	.AMDGPU.csdata,"",@progbits
; Kernel info:
; codeLenInByte = 30736
; TotalNumSgprs: 80
; NumVgprs: 136
; ScratchSize: 256
; MemoryBound: 0
; FloatMode: 240
; IeeeMode: 1
; LDSByteSize: 508 bytes/workgroup (compile time only)
; SGPRBlocks: 9
; VGPRBlocks: 33
; NumSGPRsForWavesPerEU: 80
; NumVGPRsForWavesPerEU: 136
; Occupancy: 1
; WaveLimiterHint : 1
; COMPUTE_PGM_RSRC2:SCRATCH_EN: 1
; COMPUTE_PGM_RSRC2:USER_SGPR: 6
; COMPUTE_PGM_RSRC2:TRAP_HANDLER: 0
; COMPUTE_PGM_RSRC2:TGID_X_EN: 1
; COMPUTE_PGM_RSRC2:TGID_Y_EN: 0
; COMPUTE_PGM_RSRC2:TGID_Z_EN: 0
; COMPUTE_PGM_RSRC2:TIDIG_COMP_CNT: 0
	.section	.text._ZN9rocsolver6v33100L18trti2_kernel_smallILi64EfPKPfEEv13rocblas_fill_17rocblas_diagonal_T1_iil,"axG",@progbits,_ZN9rocsolver6v33100L18trti2_kernel_smallILi64EfPKPfEEv13rocblas_fill_17rocblas_diagonal_T1_iil,comdat
	.globl	_ZN9rocsolver6v33100L18trti2_kernel_smallILi64EfPKPfEEv13rocblas_fill_17rocblas_diagonal_T1_iil ; -- Begin function _ZN9rocsolver6v33100L18trti2_kernel_smallILi64EfPKPfEEv13rocblas_fill_17rocblas_diagonal_T1_iil
	.p2align	8
	.type	_ZN9rocsolver6v33100L18trti2_kernel_smallILi64EfPKPfEEv13rocblas_fill_17rocblas_diagonal_T1_iil,@function
_ZN9rocsolver6v33100L18trti2_kernel_smallILi64EfPKPfEEv13rocblas_fill_17rocblas_diagonal_T1_iil: ; @_ZN9rocsolver6v33100L18trti2_kernel_smallILi64EfPKPfEEv13rocblas_fill_17rocblas_diagonal_T1_iil
; %bb.0:
	s_add_u32 s0, s0, s7
	s_addc_u32 s1, s1, 0
	v_cmp_gt_u32_e32 vcc, 64, v0
	s_and_saveexec_b64 s[8:9], vcc
	s_cbranch_execz .LBB127_1250
; %bb.1:
	s_load_dwordx2 s[12:13], s[4:5], 0x10
	s_load_dwordx4 s[8:11], s[4:5], 0x0
	s_ashr_i32 s7, s6, 31
	s_lshl_b64 s[6:7], s[6:7], 3
	v_lshlrev_b32_e32 v129, 2, v0
	s_waitcnt lgkmcnt(0)
	s_ashr_i32 s5, s12, 31
	s_add_u32 s6, s10, s6
	s_addc_u32 s7, s11, s7
	s_load_dwordx2 s[6:7], s[6:7], 0x0
	s_mov_b32 s4, s12
	s_lshl_b64 s[4:5], s[4:5], 2
	s_movk_i32 s12, 0x84
	s_waitcnt lgkmcnt(0)
	s_add_u32 s4, s6, s4
	s_addc_u32 s5, s7, s5
	v_mov_b32_e32 v2, s5
	v_add_co_u32_e32 v1, vcc, s4, v129
	v_addc_co_u32_e32 v2, vcc, 0, v2, vcc
	flat_load_dword v5, v[1:2]
	s_mov_b32 s6, s13
	s_ashr_i32 s7, s13, 31
	s_lshl_b64 s[6:7], s[6:7], 2
	v_mov_b32_e32 v4, s7
	v_add_co_u32_e32 v3, vcc, s6, v1
	v_addc_co_u32_e32 v4, vcc, v2, v4, vcc
	s_add_i32 s6, s13, s13
	v_add_u32_e32 v7, s6, v0
	v_ashrrev_i32_e32 v8, 31, v7
	v_mov_b32_e32 v10, s5
	v_mov_b32_e32 v12, s5
	;; [unrolled: 1-line block ×61, first 2 shown]
	s_cmpk_lg_i32 s9, 0x84
	s_cselect_b64 s[10:11], -1, 0
	s_cmpk_eq_i32 s9, 0x84
	s_waitcnt vmcnt(0) lgkmcnt(0)
	buffer_store_dword v5, off, s[0:3], 0
	flat_load_dword v9, v[3:4]
	v_lshlrev_b64 v[5:6], 2, v[7:8]
	v_add_co_u32_e32 v5, vcc, s4, v5
	v_addc_co_u32_e32 v6, vcc, v10, v6, vcc
	s_waitcnt vmcnt(0) lgkmcnt(0)
	buffer_store_dword v9, off, s[0:3], 0 offset:4
	flat_load_dword v11, v[5:6]
	v_add_u32_e32 v9, s13, v7
	v_ashrrev_i32_e32 v10, 31, v9
	v_lshlrev_b64 v[7:8], 2, v[9:10]
	v_add_co_u32_e32 v7, vcc, s4, v7
	v_addc_co_u32_e32 v8, vcc, v12, v8, vcc
	s_waitcnt vmcnt(0) lgkmcnt(0)
	buffer_store_dword v11, off, s[0:3], 0 offset:8
	flat_load_dword v13, v[7:8]
	v_add_u32_e32 v11, s13, v9
	v_ashrrev_i32_e32 v12, 31, v11
	;; [unrolled: 8-line block ×60, first 2 shown]
	v_lshlrev_b64 v[125:126], 2, v[127:128]
	v_add_u32_e32 v127, s13, v127
	v_add_co_u32_e32 v125, vcc, s4, v125
	v_addc_co_u32_e32 v126, vcc, v131, v126, vcc
	v_ashrrev_i32_e32 v128, 31, v127
	v_lshlrev_b64 v[127:128], 2, v[127:128]
	v_add_co_u32_e32 v127, vcc, s4, v127
	v_addc_co_u32_e32 v128, vcc, v131, v128, vcc
	s_waitcnt vmcnt(0) lgkmcnt(0)
	buffer_store_dword v130, off, s[0:3], 0 offset:244
	flat_load_dword v130, v[125:126]
	s_waitcnt vmcnt(0) lgkmcnt(0)
	buffer_store_dword v130, off, s[0:3], 0 offset:248
	flat_load_dword v130, v[127:128]
	s_waitcnt vmcnt(0) lgkmcnt(0)
	buffer_store_dword v130, off, s[0:3], 0 offset:252
	v_mov_b32_e32 v130, -1.0
	s_cbranch_scc1 .LBB127_3
; %bb.2:
	v_mov_b32_e32 v130, 0
	v_lshl_add_u32 v130, v0, 2, v130
	buffer_load_dword v131, v130, s[0:3], 0 offen
	s_waitcnt vmcnt(0)
	v_div_scale_f32 v132, s[4:5], v131, v131, 1.0
	v_div_scale_f32 v133, vcc, 1.0, v131, 1.0
	v_rcp_f32_e32 v134, v132
	v_fma_f32 v135, -v132, v134, 1.0
	v_fmac_f32_e32 v134, v135, v134
	v_mul_f32_e32 v135, v133, v134
	v_fma_f32 v136, -v132, v135, v133
	v_fmac_f32_e32 v135, v136, v134
	v_fma_f32 v132, -v132, v135, v133
	v_div_fmas_f32 v132, v132, v134, v135
	v_div_fixup_f32 v131, v132, v131, 1.0
	buffer_store_dword v131, v130, s[0:3], 0 offen
	v_xor_b32_e32 v130, 0x80000000, v131
.LBB127_3:
	ds_write_b32 v129, v130
	s_cmpk_eq_i32 s8, 0x79
	v_or_b32_e32 v130, 0x100, v129
	v_mov_b32_e32 v131, v129
	s_mov_b64 s[4:5], -1
	s_cbranch_scc1 .LBB127_627
; %bb.4:
	buffer_load_dword v132, off, s[0:3], 0 offset:248
	s_movk_i32 s30, 0x44
	s_movk_i32 s31, 0x48
	;; [unrolled: 1-line block ×44, first 2 shown]
	v_cmp_eq_u32_e64 s[4:5], 63, v0
	s_waitcnt vmcnt(0)
	ds_write_b32 v130, v132
	s_waitcnt lgkmcnt(0)
	; wave barrier
	s_and_saveexec_b64 s[6:7], s[4:5]
	s_cbranch_execz .LBB127_10
; %bb.5:
	s_and_b64 vcc, exec, s[10:11]
	s_cbranch_vccz .LBB127_7
; %bb.6:
	buffer_load_dword v132, v131, s[0:3], 0 offen
	ds_read_b32 v133, v130
	s_waitcnt vmcnt(0) lgkmcnt(0)
	v_mul_f32_e32 v132, v132, v133
	s_cbranch_execz .LBB127_8
	s_branch .LBB127_9
.LBB127_7:
                                        ; implicit-def: $vgpr132
.LBB127_8:
	ds_read_b32 v132, v130
.LBB127_9:
	v_mov_b32_e32 v133, 0
	ds_read_b32 v133, v133 offset:248
	s_waitcnt lgkmcnt(0)
	v_mul_f32_e32 v132, v132, v133
	buffer_store_dword v132, off, s[0:3], 0 offset:248
.LBB127_10:
	s_or_b64 exec, exec, s[6:7]
	buffer_load_dword v132, off, s[0:3], 0 offset:244
	s_or_b32 s14, 0, 4
	s_or_b32 s15, 0, 8
	;; [unrolled: 1-line block ×3, first 2 shown]
	s_mov_b32 s17, 16
	s_mov_b32 s18, 20
	;; [unrolled: 1-line block ×15, first 2 shown]
	v_cmp_lt_u32_e64 s[6:7], 61, v0
	s_waitcnt vmcnt(0)
	ds_write_b32 v130, v132
	s_waitcnt lgkmcnt(0)
	; wave barrier
	s_and_saveexec_b64 s[8:9], s[6:7]
	s_cbranch_execz .LBB127_16
; %bb.11:
	s_andn2_b64 vcc, exec, s[10:11]
	s_cbranch_vccnz .LBB127_13
; %bb.12:
	buffer_load_dword v132, v131, s[0:3], 0 offen
	ds_read_b32 v133, v130
	s_waitcnt vmcnt(0) lgkmcnt(0)
	v_mul_f32_e32 v132, v132, v133
	s_cbranch_execz .LBB127_14
	s_branch .LBB127_15
.LBB127_13:
                                        ; implicit-def: $vgpr132
.LBB127_14:
	ds_read_b32 v132, v130
.LBB127_15:
	buffer_load_dword v135, off, s[0:3], 0 offset:248
	v_mov_b32_e32 v133, 0
	ds_read2_b32 v[133:134], v133 offset0:61 offset1:126
	s_waitcnt vmcnt(0) lgkmcnt(0)
	v_fma_f32 v134, v135, v134, v132
	v_cndmask_b32_e64 v132, v132, v134, s[4:5]
	v_mul_f32_e32 v132, v132, v133
	buffer_store_dword v132, off, s[0:3], 0 offset:244
.LBB127_16:
	s_or_b64 exec, exec, s[8:9]
	buffer_load_dword v132, off, s[0:3], 0 offset:240
	v_cmp_lt_u32_e64 s[4:5], 60, v0
	s_waitcnt vmcnt(0)
	ds_write_b32 v130, v132
	s_waitcnt lgkmcnt(0)
	; wave barrier
	s_and_saveexec_b64 s[8:9], s[4:5]
	s_cbranch_execz .LBB127_26
; %bb.17:
	s_andn2_b64 vcc, exec, s[10:11]
	s_cbranch_vccnz .LBB127_19
; %bb.18:
	buffer_load_dword v132, v131, s[0:3], 0 offen
	ds_read_b32 v133, v130
	s_waitcnt vmcnt(0) lgkmcnt(0)
	v_mul_f32_e32 v132, v132, v133
	s_cbranch_execz .LBB127_20
	s_branch .LBB127_21
.LBB127_19:
                                        ; implicit-def: $vgpr132
.LBB127_20:
	ds_read_b32 v132, v130
.LBB127_21:
	s_and_saveexec_b64 s[12:13], s[6:7]
	s_cbranch_execz .LBB127_25
; %bb.22:
	v_subrev_u32_e32 v133, 61, v0
	s_movk_i32 s76, 0x1f4
	s_mov_b64 s[6:7], 0
.LBB127_23:                             ; =>This Inner Loop Header: Depth=1
	v_mov_b32_e32 v134, s75
	buffer_load_dword v134, v134, s[0:3], 0 offen
	v_mov_b32_e32 v135, s76
	ds_read_b32 v135, v135
	v_add_u32_e32 v133, -1, v133
	s_add_i32 s76, s76, 4
	s_add_i32 s75, s75, 4
	v_cmp_eq_u32_e32 vcc, 0, v133
	s_or_b64 s[6:7], vcc, s[6:7]
	s_waitcnt vmcnt(0) lgkmcnt(0)
	v_fmac_f32_e32 v132, v134, v135
	s_andn2_b64 exec, exec, s[6:7]
	s_cbranch_execnz .LBB127_23
; %bb.24:
	s_or_b64 exec, exec, s[6:7]
.LBB127_25:
	s_or_b64 exec, exec, s[12:13]
	v_mov_b32_e32 v133, 0
	ds_read_b32 v133, v133 offset:240
	s_waitcnt lgkmcnt(0)
	v_mul_f32_e32 v132, v132, v133
	buffer_store_dword v132, off, s[0:3], 0 offset:240
.LBB127_26:
	s_or_b64 exec, exec, s[8:9]
	buffer_load_dword v132, off, s[0:3], 0 offset:236
	v_cmp_lt_u32_e64 s[6:7], 59, v0
	s_waitcnt vmcnt(0)
	ds_write_b32 v130, v132
	s_waitcnt lgkmcnt(0)
	; wave barrier
	s_and_saveexec_b64 s[8:9], s[6:7]
	s_cbranch_execz .LBB127_36
; %bb.27:
	s_andn2_b64 vcc, exec, s[10:11]
	s_cbranch_vccnz .LBB127_29
; %bb.28:
	buffer_load_dword v132, v131, s[0:3], 0 offen
	ds_read_b32 v133, v130
	s_waitcnt vmcnt(0) lgkmcnt(0)
	v_mul_f32_e32 v132, v132, v133
	s_cbranch_execz .LBB127_30
	s_branch .LBB127_31
.LBB127_29:
                                        ; implicit-def: $vgpr132
.LBB127_30:
	ds_read_b32 v132, v130
.LBB127_31:
	s_and_saveexec_b64 s[12:13], s[4:5]
	s_cbranch_execz .LBB127_35
; %bb.32:
	v_subrev_u32_e32 v133, 60, v0
	s_movk_i32 s75, 0x1f0
	s_mov_b64 s[4:5], 0
.LBB127_33:                             ; =>This Inner Loop Header: Depth=1
	v_mov_b32_e32 v134, s74
	buffer_load_dword v134, v134, s[0:3], 0 offen
	v_mov_b32_e32 v135, s75
	ds_read_b32 v135, v135
	v_add_u32_e32 v133, -1, v133
	s_add_i32 s75, s75, 4
	s_add_i32 s74, s74, 4
	v_cmp_eq_u32_e32 vcc, 0, v133
	s_or_b64 s[4:5], vcc, s[4:5]
	s_waitcnt vmcnt(0) lgkmcnt(0)
	v_fmac_f32_e32 v132, v134, v135
	s_andn2_b64 exec, exec, s[4:5]
	s_cbranch_execnz .LBB127_33
; %bb.34:
	s_or_b64 exec, exec, s[4:5]
.LBB127_35:
	s_or_b64 exec, exec, s[12:13]
	v_mov_b32_e32 v133, 0
	ds_read_b32 v133, v133 offset:236
	s_waitcnt lgkmcnt(0)
	v_mul_f32_e32 v132, v132, v133
	buffer_store_dword v132, off, s[0:3], 0 offset:236
.LBB127_36:
	;; [unrolled: 54-line block ×8, first 2 shown]
	s_or_b64 exec, exec, s[8:9]
	buffer_load_dword v132, off, s[0:3], 0 offset:208
	v_cmp_lt_u32_e64 s[4:5], 52, v0
	s_waitcnt vmcnt(0)
	ds_write_b32 v130, v132
	s_waitcnt lgkmcnt(0)
	; wave barrier
	s_and_saveexec_b64 s[8:9], s[4:5]
	s_cbranch_execz .LBB127_106
; %bb.97:
	s_andn2_b64 vcc, exec, s[10:11]
	s_cbranch_vccnz .LBB127_99
; %bb.98:
	buffer_load_dword v132, v131, s[0:3], 0 offen
	ds_read_b32 v133, v130
	s_waitcnt vmcnt(0) lgkmcnt(0)
	v_mul_f32_e32 v132, v132, v133
	s_cbranch_execz .LBB127_100
	s_branch .LBB127_101
.LBB127_99:
                                        ; implicit-def: $vgpr132
.LBB127_100:
	ds_read_b32 v132, v130
.LBB127_101:
	s_and_saveexec_b64 s[12:13], s[6:7]
	s_cbranch_execz .LBB127_105
; %bb.102:
	v_subrev_u32_e32 v133, 53, v0
	s_movk_i32 s68, 0x1d4
	s_mov_b64 s[6:7], 0
.LBB127_103:                            ; =>This Inner Loop Header: Depth=1
	v_mov_b32_e32 v134, s67
	buffer_load_dword v134, v134, s[0:3], 0 offen
	v_mov_b32_e32 v135, s68
	ds_read_b32 v135, v135
	v_add_u32_e32 v133, -1, v133
	s_add_i32 s68, s68, 4
	s_add_i32 s67, s67, 4
	v_cmp_eq_u32_e32 vcc, 0, v133
	s_or_b64 s[6:7], vcc, s[6:7]
	s_waitcnt vmcnt(0) lgkmcnt(0)
	v_fmac_f32_e32 v132, v134, v135
	s_andn2_b64 exec, exec, s[6:7]
	s_cbranch_execnz .LBB127_103
; %bb.104:
	s_or_b64 exec, exec, s[6:7]
.LBB127_105:
	s_or_b64 exec, exec, s[12:13]
	v_mov_b32_e32 v133, 0
	ds_read_b32 v133, v133 offset:208
	s_waitcnt lgkmcnt(0)
	v_mul_f32_e32 v132, v132, v133
	buffer_store_dword v132, off, s[0:3], 0 offset:208
.LBB127_106:
	s_or_b64 exec, exec, s[8:9]
	buffer_load_dword v132, off, s[0:3], 0 offset:204
	v_cmp_lt_u32_e64 s[6:7], 51, v0
	s_waitcnt vmcnt(0)
	ds_write_b32 v130, v132
	s_waitcnt lgkmcnt(0)
	; wave barrier
	s_and_saveexec_b64 s[8:9], s[6:7]
	s_cbranch_execz .LBB127_116
; %bb.107:
	s_andn2_b64 vcc, exec, s[10:11]
	s_cbranch_vccnz .LBB127_109
; %bb.108:
	buffer_load_dword v132, v131, s[0:3], 0 offen
	ds_read_b32 v133, v130
	s_waitcnt vmcnt(0) lgkmcnt(0)
	v_mul_f32_e32 v132, v132, v133
	s_cbranch_execz .LBB127_110
	s_branch .LBB127_111
.LBB127_109:
                                        ; implicit-def: $vgpr132
.LBB127_110:
	ds_read_b32 v132, v130
.LBB127_111:
	s_and_saveexec_b64 s[12:13], s[4:5]
	s_cbranch_execz .LBB127_115
; %bb.112:
	v_subrev_u32_e32 v133, 52, v0
	s_movk_i32 s67, 0x1d0
	s_mov_b64 s[4:5], 0
.LBB127_113:                            ; =>This Inner Loop Header: Depth=1
	v_mov_b32_e32 v134, s66
	buffer_load_dword v134, v134, s[0:3], 0 offen
	v_mov_b32_e32 v135, s67
	ds_read_b32 v135, v135
	v_add_u32_e32 v133, -1, v133
	s_add_i32 s67, s67, 4
	s_add_i32 s66, s66, 4
	v_cmp_eq_u32_e32 vcc, 0, v133
	s_or_b64 s[4:5], vcc, s[4:5]
	s_waitcnt vmcnt(0) lgkmcnt(0)
	v_fmac_f32_e32 v132, v134, v135
	s_andn2_b64 exec, exec, s[4:5]
	s_cbranch_execnz .LBB127_113
; %bb.114:
	s_or_b64 exec, exec, s[4:5]
.LBB127_115:
	s_or_b64 exec, exec, s[12:13]
	v_mov_b32_e32 v133, 0
	ds_read_b32 v133, v133 offset:204
	s_waitcnt lgkmcnt(0)
	v_mul_f32_e32 v132, v132, v133
	buffer_store_dword v132, off, s[0:3], 0 offset:204
.LBB127_116:
	;; [unrolled: 54-line block ×37, first 2 shown]
	s_or_b64 exec, exec, s[8:9]
	buffer_load_dword v132, off, s[0:3], 0 offset:60
	v_cmp_lt_u32_e64 s[6:7], 15, v0
	s_waitcnt vmcnt(0)
	ds_write_b32 v130, v132
	s_waitcnt lgkmcnt(0)
	; wave barrier
	s_and_saveexec_b64 s[8:9], s[6:7]
	s_cbranch_execz .LBB127_476
; %bb.467:
	s_andn2_b64 vcc, exec, s[10:11]
	s_cbranch_vccnz .LBB127_469
; %bb.468:
	buffer_load_dword v132, v131, s[0:3], 0 offen
	ds_read_b32 v133, v130
	s_waitcnt vmcnt(0) lgkmcnt(0)
	v_mul_f32_e32 v132, v132, v133
	s_cbranch_execz .LBB127_470
	s_branch .LBB127_471
.LBB127_469:
                                        ; implicit-def: $vgpr132
.LBB127_470:
	ds_read_b32 v132, v130
.LBB127_471:
	s_and_saveexec_b64 s[12:13], s[4:5]
	s_cbranch_execz .LBB127_475
; %bb.472:
	v_add_u32_e32 v133, -16, v0
	s_movk_i32 s30, 0x140
	s_mov_b64 s[4:5], 0
.LBB127_473:                            ; =>This Inner Loop Header: Depth=1
	v_mov_b32_e32 v134, s29
	buffer_load_dword v134, v134, s[0:3], 0 offen
	v_mov_b32_e32 v135, s30
	ds_read_b32 v135, v135
	v_add_u32_e32 v133, -1, v133
	s_add_i32 s30, s30, 4
	s_add_i32 s29, s29, 4
	v_cmp_eq_u32_e32 vcc, 0, v133
	s_or_b64 s[4:5], vcc, s[4:5]
	s_waitcnt vmcnt(0) lgkmcnt(0)
	v_fmac_f32_e32 v132, v134, v135
	s_andn2_b64 exec, exec, s[4:5]
	s_cbranch_execnz .LBB127_473
; %bb.474:
	s_or_b64 exec, exec, s[4:5]
.LBB127_475:
	s_or_b64 exec, exec, s[12:13]
	v_mov_b32_e32 v133, 0
	ds_read_b32 v133, v133 offset:60
	s_waitcnt lgkmcnt(0)
	v_mul_f32_e32 v132, v132, v133
	buffer_store_dword v132, off, s[0:3], 0 offset:60
.LBB127_476:
	s_or_b64 exec, exec, s[8:9]
	buffer_load_dword v132, off, s[0:3], 0 offset:56
	v_cmp_lt_u32_e64 s[4:5], 14, v0
	s_waitcnt vmcnt(0)
	ds_write_b32 v130, v132
	s_waitcnt lgkmcnt(0)
	; wave barrier
	s_and_saveexec_b64 s[8:9], s[4:5]
	s_cbranch_execz .LBB127_486
; %bb.477:
	s_andn2_b64 vcc, exec, s[10:11]
	s_cbranch_vccnz .LBB127_479
; %bb.478:
	buffer_load_dword v132, v131, s[0:3], 0 offen
	ds_read_b32 v133, v130
	s_waitcnt vmcnt(0) lgkmcnt(0)
	v_mul_f32_e32 v132, v132, v133
	s_cbranch_execz .LBB127_480
	s_branch .LBB127_481
.LBB127_479:
                                        ; implicit-def: $vgpr132
.LBB127_480:
	ds_read_b32 v132, v130
.LBB127_481:
	s_and_saveexec_b64 s[12:13], s[6:7]
	s_cbranch_execz .LBB127_485
; %bb.482:
	v_add_u32_e32 v133, -15, v0
	s_movk_i32 s29, 0x13c
	s_mov_b64 s[6:7], 0
.LBB127_483:                            ; =>This Inner Loop Header: Depth=1
	v_mov_b32_e32 v134, s28
	buffer_load_dword v134, v134, s[0:3], 0 offen
	v_mov_b32_e32 v135, s29
	ds_read_b32 v135, v135
	v_add_u32_e32 v133, -1, v133
	s_add_i32 s29, s29, 4
	s_add_i32 s28, s28, 4
	v_cmp_eq_u32_e32 vcc, 0, v133
	s_or_b64 s[6:7], vcc, s[6:7]
	s_waitcnt vmcnt(0) lgkmcnt(0)
	v_fmac_f32_e32 v132, v134, v135
	s_andn2_b64 exec, exec, s[6:7]
	s_cbranch_execnz .LBB127_483
; %bb.484:
	s_or_b64 exec, exec, s[6:7]
.LBB127_485:
	s_or_b64 exec, exec, s[12:13]
	v_mov_b32_e32 v133, 0
	ds_read_b32 v133, v133 offset:56
	s_waitcnt lgkmcnt(0)
	v_mul_f32_e32 v132, v132, v133
	buffer_store_dword v132, off, s[0:3], 0 offset:56
.LBB127_486:
	;; [unrolled: 54-line block ×15, first 2 shown]
	s_or_b64 exec, exec, s[8:9]
	buffer_load_dword v132, off, s[0:3], 0
	v_cmp_ne_u32_e32 vcc, 0, v0
	s_waitcnt vmcnt(0)
	ds_write_b32 v130, v132
	s_waitcnt lgkmcnt(0)
	; wave barrier
	s_and_saveexec_b64 s[4:5], vcc
	s_cbranch_execz .LBB127_626
; %bb.617:
	s_andn2_b64 vcc, exec, s[10:11]
	s_cbranch_vccnz .LBB127_619
; %bb.618:
	buffer_load_dword v132, v131, s[0:3], 0 offen
	ds_read_b32 v133, v130
	s_waitcnt vmcnt(0) lgkmcnt(0)
	v_mul_f32_e32 v132, v132, v133
	s_cbranch_execz .LBB127_620
	s_branch .LBB127_621
.LBB127_619:
                                        ; implicit-def: $vgpr132
.LBB127_620:
	ds_read_b32 v132, v130
.LBB127_621:
	s_and_saveexec_b64 s[8:9], s[6:7]
	s_cbranch_execz .LBB127_625
; %bb.622:
	v_add_u32_e32 v133, -1, v0
	s_movk_i32 s12, 0x104
	s_mov_b64 s[6:7], 0
.LBB127_623:                            ; =>This Inner Loop Header: Depth=1
	v_mov_b32_e32 v134, s14
	buffer_load_dword v134, v134, s[0:3], 0 offen
	v_mov_b32_e32 v135, s12
	ds_read_b32 v135, v135
	v_add_u32_e32 v133, -1, v133
	s_add_i32 s12, s12, 4
	s_add_i32 s14, s14, 4
	v_cmp_eq_u32_e32 vcc, 0, v133
	s_or_b64 s[6:7], vcc, s[6:7]
	s_waitcnt vmcnt(0) lgkmcnt(0)
	v_fmac_f32_e32 v132, v134, v135
	s_andn2_b64 exec, exec, s[6:7]
	s_cbranch_execnz .LBB127_623
; %bb.624:
	s_or_b64 exec, exec, s[6:7]
.LBB127_625:
	s_or_b64 exec, exec, s[8:9]
	v_mov_b32_e32 v133, 0
	ds_read_b32 v133, v133
	s_waitcnt lgkmcnt(0)
	v_mul_f32_e32 v132, v132, v133
	buffer_store_dword v132, off, s[0:3], 0
.LBB127_626:
	s_or_b64 exec, exec, s[4:5]
	s_mov_b64 s[4:5], 0
.LBB127_627:
	s_and_b64 vcc, exec, s[4:5]
	s_cbranch_vccz .LBB127_1249
; %bb.628:
	buffer_load_dword v132, off, s[0:3], 0 offset:4
	v_cmp_eq_u32_e64 s[6:7], 0, v0
	s_waitcnt vmcnt(0)
	ds_write_b32 v130, v132
	s_waitcnt lgkmcnt(0)
	; wave barrier
	s_and_saveexec_b64 s[4:5], s[6:7]
	s_cbranch_execz .LBB127_634
; %bb.629:
	s_and_b64 vcc, exec, s[10:11]
	s_cbranch_vccz .LBB127_631
; %bb.630:
	buffer_load_dword v132, v131, s[0:3], 0 offen
	ds_read_b32 v133, v130
	s_waitcnt vmcnt(0) lgkmcnt(0)
	v_mul_f32_e32 v132, v132, v133
	s_cbranch_execz .LBB127_632
	s_branch .LBB127_633
.LBB127_631:
                                        ; implicit-def: $vgpr132
.LBB127_632:
	ds_read_b32 v132, v130
.LBB127_633:
	v_mov_b32_e32 v133, 0
	ds_read_b32 v133, v133 offset:4
	s_waitcnt lgkmcnt(0)
	v_mul_f32_e32 v132, v132, v133
	buffer_store_dword v132, off, s[0:3], 0 offset:4
.LBB127_634:
	s_or_b64 exec, exec, s[4:5]
	buffer_load_dword v132, off, s[0:3], 0 offset:8
	v_cndmask_b32_e64 v133, 0, 1, s[10:11]
	v_cmp_gt_u32_e32 vcc, 2, v0
	v_cmp_ne_u32_e64 s[4:5], 1, v133
	s_waitcnt vmcnt(0)
	ds_write_b32 v130, v132
	s_waitcnt lgkmcnt(0)
	; wave barrier
	s_and_saveexec_b64 s[8:9], vcc
	s_cbranch_execz .LBB127_640
; %bb.635:
	s_and_b64 vcc, exec, s[4:5]
	s_cbranch_vccnz .LBB127_637
; %bb.636:
	buffer_load_dword v132, v131, s[0:3], 0 offen
	ds_read_b32 v133, v130
	s_waitcnt vmcnt(0) lgkmcnt(0)
	v_mul_f32_e32 v132, v132, v133
	s_cbranch_execz .LBB127_638
	s_branch .LBB127_639
.LBB127_637:
                                        ; implicit-def: $vgpr132
.LBB127_638:
	ds_read_b32 v132, v130
.LBB127_639:
	buffer_load_dword v135, off, s[0:3], 0 offset:4
	v_mov_b32_e32 v133, 0
	ds_read2_b32 v[133:134], v133 offset0:2 offset1:65
	s_waitcnt vmcnt(0) lgkmcnt(0)
	v_fma_f32 v134, v135, v134, v132
	v_cndmask_b32_e64 v132, v132, v134, s[6:7]
	v_mul_f32_e32 v132, v132, v133
	buffer_store_dword v132, off, s[0:3], 0 offset:8
.LBB127_640:
	s_or_b64 exec, exec, s[8:9]
	buffer_load_dword v132, off, s[0:3], 0 offset:12
	v_cmp_gt_u32_e32 vcc, 3, v0
	s_waitcnt vmcnt(0)
	ds_write_b32 v130, v132
	s_waitcnt lgkmcnt(0)
	; wave barrier
	s_and_saveexec_b64 s[8:9], vcc
	s_cbranch_execz .LBB127_648
; %bb.641:
	s_and_b64 vcc, exec, s[4:5]
	s_cbranch_vccnz .LBB127_643
; %bb.642:
	buffer_load_dword v132, v131, s[0:3], 0 offen
	ds_read_b32 v133, v130
	s_waitcnt vmcnt(0) lgkmcnt(0)
	v_mul_f32_e32 v132, v132, v133
	s_cbranch_execz .LBB127_644
	s_branch .LBB127_645
.LBB127_643:
                                        ; implicit-def: $vgpr132
.LBB127_644:
	ds_read_b32 v132, v130
.LBB127_645:
	v_cmp_ne_u32_e32 vcc, 2, v0
	s_and_saveexec_b64 s[10:11], vcc
	s_cbranch_execz .LBB127_647
; %bb.646:
	buffer_load_dword v133, v131, s[0:3], 0 offen offset:4
	buffer_load_dword v134, off, s[0:3], 0 offset:8
	v_mov_b32_e32 v135, 0
	ds_read_b32 v136, v130 offset:4
	ds_read_b32 v135, v135 offset:264
	s_waitcnt vmcnt(1) lgkmcnt(1)
	v_fmac_f32_e32 v132, v133, v136
	s_waitcnt vmcnt(0) lgkmcnt(0)
	v_fma_f32 v133, v134, v135, v132
	v_cndmask_b32_e64 v132, v132, v133, s[6:7]
.LBB127_647:
	s_or_b64 exec, exec, s[10:11]
	v_mov_b32_e32 v133, 0
	ds_read_b32 v133, v133 offset:12
	s_waitcnt lgkmcnt(0)
	v_mul_f32_e32 v132, v132, v133
	buffer_store_dword v132, off, s[0:3], 0 offset:12
.LBB127_648:
	s_or_b64 exec, exec, s[8:9]
	buffer_load_dword v132, off, s[0:3], 0 offset:16
	v_cmp_gt_u32_e32 vcc, 4, v0
	s_waitcnt vmcnt(0)
	ds_write_b32 v130, v132
	s_waitcnt lgkmcnt(0)
	; wave barrier
	s_and_saveexec_b64 s[6:7], vcc
	s_cbranch_execz .LBB127_658
; %bb.649:
	s_and_b64 vcc, exec, s[4:5]
	s_cbranch_vccnz .LBB127_651
; %bb.650:
	buffer_load_dword v132, v131, s[0:3], 0 offen
	ds_read_b32 v133, v130
	s_waitcnt vmcnt(0) lgkmcnt(0)
	v_mul_f32_e32 v132, v132, v133
	s_cbranch_execz .LBB127_652
	s_branch .LBB127_653
.LBB127_651:
                                        ; implicit-def: $vgpr132
.LBB127_652:
	ds_read_b32 v132, v130
.LBB127_653:
	v_cmp_ne_u32_e32 vcc, 3, v0
	s_and_saveexec_b64 s[8:9], vcc
	s_cbranch_execz .LBB127_657
; %bb.654:
	s_mov_b32 s10, 0
	v_add_u32_e32 v133, 0x104, v129
	v_add3_u32 v134, v129, s10, 4
	s_mov_b64 s[10:11], 0
	v_mov_b32_e32 v135, v0
.LBB127_655:                            ; =>This Inner Loop Header: Depth=1
	buffer_load_dword v136, v134, s[0:3], 0 offen
	ds_read_b32 v137, v133
	v_add_u32_e32 v135, 1, v135
	v_cmp_lt_u32_e32 vcc, 2, v135
	v_add_u32_e32 v133, 4, v133
	v_add_u32_e32 v134, 4, v134
	s_or_b64 s[10:11], vcc, s[10:11]
	s_waitcnt vmcnt(0) lgkmcnt(0)
	v_fmac_f32_e32 v132, v136, v137
	s_andn2_b64 exec, exec, s[10:11]
	s_cbranch_execnz .LBB127_655
; %bb.656:
	s_or_b64 exec, exec, s[10:11]
.LBB127_657:
	s_or_b64 exec, exec, s[8:9]
	v_mov_b32_e32 v133, 0
	ds_read_b32 v133, v133 offset:16
	s_waitcnt lgkmcnt(0)
	v_mul_f32_e32 v132, v132, v133
	buffer_store_dword v132, off, s[0:3], 0 offset:16
.LBB127_658:
	s_or_b64 exec, exec, s[6:7]
	buffer_load_dword v132, off, s[0:3], 0 offset:20
	v_cmp_gt_u32_e32 vcc, 5, v0
	s_waitcnt vmcnt(0)
	ds_write_b32 v130, v132
	s_waitcnt lgkmcnt(0)
	; wave barrier
	s_and_saveexec_b64 s[6:7], vcc
	s_cbranch_execz .LBB127_668
; %bb.659:
	s_and_b64 vcc, exec, s[4:5]
	s_cbranch_vccnz .LBB127_661
; %bb.660:
	buffer_load_dword v132, v131, s[0:3], 0 offen
	ds_read_b32 v133, v130
	s_waitcnt vmcnt(0) lgkmcnt(0)
	v_mul_f32_e32 v132, v132, v133
	s_cbranch_execz .LBB127_662
	s_branch .LBB127_663
.LBB127_661:
                                        ; implicit-def: $vgpr132
.LBB127_662:
	ds_read_b32 v132, v130
.LBB127_663:
	v_cmp_ne_u32_e32 vcc, 4, v0
	s_and_saveexec_b64 s[8:9], vcc
	s_cbranch_execz .LBB127_667
; %bb.664:
	s_mov_b32 s10, 0
	v_add_u32_e32 v133, 0x104, v129
	v_add3_u32 v134, v129, s10, 4
	s_mov_b64 s[10:11], 0
	v_mov_b32_e32 v135, v0
.LBB127_665:                            ; =>This Inner Loop Header: Depth=1
	buffer_load_dword v136, v134, s[0:3], 0 offen
	ds_read_b32 v137, v133
	v_add_u32_e32 v135, 1, v135
	v_cmp_lt_u32_e32 vcc, 3, v135
	v_add_u32_e32 v133, 4, v133
	v_add_u32_e32 v134, 4, v134
	s_or_b64 s[10:11], vcc, s[10:11]
	s_waitcnt vmcnt(0) lgkmcnt(0)
	v_fmac_f32_e32 v132, v136, v137
	s_andn2_b64 exec, exec, s[10:11]
	s_cbranch_execnz .LBB127_665
; %bb.666:
	s_or_b64 exec, exec, s[10:11]
.LBB127_667:
	s_or_b64 exec, exec, s[8:9]
	v_mov_b32_e32 v133, 0
	ds_read_b32 v133, v133 offset:20
	s_waitcnt lgkmcnt(0)
	v_mul_f32_e32 v132, v132, v133
	buffer_store_dword v132, off, s[0:3], 0 offset:20
.LBB127_668:
	;; [unrolled: 55-line block ×35, first 2 shown]
	s_or_b64 exec, exec, s[6:7]
	buffer_load_dword v132, off, s[0:3], 0 offset:156
	v_cmp_gt_u32_e32 vcc, 39, v0
	s_waitcnt vmcnt(0)
	ds_write_b32 v130, v132
	s_waitcnt lgkmcnt(0)
	; wave barrier
	s_and_saveexec_b64 s[6:7], vcc
	s_cbranch_execz .LBB127_1008
; %bb.999:
	s_and_b64 vcc, exec, s[4:5]
	s_cbranch_vccnz .LBB127_1001
; %bb.1000:
	buffer_load_dword v132, v131, s[0:3], 0 offen
	ds_read_b32 v133, v130
	s_waitcnt vmcnt(0) lgkmcnt(0)
	v_mul_f32_e32 v132, v132, v133
	s_cbranch_execz .LBB127_1002
	s_branch .LBB127_1003
.LBB127_1001:
                                        ; implicit-def: $vgpr132
.LBB127_1002:
	ds_read_b32 v132, v130
.LBB127_1003:
	v_cmp_ne_u32_e32 vcc, 38, v0
	s_and_saveexec_b64 s[8:9], vcc
	s_cbranch_execz .LBB127_1007
; %bb.1004:
	s_mov_b32 s10, 0
	v_add_u32_e32 v133, 0x104, v129
	v_add3_u32 v134, v129, s10, 4
	s_mov_b64 s[10:11], 0
	v_mov_b32_e32 v135, v0
.LBB127_1005:                           ; =>This Inner Loop Header: Depth=1
	buffer_load_dword v136, v134, s[0:3], 0 offen
	ds_read_b32 v137, v133
	v_add_u32_e32 v135, 1, v135
	v_cmp_lt_u32_e32 vcc, 37, v135
	v_add_u32_e32 v133, 4, v133
	v_add_u32_e32 v134, 4, v134
	s_or_b64 s[10:11], vcc, s[10:11]
	s_waitcnt vmcnt(0) lgkmcnt(0)
	v_fmac_f32_e32 v132, v136, v137
	s_andn2_b64 exec, exec, s[10:11]
	s_cbranch_execnz .LBB127_1005
; %bb.1006:
	s_or_b64 exec, exec, s[10:11]
.LBB127_1007:
	s_or_b64 exec, exec, s[8:9]
	v_mov_b32_e32 v133, 0
	ds_read_b32 v133, v133 offset:156
	s_waitcnt lgkmcnt(0)
	v_mul_f32_e32 v132, v132, v133
	buffer_store_dword v132, off, s[0:3], 0 offset:156
.LBB127_1008:
	s_or_b64 exec, exec, s[6:7]
	buffer_load_dword v132, off, s[0:3], 0 offset:160
	v_cmp_gt_u32_e32 vcc, 40, v0
	s_waitcnt vmcnt(0)
	ds_write_b32 v130, v132
	s_waitcnt lgkmcnt(0)
	; wave barrier
	s_and_saveexec_b64 s[6:7], vcc
	s_cbranch_execz .LBB127_1018
; %bb.1009:
	s_and_b64 vcc, exec, s[4:5]
	s_cbranch_vccnz .LBB127_1011
; %bb.1010:
	buffer_load_dword v132, v131, s[0:3], 0 offen
	ds_read_b32 v133, v130
	s_waitcnt vmcnt(0) lgkmcnt(0)
	v_mul_f32_e32 v132, v132, v133
	s_cbranch_execz .LBB127_1012
	s_branch .LBB127_1013
.LBB127_1011:
                                        ; implicit-def: $vgpr132
.LBB127_1012:
	ds_read_b32 v132, v130
.LBB127_1013:
	v_cmp_ne_u32_e32 vcc, 39, v0
	s_and_saveexec_b64 s[8:9], vcc
	s_cbranch_execz .LBB127_1017
; %bb.1014:
	s_mov_b32 s10, 0
	v_add_u32_e32 v133, 0x104, v129
	v_add3_u32 v134, v129, s10, 4
	s_mov_b64 s[10:11], 0
	v_mov_b32_e32 v135, v0
.LBB127_1015:                           ; =>This Inner Loop Header: Depth=1
	buffer_load_dword v136, v134, s[0:3], 0 offen
	ds_read_b32 v137, v133
	v_add_u32_e32 v135, 1, v135
	v_cmp_lt_u32_e32 vcc, 38, v135
	v_add_u32_e32 v133, 4, v133
	v_add_u32_e32 v134, 4, v134
	s_or_b64 s[10:11], vcc, s[10:11]
	s_waitcnt vmcnt(0) lgkmcnt(0)
	v_fmac_f32_e32 v132, v136, v137
	s_andn2_b64 exec, exec, s[10:11]
	s_cbranch_execnz .LBB127_1015
; %bb.1016:
	s_or_b64 exec, exec, s[10:11]
.LBB127_1017:
	s_or_b64 exec, exec, s[8:9]
	v_mov_b32_e32 v133, 0
	ds_read_b32 v133, v133 offset:160
	s_waitcnt lgkmcnt(0)
	v_mul_f32_e32 v132, v132, v133
	buffer_store_dword v132, off, s[0:3], 0 offset:160
.LBB127_1018:
	s_or_b64 exec, exec, s[6:7]
	buffer_load_dword v132, off, s[0:3], 0 offset:164
	v_cmp_gt_u32_e32 vcc, 41, v0
	s_waitcnt vmcnt(0)
	ds_write_b32 v130, v132
	s_waitcnt lgkmcnt(0)
	; wave barrier
	s_and_saveexec_b64 s[6:7], vcc
	s_cbranch_execz .LBB127_1028
; %bb.1019:
	s_and_b64 vcc, exec, s[4:5]
	s_cbranch_vccnz .LBB127_1021
; %bb.1020:
	buffer_load_dword v132, v131, s[0:3], 0 offen
	ds_read_b32 v133, v130
	s_waitcnt vmcnt(0) lgkmcnt(0)
	v_mul_f32_e32 v132, v132, v133
	s_cbranch_execz .LBB127_1022
	s_branch .LBB127_1023
.LBB127_1021:
                                        ; implicit-def: $vgpr132
.LBB127_1022:
	ds_read_b32 v132, v130
.LBB127_1023:
	v_cmp_ne_u32_e32 vcc, 40, v0
	s_and_saveexec_b64 s[8:9], vcc
	s_cbranch_execz .LBB127_1027
; %bb.1024:
	s_mov_b32 s10, 0
	v_add_u32_e32 v133, 0x104, v129
	v_add3_u32 v134, v129, s10, 4
	s_mov_b64 s[10:11], 0
	v_mov_b32_e32 v135, v0
.LBB127_1025:                           ; =>This Inner Loop Header: Depth=1
	buffer_load_dword v136, v134, s[0:3], 0 offen
	ds_read_b32 v137, v133
	v_add_u32_e32 v135, 1, v135
	v_cmp_lt_u32_e32 vcc, 39, v135
	v_add_u32_e32 v133, 4, v133
	v_add_u32_e32 v134, 4, v134
	s_or_b64 s[10:11], vcc, s[10:11]
	s_waitcnt vmcnt(0) lgkmcnt(0)
	v_fmac_f32_e32 v132, v136, v137
	s_andn2_b64 exec, exec, s[10:11]
	s_cbranch_execnz .LBB127_1025
; %bb.1026:
	s_or_b64 exec, exec, s[10:11]
.LBB127_1027:
	s_or_b64 exec, exec, s[8:9]
	v_mov_b32_e32 v133, 0
	ds_read_b32 v133, v133 offset:164
	s_waitcnt lgkmcnt(0)
	v_mul_f32_e32 v132, v132, v133
	buffer_store_dword v132, off, s[0:3], 0 offset:164
.LBB127_1028:
	s_or_b64 exec, exec, s[6:7]
	buffer_load_dword v132, off, s[0:3], 0 offset:168
	v_cmp_gt_u32_e32 vcc, 42, v0
	s_waitcnt vmcnt(0)
	ds_write_b32 v130, v132
	s_waitcnt lgkmcnt(0)
	; wave barrier
	s_and_saveexec_b64 s[6:7], vcc
	s_cbranch_execz .LBB127_1038
; %bb.1029:
	s_and_b64 vcc, exec, s[4:5]
	s_cbranch_vccnz .LBB127_1031
; %bb.1030:
	buffer_load_dword v132, v131, s[0:3], 0 offen
	ds_read_b32 v133, v130
	s_waitcnt vmcnt(0) lgkmcnt(0)
	v_mul_f32_e32 v132, v132, v133
	s_cbranch_execz .LBB127_1032
	s_branch .LBB127_1033
.LBB127_1031:
                                        ; implicit-def: $vgpr132
.LBB127_1032:
	ds_read_b32 v132, v130
.LBB127_1033:
	v_cmp_ne_u32_e32 vcc, 41, v0
	s_and_saveexec_b64 s[8:9], vcc
	s_cbranch_execz .LBB127_1037
; %bb.1034:
	s_mov_b32 s10, 0
	v_add_u32_e32 v133, 0x104, v129
	v_add3_u32 v134, v129, s10, 4
	s_mov_b64 s[10:11], 0
	v_mov_b32_e32 v135, v0
.LBB127_1035:                           ; =>This Inner Loop Header: Depth=1
	buffer_load_dword v136, v134, s[0:3], 0 offen
	ds_read_b32 v137, v133
	v_add_u32_e32 v135, 1, v135
	v_cmp_lt_u32_e32 vcc, 40, v135
	v_add_u32_e32 v133, 4, v133
	v_add_u32_e32 v134, 4, v134
	s_or_b64 s[10:11], vcc, s[10:11]
	s_waitcnt vmcnt(0) lgkmcnt(0)
	v_fmac_f32_e32 v132, v136, v137
	s_andn2_b64 exec, exec, s[10:11]
	s_cbranch_execnz .LBB127_1035
; %bb.1036:
	s_or_b64 exec, exec, s[10:11]
.LBB127_1037:
	s_or_b64 exec, exec, s[8:9]
	v_mov_b32_e32 v133, 0
	ds_read_b32 v133, v133 offset:168
	s_waitcnt lgkmcnt(0)
	v_mul_f32_e32 v132, v132, v133
	buffer_store_dword v132, off, s[0:3], 0 offset:168
.LBB127_1038:
	s_or_b64 exec, exec, s[6:7]
	buffer_load_dword v132, off, s[0:3], 0 offset:172
	v_cmp_gt_u32_e32 vcc, 43, v0
	s_waitcnt vmcnt(0)
	ds_write_b32 v130, v132
	s_waitcnt lgkmcnt(0)
	; wave barrier
	s_and_saveexec_b64 s[6:7], vcc
	s_cbranch_execz .LBB127_1048
; %bb.1039:
	s_and_b64 vcc, exec, s[4:5]
	s_cbranch_vccnz .LBB127_1041
; %bb.1040:
	buffer_load_dword v132, v131, s[0:3], 0 offen
	ds_read_b32 v133, v130
	s_waitcnt vmcnt(0) lgkmcnt(0)
	v_mul_f32_e32 v132, v132, v133
	s_cbranch_execz .LBB127_1042
	s_branch .LBB127_1043
.LBB127_1041:
                                        ; implicit-def: $vgpr132
.LBB127_1042:
	ds_read_b32 v132, v130
.LBB127_1043:
	v_cmp_ne_u32_e32 vcc, 42, v0
	s_and_saveexec_b64 s[8:9], vcc
	s_cbranch_execz .LBB127_1047
; %bb.1044:
	s_mov_b32 s10, 0
	v_add_u32_e32 v133, 0x104, v129
	v_add3_u32 v134, v129, s10, 4
	s_mov_b64 s[10:11], 0
	v_mov_b32_e32 v135, v0
.LBB127_1045:                           ; =>This Inner Loop Header: Depth=1
	buffer_load_dword v136, v134, s[0:3], 0 offen
	ds_read_b32 v137, v133
	v_add_u32_e32 v135, 1, v135
	v_cmp_lt_u32_e32 vcc, 41, v135
	v_add_u32_e32 v133, 4, v133
	v_add_u32_e32 v134, 4, v134
	s_or_b64 s[10:11], vcc, s[10:11]
	s_waitcnt vmcnt(0) lgkmcnt(0)
	v_fmac_f32_e32 v132, v136, v137
	s_andn2_b64 exec, exec, s[10:11]
	s_cbranch_execnz .LBB127_1045
; %bb.1046:
	s_or_b64 exec, exec, s[10:11]
.LBB127_1047:
	s_or_b64 exec, exec, s[8:9]
	v_mov_b32_e32 v133, 0
	ds_read_b32 v133, v133 offset:172
	s_waitcnt lgkmcnt(0)
	v_mul_f32_e32 v132, v132, v133
	buffer_store_dword v132, off, s[0:3], 0 offset:172
.LBB127_1048:
	s_or_b64 exec, exec, s[6:7]
	buffer_load_dword v132, off, s[0:3], 0 offset:176
	v_cmp_gt_u32_e32 vcc, 44, v0
	s_waitcnt vmcnt(0)
	ds_write_b32 v130, v132
	s_waitcnt lgkmcnt(0)
	; wave barrier
	s_and_saveexec_b64 s[6:7], vcc
	s_cbranch_execz .LBB127_1058
; %bb.1049:
	s_and_b64 vcc, exec, s[4:5]
	s_cbranch_vccnz .LBB127_1051
; %bb.1050:
	buffer_load_dword v132, v131, s[0:3], 0 offen
	ds_read_b32 v133, v130
	s_waitcnt vmcnt(0) lgkmcnt(0)
	v_mul_f32_e32 v132, v132, v133
	s_cbranch_execz .LBB127_1052
	s_branch .LBB127_1053
.LBB127_1051:
                                        ; implicit-def: $vgpr132
.LBB127_1052:
	ds_read_b32 v132, v130
.LBB127_1053:
	v_cmp_ne_u32_e32 vcc, 43, v0
	s_and_saveexec_b64 s[8:9], vcc
	s_cbranch_execz .LBB127_1057
; %bb.1054:
	s_mov_b32 s10, 0
	v_add_u32_e32 v133, 0x104, v129
	v_add3_u32 v134, v129, s10, 4
	s_mov_b64 s[10:11], 0
	v_mov_b32_e32 v135, v0
.LBB127_1055:                           ; =>This Inner Loop Header: Depth=1
	buffer_load_dword v136, v134, s[0:3], 0 offen
	ds_read_b32 v137, v133
	v_add_u32_e32 v135, 1, v135
	v_cmp_lt_u32_e32 vcc, 42, v135
	v_add_u32_e32 v133, 4, v133
	v_add_u32_e32 v134, 4, v134
	s_or_b64 s[10:11], vcc, s[10:11]
	s_waitcnt vmcnt(0) lgkmcnt(0)
	v_fmac_f32_e32 v132, v136, v137
	s_andn2_b64 exec, exec, s[10:11]
	s_cbranch_execnz .LBB127_1055
; %bb.1056:
	s_or_b64 exec, exec, s[10:11]
.LBB127_1057:
	s_or_b64 exec, exec, s[8:9]
	v_mov_b32_e32 v133, 0
	ds_read_b32 v133, v133 offset:176
	s_waitcnt lgkmcnt(0)
	v_mul_f32_e32 v132, v132, v133
	buffer_store_dword v132, off, s[0:3], 0 offset:176
.LBB127_1058:
	s_or_b64 exec, exec, s[6:7]
	buffer_load_dword v132, off, s[0:3], 0 offset:180
	v_cmp_gt_u32_e32 vcc, 45, v0
	s_waitcnt vmcnt(0)
	ds_write_b32 v130, v132
	s_waitcnt lgkmcnt(0)
	; wave barrier
	s_and_saveexec_b64 s[6:7], vcc
	s_cbranch_execz .LBB127_1068
; %bb.1059:
	s_and_b64 vcc, exec, s[4:5]
	s_cbranch_vccnz .LBB127_1061
; %bb.1060:
	buffer_load_dword v132, v131, s[0:3], 0 offen
	ds_read_b32 v133, v130
	s_waitcnt vmcnt(0) lgkmcnt(0)
	v_mul_f32_e32 v132, v132, v133
	s_cbranch_execz .LBB127_1062
	s_branch .LBB127_1063
.LBB127_1061:
                                        ; implicit-def: $vgpr132
.LBB127_1062:
	ds_read_b32 v132, v130
.LBB127_1063:
	v_cmp_ne_u32_e32 vcc, 44, v0
	s_and_saveexec_b64 s[8:9], vcc
	s_cbranch_execz .LBB127_1067
; %bb.1064:
	s_mov_b32 s10, 0
	v_add_u32_e32 v133, 0x104, v129
	v_add3_u32 v134, v129, s10, 4
	s_mov_b64 s[10:11], 0
	v_mov_b32_e32 v135, v0
.LBB127_1065:                           ; =>This Inner Loop Header: Depth=1
	buffer_load_dword v136, v134, s[0:3], 0 offen
	ds_read_b32 v137, v133
	v_add_u32_e32 v135, 1, v135
	v_cmp_lt_u32_e32 vcc, 43, v135
	v_add_u32_e32 v133, 4, v133
	v_add_u32_e32 v134, 4, v134
	s_or_b64 s[10:11], vcc, s[10:11]
	s_waitcnt vmcnt(0) lgkmcnt(0)
	v_fmac_f32_e32 v132, v136, v137
	s_andn2_b64 exec, exec, s[10:11]
	s_cbranch_execnz .LBB127_1065
; %bb.1066:
	s_or_b64 exec, exec, s[10:11]
.LBB127_1067:
	s_or_b64 exec, exec, s[8:9]
	v_mov_b32_e32 v133, 0
	ds_read_b32 v133, v133 offset:180
	s_waitcnt lgkmcnt(0)
	v_mul_f32_e32 v132, v132, v133
	buffer_store_dword v132, off, s[0:3], 0 offset:180
.LBB127_1068:
	s_or_b64 exec, exec, s[6:7]
	buffer_load_dword v132, off, s[0:3], 0 offset:184
	v_cmp_gt_u32_e32 vcc, 46, v0
	s_waitcnt vmcnt(0)
	ds_write_b32 v130, v132
	s_waitcnt lgkmcnt(0)
	; wave barrier
	s_and_saveexec_b64 s[6:7], vcc
	s_cbranch_execz .LBB127_1078
; %bb.1069:
	s_and_b64 vcc, exec, s[4:5]
	s_cbranch_vccnz .LBB127_1071
; %bb.1070:
	buffer_load_dword v132, v131, s[0:3], 0 offen
	ds_read_b32 v133, v130
	s_waitcnt vmcnt(0) lgkmcnt(0)
	v_mul_f32_e32 v132, v132, v133
	s_cbranch_execz .LBB127_1072
	s_branch .LBB127_1073
.LBB127_1071:
                                        ; implicit-def: $vgpr132
.LBB127_1072:
	ds_read_b32 v132, v130
.LBB127_1073:
	v_cmp_ne_u32_e32 vcc, 45, v0
	s_and_saveexec_b64 s[8:9], vcc
	s_cbranch_execz .LBB127_1077
; %bb.1074:
	s_mov_b32 s10, 0
	v_add_u32_e32 v133, 0x104, v129
	v_add3_u32 v134, v129, s10, 4
	s_mov_b64 s[10:11], 0
	v_mov_b32_e32 v135, v0
.LBB127_1075:                           ; =>This Inner Loop Header: Depth=1
	buffer_load_dword v136, v134, s[0:3], 0 offen
	ds_read_b32 v137, v133
	v_add_u32_e32 v135, 1, v135
	v_cmp_lt_u32_e32 vcc, 44, v135
	v_add_u32_e32 v133, 4, v133
	v_add_u32_e32 v134, 4, v134
	s_or_b64 s[10:11], vcc, s[10:11]
	s_waitcnt vmcnt(0) lgkmcnt(0)
	v_fmac_f32_e32 v132, v136, v137
	s_andn2_b64 exec, exec, s[10:11]
	s_cbranch_execnz .LBB127_1075
; %bb.1076:
	s_or_b64 exec, exec, s[10:11]
.LBB127_1077:
	s_or_b64 exec, exec, s[8:9]
	v_mov_b32_e32 v133, 0
	ds_read_b32 v133, v133 offset:184
	s_waitcnt lgkmcnt(0)
	v_mul_f32_e32 v132, v132, v133
	buffer_store_dword v132, off, s[0:3], 0 offset:184
.LBB127_1078:
	s_or_b64 exec, exec, s[6:7]
	buffer_load_dword v132, off, s[0:3], 0 offset:188
	v_cmp_gt_u32_e32 vcc, 47, v0
	s_waitcnt vmcnt(0)
	ds_write_b32 v130, v132
	s_waitcnt lgkmcnt(0)
	; wave barrier
	s_and_saveexec_b64 s[6:7], vcc
	s_cbranch_execz .LBB127_1088
; %bb.1079:
	s_and_b64 vcc, exec, s[4:5]
	s_cbranch_vccnz .LBB127_1081
; %bb.1080:
	buffer_load_dword v132, v131, s[0:3], 0 offen
	ds_read_b32 v133, v130
	s_waitcnt vmcnt(0) lgkmcnt(0)
	v_mul_f32_e32 v132, v132, v133
	s_cbranch_execz .LBB127_1082
	s_branch .LBB127_1083
.LBB127_1081:
                                        ; implicit-def: $vgpr132
.LBB127_1082:
	ds_read_b32 v132, v130
.LBB127_1083:
	v_cmp_ne_u32_e32 vcc, 46, v0
	s_and_saveexec_b64 s[8:9], vcc
	s_cbranch_execz .LBB127_1087
; %bb.1084:
	s_mov_b32 s10, 0
	v_add_u32_e32 v133, 0x104, v129
	v_add3_u32 v134, v129, s10, 4
	s_mov_b64 s[10:11], 0
	v_mov_b32_e32 v135, v0
.LBB127_1085:                           ; =>This Inner Loop Header: Depth=1
	buffer_load_dword v136, v134, s[0:3], 0 offen
	ds_read_b32 v137, v133
	v_add_u32_e32 v135, 1, v135
	v_cmp_lt_u32_e32 vcc, 45, v135
	v_add_u32_e32 v133, 4, v133
	v_add_u32_e32 v134, 4, v134
	s_or_b64 s[10:11], vcc, s[10:11]
	s_waitcnt vmcnt(0) lgkmcnt(0)
	v_fmac_f32_e32 v132, v136, v137
	s_andn2_b64 exec, exec, s[10:11]
	s_cbranch_execnz .LBB127_1085
; %bb.1086:
	s_or_b64 exec, exec, s[10:11]
.LBB127_1087:
	s_or_b64 exec, exec, s[8:9]
	v_mov_b32_e32 v133, 0
	ds_read_b32 v133, v133 offset:188
	s_waitcnt lgkmcnt(0)
	v_mul_f32_e32 v132, v132, v133
	buffer_store_dword v132, off, s[0:3], 0 offset:188
.LBB127_1088:
	s_or_b64 exec, exec, s[6:7]
	buffer_load_dword v132, off, s[0:3], 0 offset:192
	v_cmp_gt_u32_e32 vcc, 48, v0
	s_waitcnt vmcnt(0)
	ds_write_b32 v130, v132
	s_waitcnt lgkmcnt(0)
	; wave barrier
	s_and_saveexec_b64 s[6:7], vcc
	s_cbranch_execz .LBB127_1098
; %bb.1089:
	s_and_b64 vcc, exec, s[4:5]
	s_cbranch_vccnz .LBB127_1091
; %bb.1090:
	buffer_load_dword v132, v131, s[0:3], 0 offen
	ds_read_b32 v133, v130
	s_waitcnt vmcnt(0) lgkmcnt(0)
	v_mul_f32_e32 v132, v132, v133
	s_cbranch_execz .LBB127_1092
	s_branch .LBB127_1093
.LBB127_1091:
                                        ; implicit-def: $vgpr132
.LBB127_1092:
	ds_read_b32 v132, v130
.LBB127_1093:
	v_cmp_ne_u32_e32 vcc, 47, v0
	s_and_saveexec_b64 s[8:9], vcc
	s_cbranch_execz .LBB127_1097
; %bb.1094:
	s_mov_b32 s10, 0
	v_add_u32_e32 v133, 0x104, v129
	v_add3_u32 v134, v129, s10, 4
	s_mov_b64 s[10:11], 0
	v_mov_b32_e32 v135, v0
.LBB127_1095:                           ; =>This Inner Loop Header: Depth=1
	buffer_load_dword v136, v134, s[0:3], 0 offen
	ds_read_b32 v137, v133
	v_add_u32_e32 v135, 1, v135
	v_cmp_lt_u32_e32 vcc, 46, v135
	v_add_u32_e32 v133, 4, v133
	v_add_u32_e32 v134, 4, v134
	s_or_b64 s[10:11], vcc, s[10:11]
	s_waitcnt vmcnt(0) lgkmcnt(0)
	v_fmac_f32_e32 v132, v136, v137
	s_andn2_b64 exec, exec, s[10:11]
	s_cbranch_execnz .LBB127_1095
; %bb.1096:
	s_or_b64 exec, exec, s[10:11]
.LBB127_1097:
	s_or_b64 exec, exec, s[8:9]
	v_mov_b32_e32 v133, 0
	ds_read_b32 v133, v133 offset:192
	s_waitcnt lgkmcnt(0)
	v_mul_f32_e32 v132, v132, v133
	buffer_store_dword v132, off, s[0:3], 0 offset:192
.LBB127_1098:
	s_or_b64 exec, exec, s[6:7]
	buffer_load_dword v132, off, s[0:3], 0 offset:196
	v_cmp_gt_u32_e32 vcc, 49, v0
	s_waitcnt vmcnt(0)
	ds_write_b32 v130, v132
	s_waitcnt lgkmcnt(0)
	; wave barrier
	s_and_saveexec_b64 s[6:7], vcc
	s_cbranch_execz .LBB127_1108
; %bb.1099:
	s_and_b64 vcc, exec, s[4:5]
	s_cbranch_vccnz .LBB127_1101
; %bb.1100:
	buffer_load_dword v132, v131, s[0:3], 0 offen
	ds_read_b32 v133, v130
	s_waitcnt vmcnt(0) lgkmcnt(0)
	v_mul_f32_e32 v132, v132, v133
	s_cbranch_execz .LBB127_1102
	s_branch .LBB127_1103
.LBB127_1101:
                                        ; implicit-def: $vgpr132
.LBB127_1102:
	ds_read_b32 v132, v130
.LBB127_1103:
	v_cmp_ne_u32_e32 vcc, 48, v0
	s_and_saveexec_b64 s[8:9], vcc
	s_cbranch_execz .LBB127_1107
; %bb.1104:
	s_mov_b32 s10, 0
	v_add_u32_e32 v133, 0x104, v129
	v_add3_u32 v134, v129, s10, 4
	s_mov_b64 s[10:11], 0
	v_mov_b32_e32 v135, v0
.LBB127_1105:                           ; =>This Inner Loop Header: Depth=1
	buffer_load_dword v136, v134, s[0:3], 0 offen
	ds_read_b32 v137, v133
	v_add_u32_e32 v135, 1, v135
	v_cmp_lt_u32_e32 vcc, 47, v135
	v_add_u32_e32 v133, 4, v133
	v_add_u32_e32 v134, 4, v134
	s_or_b64 s[10:11], vcc, s[10:11]
	s_waitcnt vmcnt(0) lgkmcnt(0)
	v_fmac_f32_e32 v132, v136, v137
	s_andn2_b64 exec, exec, s[10:11]
	s_cbranch_execnz .LBB127_1105
; %bb.1106:
	s_or_b64 exec, exec, s[10:11]
.LBB127_1107:
	s_or_b64 exec, exec, s[8:9]
	v_mov_b32_e32 v133, 0
	ds_read_b32 v133, v133 offset:196
	s_waitcnt lgkmcnt(0)
	v_mul_f32_e32 v132, v132, v133
	buffer_store_dword v132, off, s[0:3], 0 offset:196
.LBB127_1108:
	s_or_b64 exec, exec, s[6:7]
	buffer_load_dword v132, off, s[0:3], 0 offset:200
	v_cmp_gt_u32_e32 vcc, 50, v0
	s_waitcnt vmcnt(0)
	ds_write_b32 v130, v132
	s_waitcnt lgkmcnt(0)
	; wave barrier
	s_and_saveexec_b64 s[6:7], vcc
	s_cbranch_execz .LBB127_1118
; %bb.1109:
	s_and_b64 vcc, exec, s[4:5]
	s_cbranch_vccnz .LBB127_1111
; %bb.1110:
	buffer_load_dword v132, v131, s[0:3], 0 offen
	ds_read_b32 v133, v130
	s_waitcnt vmcnt(0) lgkmcnt(0)
	v_mul_f32_e32 v132, v132, v133
	s_cbranch_execz .LBB127_1112
	s_branch .LBB127_1113
.LBB127_1111:
                                        ; implicit-def: $vgpr132
.LBB127_1112:
	ds_read_b32 v132, v130
.LBB127_1113:
	v_cmp_ne_u32_e32 vcc, 49, v0
	s_and_saveexec_b64 s[8:9], vcc
	s_cbranch_execz .LBB127_1117
; %bb.1114:
	s_mov_b32 s10, 0
	v_add_u32_e32 v133, 0x104, v129
	v_add3_u32 v134, v129, s10, 4
	s_mov_b64 s[10:11], 0
	v_mov_b32_e32 v135, v0
.LBB127_1115:                           ; =>This Inner Loop Header: Depth=1
	buffer_load_dword v136, v134, s[0:3], 0 offen
	ds_read_b32 v137, v133
	v_add_u32_e32 v135, 1, v135
	v_cmp_lt_u32_e32 vcc, 48, v135
	v_add_u32_e32 v133, 4, v133
	v_add_u32_e32 v134, 4, v134
	s_or_b64 s[10:11], vcc, s[10:11]
	s_waitcnt vmcnt(0) lgkmcnt(0)
	v_fmac_f32_e32 v132, v136, v137
	s_andn2_b64 exec, exec, s[10:11]
	s_cbranch_execnz .LBB127_1115
; %bb.1116:
	s_or_b64 exec, exec, s[10:11]
.LBB127_1117:
	s_or_b64 exec, exec, s[8:9]
	v_mov_b32_e32 v133, 0
	ds_read_b32 v133, v133 offset:200
	s_waitcnt lgkmcnt(0)
	v_mul_f32_e32 v132, v132, v133
	buffer_store_dword v132, off, s[0:3], 0 offset:200
.LBB127_1118:
	s_or_b64 exec, exec, s[6:7]
	buffer_load_dword v132, off, s[0:3], 0 offset:204
	v_cmp_gt_u32_e32 vcc, 51, v0
	s_waitcnt vmcnt(0)
	ds_write_b32 v130, v132
	s_waitcnt lgkmcnt(0)
	; wave barrier
	s_and_saveexec_b64 s[6:7], vcc
	s_cbranch_execz .LBB127_1128
; %bb.1119:
	s_and_b64 vcc, exec, s[4:5]
	s_cbranch_vccnz .LBB127_1121
; %bb.1120:
	buffer_load_dword v132, v131, s[0:3], 0 offen
	ds_read_b32 v133, v130
	s_waitcnt vmcnt(0) lgkmcnt(0)
	v_mul_f32_e32 v132, v132, v133
	s_cbranch_execz .LBB127_1122
	s_branch .LBB127_1123
.LBB127_1121:
                                        ; implicit-def: $vgpr132
.LBB127_1122:
	ds_read_b32 v132, v130
.LBB127_1123:
	v_cmp_ne_u32_e32 vcc, 50, v0
	s_and_saveexec_b64 s[8:9], vcc
	s_cbranch_execz .LBB127_1127
; %bb.1124:
	s_mov_b32 s10, 0
	v_add_u32_e32 v133, 0x104, v129
	v_add3_u32 v134, v129, s10, 4
	s_mov_b64 s[10:11], 0
	v_mov_b32_e32 v135, v0
.LBB127_1125:                           ; =>This Inner Loop Header: Depth=1
	buffer_load_dword v136, v134, s[0:3], 0 offen
	ds_read_b32 v137, v133
	v_add_u32_e32 v135, 1, v135
	v_cmp_lt_u32_e32 vcc, 49, v135
	v_add_u32_e32 v133, 4, v133
	v_add_u32_e32 v134, 4, v134
	s_or_b64 s[10:11], vcc, s[10:11]
	s_waitcnt vmcnt(0) lgkmcnt(0)
	v_fmac_f32_e32 v132, v136, v137
	s_andn2_b64 exec, exec, s[10:11]
	s_cbranch_execnz .LBB127_1125
; %bb.1126:
	s_or_b64 exec, exec, s[10:11]
.LBB127_1127:
	s_or_b64 exec, exec, s[8:9]
	v_mov_b32_e32 v133, 0
	ds_read_b32 v133, v133 offset:204
	s_waitcnt lgkmcnt(0)
	v_mul_f32_e32 v132, v132, v133
	buffer_store_dword v132, off, s[0:3], 0 offset:204
.LBB127_1128:
	s_or_b64 exec, exec, s[6:7]
	buffer_load_dword v132, off, s[0:3], 0 offset:208
	v_cmp_gt_u32_e32 vcc, 52, v0
	s_waitcnt vmcnt(0)
	ds_write_b32 v130, v132
	s_waitcnt lgkmcnt(0)
	; wave barrier
	s_and_saveexec_b64 s[6:7], vcc
	s_cbranch_execz .LBB127_1138
; %bb.1129:
	s_and_b64 vcc, exec, s[4:5]
	s_cbranch_vccnz .LBB127_1131
; %bb.1130:
	buffer_load_dword v132, v131, s[0:3], 0 offen
	ds_read_b32 v133, v130
	s_waitcnt vmcnt(0) lgkmcnt(0)
	v_mul_f32_e32 v132, v132, v133
	s_cbranch_execz .LBB127_1132
	s_branch .LBB127_1133
.LBB127_1131:
                                        ; implicit-def: $vgpr132
.LBB127_1132:
	ds_read_b32 v132, v130
.LBB127_1133:
	v_cmp_ne_u32_e32 vcc, 51, v0
	s_and_saveexec_b64 s[8:9], vcc
	s_cbranch_execz .LBB127_1137
; %bb.1134:
	s_mov_b32 s10, 0
	v_add_u32_e32 v133, 0x104, v129
	v_add3_u32 v134, v129, s10, 4
	s_mov_b64 s[10:11], 0
	v_mov_b32_e32 v135, v0
.LBB127_1135:                           ; =>This Inner Loop Header: Depth=1
	buffer_load_dword v136, v134, s[0:3], 0 offen
	ds_read_b32 v137, v133
	v_add_u32_e32 v135, 1, v135
	v_cmp_lt_u32_e32 vcc, 50, v135
	v_add_u32_e32 v133, 4, v133
	v_add_u32_e32 v134, 4, v134
	s_or_b64 s[10:11], vcc, s[10:11]
	s_waitcnt vmcnt(0) lgkmcnt(0)
	v_fmac_f32_e32 v132, v136, v137
	s_andn2_b64 exec, exec, s[10:11]
	s_cbranch_execnz .LBB127_1135
; %bb.1136:
	s_or_b64 exec, exec, s[10:11]
.LBB127_1137:
	s_or_b64 exec, exec, s[8:9]
	v_mov_b32_e32 v133, 0
	ds_read_b32 v133, v133 offset:208
	s_waitcnt lgkmcnt(0)
	v_mul_f32_e32 v132, v132, v133
	buffer_store_dword v132, off, s[0:3], 0 offset:208
.LBB127_1138:
	s_or_b64 exec, exec, s[6:7]
	buffer_load_dword v132, off, s[0:3], 0 offset:212
	v_cmp_gt_u32_e32 vcc, 53, v0
	s_waitcnt vmcnt(0)
	ds_write_b32 v130, v132
	s_waitcnt lgkmcnt(0)
	; wave barrier
	s_and_saveexec_b64 s[6:7], vcc
	s_cbranch_execz .LBB127_1148
; %bb.1139:
	s_and_b64 vcc, exec, s[4:5]
	s_cbranch_vccnz .LBB127_1141
; %bb.1140:
	buffer_load_dword v132, v131, s[0:3], 0 offen
	ds_read_b32 v133, v130
	s_waitcnt vmcnt(0) lgkmcnt(0)
	v_mul_f32_e32 v132, v132, v133
	s_cbranch_execz .LBB127_1142
	s_branch .LBB127_1143
.LBB127_1141:
                                        ; implicit-def: $vgpr132
.LBB127_1142:
	ds_read_b32 v132, v130
.LBB127_1143:
	v_cmp_ne_u32_e32 vcc, 52, v0
	s_and_saveexec_b64 s[8:9], vcc
	s_cbranch_execz .LBB127_1147
; %bb.1144:
	s_mov_b32 s10, 0
	v_add_u32_e32 v133, 0x104, v129
	v_add3_u32 v134, v129, s10, 4
	s_mov_b64 s[10:11], 0
	v_mov_b32_e32 v135, v0
.LBB127_1145:                           ; =>This Inner Loop Header: Depth=1
	buffer_load_dword v136, v134, s[0:3], 0 offen
	ds_read_b32 v137, v133
	v_add_u32_e32 v135, 1, v135
	v_cmp_lt_u32_e32 vcc, 51, v135
	v_add_u32_e32 v133, 4, v133
	v_add_u32_e32 v134, 4, v134
	s_or_b64 s[10:11], vcc, s[10:11]
	s_waitcnt vmcnt(0) lgkmcnt(0)
	v_fmac_f32_e32 v132, v136, v137
	s_andn2_b64 exec, exec, s[10:11]
	s_cbranch_execnz .LBB127_1145
; %bb.1146:
	s_or_b64 exec, exec, s[10:11]
.LBB127_1147:
	s_or_b64 exec, exec, s[8:9]
	v_mov_b32_e32 v133, 0
	ds_read_b32 v133, v133 offset:212
	s_waitcnt lgkmcnt(0)
	v_mul_f32_e32 v132, v132, v133
	buffer_store_dword v132, off, s[0:3], 0 offset:212
.LBB127_1148:
	s_or_b64 exec, exec, s[6:7]
	buffer_load_dword v132, off, s[0:3], 0 offset:216
	v_cmp_gt_u32_e32 vcc, 54, v0
	s_waitcnt vmcnt(0)
	ds_write_b32 v130, v132
	s_waitcnt lgkmcnt(0)
	; wave barrier
	s_and_saveexec_b64 s[6:7], vcc
	s_cbranch_execz .LBB127_1158
; %bb.1149:
	s_and_b64 vcc, exec, s[4:5]
	s_cbranch_vccnz .LBB127_1151
; %bb.1150:
	buffer_load_dword v132, v131, s[0:3], 0 offen
	ds_read_b32 v133, v130
	s_waitcnt vmcnt(0) lgkmcnt(0)
	v_mul_f32_e32 v132, v132, v133
	s_cbranch_execz .LBB127_1152
	s_branch .LBB127_1153
.LBB127_1151:
                                        ; implicit-def: $vgpr132
.LBB127_1152:
	ds_read_b32 v132, v130
.LBB127_1153:
	v_cmp_ne_u32_e32 vcc, 53, v0
	s_and_saveexec_b64 s[8:9], vcc
	s_cbranch_execz .LBB127_1157
; %bb.1154:
	s_mov_b32 s10, 0
	v_add_u32_e32 v133, 0x104, v129
	v_add3_u32 v134, v129, s10, 4
	s_mov_b64 s[10:11], 0
	v_mov_b32_e32 v135, v0
.LBB127_1155:                           ; =>This Inner Loop Header: Depth=1
	buffer_load_dword v136, v134, s[0:3], 0 offen
	ds_read_b32 v137, v133
	v_add_u32_e32 v135, 1, v135
	v_cmp_lt_u32_e32 vcc, 52, v135
	v_add_u32_e32 v133, 4, v133
	v_add_u32_e32 v134, 4, v134
	s_or_b64 s[10:11], vcc, s[10:11]
	s_waitcnt vmcnt(0) lgkmcnt(0)
	v_fmac_f32_e32 v132, v136, v137
	s_andn2_b64 exec, exec, s[10:11]
	s_cbranch_execnz .LBB127_1155
; %bb.1156:
	s_or_b64 exec, exec, s[10:11]
.LBB127_1157:
	s_or_b64 exec, exec, s[8:9]
	v_mov_b32_e32 v133, 0
	ds_read_b32 v133, v133 offset:216
	s_waitcnt lgkmcnt(0)
	v_mul_f32_e32 v132, v132, v133
	buffer_store_dword v132, off, s[0:3], 0 offset:216
.LBB127_1158:
	s_or_b64 exec, exec, s[6:7]
	buffer_load_dword v132, off, s[0:3], 0 offset:220
	v_cmp_gt_u32_e32 vcc, 55, v0
	s_waitcnt vmcnt(0)
	ds_write_b32 v130, v132
	s_waitcnt lgkmcnt(0)
	; wave barrier
	s_and_saveexec_b64 s[6:7], vcc
	s_cbranch_execz .LBB127_1168
; %bb.1159:
	s_and_b64 vcc, exec, s[4:5]
	s_cbranch_vccnz .LBB127_1161
; %bb.1160:
	buffer_load_dword v132, v131, s[0:3], 0 offen
	ds_read_b32 v133, v130
	s_waitcnt vmcnt(0) lgkmcnt(0)
	v_mul_f32_e32 v132, v132, v133
	s_cbranch_execz .LBB127_1162
	s_branch .LBB127_1163
.LBB127_1161:
                                        ; implicit-def: $vgpr132
.LBB127_1162:
	ds_read_b32 v132, v130
.LBB127_1163:
	v_cmp_ne_u32_e32 vcc, 54, v0
	s_and_saveexec_b64 s[8:9], vcc
	s_cbranch_execz .LBB127_1167
; %bb.1164:
	s_mov_b32 s10, 0
	v_add_u32_e32 v133, 0x104, v129
	v_add3_u32 v134, v129, s10, 4
	s_mov_b64 s[10:11], 0
	v_mov_b32_e32 v135, v0
.LBB127_1165:                           ; =>This Inner Loop Header: Depth=1
	buffer_load_dword v136, v134, s[0:3], 0 offen
	ds_read_b32 v137, v133
	v_add_u32_e32 v135, 1, v135
	v_cmp_lt_u32_e32 vcc, 53, v135
	v_add_u32_e32 v133, 4, v133
	v_add_u32_e32 v134, 4, v134
	s_or_b64 s[10:11], vcc, s[10:11]
	s_waitcnt vmcnt(0) lgkmcnt(0)
	v_fmac_f32_e32 v132, v136, v137
	s_andn2_b64 exec, exec, s[10:11]
	s_cbranch_execnz .LBB127_1165
; %bb.1166:
	s_or_b64 exec, exec, s[10:11]
.LBB127_1167:
	s_or_b64 exec, exec, s[8:9]
	v_mov_b32_e32 v133, 0
	ds_read_b32 v133, v133 offset:220
	s_waitcnt lgkmcnt(0)
	v_mul_f32_e32 v132, v132, v133
	buffer_store_dword v132, off, s[0:3], 0 offset:220
.LBB127_1168:
	s_or_b64 exec, exec, s[6:7]
	buffer_load_dword v132, off, s[0:3], 0 offset:224
	v_cmp_gt_u32_e32 vcc, 56, v0
	s_waitcnt vmcnt(0)
	ds_write_b32 v130, v132
	s_waitcnt lgkmcnt(0)
	; wave barrier
	s_and_saveexec_b64 s[6:7], vcc
	s_cbranch_execz .LBB127_1178
; %bb.1169:
	s_and_b64 vcc, exec, s[4:5]
	s_cbranch_vccnz .LBB127_1171
; %bb.1170:
	buffer_load_dword v132, v131, s[0:3], 0 offen
	ds_read_b32 v133, v130
	s_waitcnt vmcnt(0) lgkmcnt(0)
	v_mul_f32_e32 v132, v132, v133
	s_cbranch_execz .LBB127_1172
	s_branch .LBB127_1173
.LBB127_1171:
                                        ; implicit-def: $vgpr132
.LBB127_1172:
	ds_read_b32 v132, v130
.LBB127_1173:
	v_cmp_ne_u32_e32 vcc, 55, v0
	s_and_saveexec_b64 s[8:9], vcc
	s_cbranch_execz .LBB127_1177
; %bb.1174:
	s_mov_b32 s10, 0
	v_add_u32_e32 v133, 0x104, v129
	v_add3_u32 v134, v129, s10, 4
	s_mov_b64 s[10:11], 0
	v_mov_b32_e32 v135, v0
.LBB127_1175:                           ; =>This Inner Loop Header: Depth=1
	buffer_load_dword v136, v134, s[0:3], 0 offen
	ds_read_b32 v137, v133
	v_add_u32_e32 v135, 1, v135
	v_cmp_lt_u32_e32 vcc, 54, v135
	v_add_u32_e32 v133, 4, v133
	v_add_u32_e32 v134, 4, v134
	s_or_b64 s[10:11], vcc, s[10:11]
	s_waitcnt vmcnt(0) lgkmcnt(0)
	v_fmac_f32_e32 v132, v136, v137
	s_andn2_b64 exec, exec, s[10:11]
	s_cbranch_execnz .LBB127_1175
; %bb.1176:
	s_or_b64 exec, exec, s[10:11]
.LBB127_1177:
	s_or_b64 exec, exec, s[8:9]
	v_mov_b32_e32 v133, 0
	ds_read_b32 v133, v133 offset:224
	s_waitcnt lgkmcnt(0)
	v_mul_f32_e32 v132, v132, v133
	buffer_store_dword v132, off, s[0:3], 0 offset:224
.LBB127_1178:
	s_or_b64 exec, exec, s[6:7]
	buffer_load_dword v132, off, s[0:3], 0 offset:228
	v_cmp_gt_u32_e32 vcc, 57, v0
	s_waitcnt vmcnt(0)
	ds_write_b32 v130, v132
	s_waitcnt lgkmcnt(0)
	; wave barrier
	s_and_saveexec_b64 s[6:7], vcc
	s_cbranch_execz .LBB127_1188
; %bb.1179:
	s_and_b64 vcc, exec, s[4:5]
	s_cbranch_vccnz .LBB127_1181
; %bb.1180:
	buffer_load_dword v132, v131, s[0:3], 0 offen
	ds_read_b32 v133, v130
	s_waitcnt vmcnt(0) lgkmcnt(0)
	v_mul_f32_e32 v132, v132, v133
	s_cbranch_execz .LBB127_1182
	s_branch .LBB127_1183
.LBB127_1181:
                                        ; implicit-def: $vgpr132
.LBB127_1182:
	ds_read_b32 v132, v130
.LBB127_1183:
	v_cmp_ne_u32_e32 vcc, 56, v0
	s_and_saveexec_b64 s[8:9], vcc
	s_cbranch_execz .LBB127_1187
; %bb.1184:
	s_mov_b32 s10, 0
	v_add_u32_e32 v133, 0x104, v129
	v_add3_u32 v134, v129, s10, 4
	s_mov_b64 s[10:11], 0
	v_mov_b32_e32 v135, v0
.LBB127_1185:                           ; =>This Inner Loop Header: Depth=1
	buffer_load_dword v136, v134, s[0:3], 0 offen
	ds_read_b32 v137, v133
	v_add_u32_e32 v135, 1, v135
	v_cmp_lt_u32_e32 vcc, 55, v135
	v_add_u32_e32 v133, 4, v133
	v_add_u32_e32 v134, 4, v134
	s_or_b64 s[10:11], vcc, s[10:11]
	s_waitcnt vmcnt(0) lgkmcnt(0)
	v_fmac_f32_e32 v132, v136, v137
	s_andn2_b64 exec, exec, s[10:11]
	s_cbranch_execnz .LBB127_1185
; %bb.1186:
	s_or_b64 exec, exec, s[10:11]
.LBB127_1187:
	s_or_b64 exec, exec, s[8:9]
	v_mov_b32_e32 v133, 0
	ds_read_b32 v133, v133 offset:228
	s_waitcnt lgkmcnt(0)
	v_mul_f32_e32 v132, v132, v133
	buffer_store_dword v132, off, s[0:3], 0 offset:228
.LBB127_1188:
	s_or_b64 exec, exec, s[6:7]
	buffer_load_dword v132, off, s[0:3], 0 offset:232
	v_cmp_gt_u32_e32 vcc, 58, v0
	s_waitcnt vmcnt(0)
	ds_write_b32 v130, v132
	s_waitcnt lgkmcnt(0)
	; wave barrier
	s_and_saveexec_b64 s[6:7], vcc
	s_cbranch_execz .LBB127_1198
; %bb.1189:
	s_and_b64 vcc, exec, s[4:5]
	s_cbranch_vccnz .LBB127_1191
; %bb.1190:
	buffer_load_dword v132, v131, s[0:3], 0 offen
	ds_read_b32 v133, v130
	s_waitcnt vmcnt(0) lgkmcnt(0)
	v_mul_f32_e32 v132, v132, v133
	s_cbranch_execz .LBB127_1192
	s_branch .LBB127_1193
.LBB127_1191:
                                        ; implicit-def: $vgpr132
.LBB127_1192:
	ds_read_b32 v132, v130
.LBB127_1193:
	v_cmp_ne_u32_e32 vcc, 57, v0
	s_and_saveexec_b64 s[8:9], vcc
	s_cbranch_execz .LBB127_1197
; %bb.1194:
	s_mov_b32 s10, 0
	v_add_u32_e32 v133, 0x104, v129
	v_add3_u32 v134, v129, s10, 4
	s_mov_b64 s[10:11], 0
	v_mov_b32_e32 v135, v0
.LBB127_1195:                           ; =>This Inner Loop Header: Depth=1
	buffer_load_dword v136, v134, s[0:3], 0 offen
	ds_read_b32 v137, v133
	v_add_u32_e32 v135, 1, v135
	v_cmp_lt_u32_e32 vcc, 56, v135
	v_add_u32_e32 v133, 4, v133
	v_add_u32_e32 v134, 4, v134
	s_or_b64 s[10:11], vcc, s[10:11]
	s_waitcnt vmcnt(0) lgkmcnt(0)
	v_fmac_f32_e32 v132, v136, v137
	s_andn2_b64 exec, exec, s[10:11]
	s_cbranch_execnz .LBB127_1195
; %bb.1196:
	s_or_b64 exec, exec, s[10:11]
.LBB127_1197:
	s_or_b64 exec, exec, s[8:9]
	v_mov_b32_e32 v133, 0
	ds_read_b32 v133, v133 offset:232
	s_waitcnt lgkmcnt(0)
	v_mul_f32_e32 v132, v132, v133
	buffer_store_dword v132, off, s[0:3], 0 offset:232
.LBB127_1198:
	s_or_b64 exec, exec, s[6:7]
	buffer_load_dword v132, off, s[0:3], 0 offset:236
	v_cmp_gt_u32_e32 vcc, 59, v0
	s_waitcnt vmcnt(0)
	ds_write_b32 v130, v132
	s_waitcnt lgkmcnt(0)
	; wave barrier
	s_and_saveexec_b64 s[6:7], vcc
	s_cbranch_execz .LBB127_1208
; %bb.1199:
	s_and_b64 vcc, exec, s[4:5]
	s_cbranch_vccnz .LBB127_1201
; %bb.1200:
	buffer_load_dword v132, v131, s[0:3], 0 offen
	ds_read_b32 v133, v130
	s_waitcnt vmcnt(0) lgkmcnt(0)
	v_mul_f32_e32 v132, v132, v133
	s_cbranch_execz .LBB127_1202
	s_branch .LBB127_1203
.LBB127_1201:
                                        ; implicit-def: $vgpr132
.LBB127_1202:
	ds_read_b32 v132, v130
.LBB127_1203:
	v_cmp_ne_u32_e32 vcc, 58, v0
	s_and_saveexec_b64 s[8:9], vcc
	s_cbranch_execz .LBB127_1207
; %bb.1204:
	s_mov_b32 s10, 0
	v_add_u32_e32 v133, 0x104, v129
	v_add3_u32 v134, v129, s10, 4
	s_mov_b64 s[10:11], 0
	v_mov_b32_e32 v135, v0
.LBB127_1205:                           ; =>This Inner Loop Header: Depth=1
	buffer_load_dword v136, v134, s[0:3], 0 offen
	ds_read_b32 v137, v133
	v_add_u32_e32 v135, 1, v135
	v_cmp_lt_u32_e32 vcc, 57, v135
	v_add_u32_e32 v133, 4, v133
	v_add_u32_e32 v134, 4, v134
	s_or_b64 s[10:11], vcc, s[10:11]
	s_waitcnt vmcnt(0) lgkmcnt(0)
	v_fmac_f32_e32 v132, v136, v137
	s_andn2_b64 exec, exec, s[10:11]
	s_cbranch_execnz .LBB127_1205
; %bb.1206:
	s_or_b64 exec, exec, s[10:11]
.LBB127_1207:
	s_or_b64 exec, exec, s[8:9]
	v_mov_b32_e32 v133, 0
	ds_read_b32 v133, v133 offset:236
	s_waitcnt lgkmcnt(0)
	v_mul_f32_e32 v132, v132, v133
	buffer_store_dword v132, off, s[0:3], 0 offset:236
.LBB127_1208:
	s_or_b64 exec, exec, s[6:7]
	buffer_load_dword v132, off, s[0:3], 0 offset:240
	v_cmp_gt_u32_e32 vcc, 60, v0
	s_waitcnt vmcnt(0)
	ds_write_b32 v130, v132
	s_waitcnt lgkmcnt(0)
	; wave barrier
	s_and_saveexec_b64 s[6:7], vcc
	s_cbranch_execz .LBB127_1218
; %bb.1209:
	s_and_b64 vcc, exec, s[4:5]
	s_cbranch_vccnz .LBB127_1211
; %bb.1210:
	buffer_load_dword v132, v131, s[0:3], 0 offen
	ds_read_b32 v133, v130
	s_waitcnt vmcnt(0) lgkmcnt(0)
	v_mul_f32_e32 v132, v132, v133
	s_cbranch_execz .LBB127_1212
	s_branch .LBB127_1213
.LBB127_1211:
                                        ; implicit-def: $vgpr132
.LBB127_1212:
	ds_read_b32 v132, v130
.LBB127_1213:
	v_cmp_ne_u32_e32 vcc, 59, v0
	s_and_saveexec_b64 s[8:9], vcc
	s_cbranch_execz .LBB127_1217
; %bb.1214:
	s_mov_b32 s10, 0
	v_add_u32_e32 v133, 0x104, v129
	v_add3_u32 v134, v129, s10, 4
	s_mov_b64 s[10:11], 0
	v_mov_b32_e32 v135, v0
.LBB127_1215:                           ; =>This Inner Loop Header: Depth=1
	buffer_load_dword v136, v134, s[0:3], 0 offen
	ds_read_b32 v137, v133
	v_add_u32_e32 v135, 1, v135
	v_cmp_lt_u32_e32 vcc, 58, v135
	v_add_u32_e32 v133, 4, v133
	v_add_u32_e32 v134, 4, v134
	s_or_b64 s[10:11], vcc, s[10:11]
	s_waitcnt vmcnt(0) lgkmcnt(0)
	v_fmac_f32_e32 v132, v136, v137
	s_andn2_b64 exec, exec, s[10:11]
	s_cbranch_execnz .LBB127_1215
; %bb.1216:
	s_or_b64 exec, exec, s[10:11]
.LBB127_1217:
	s_or_b64 exec, exec, s[8:9]
	v_mov_b32_e32 v133, 0
	ds_read_b32 v133, v133 offset:240
	s_waitcnt lgkmcnt(0)
	v_mul_f32_e32 v132, v132, v133
	buffer_store_dword v132, off, s[0:3], 0 offset:240
.LBB127_1218:
	s_or_b64 exec, exec, s[6:7]
	buffer_load_dword v132, off, s[0:3], 0 offset:244
	v_cmp_gt_u32_e32 vcc, 61, v0
	s_waitcnt vmcnt(0)
	ds_write_b32 v130, v132
	s_waitcnt lgkmcnt(0)
	; wave barrier
	s_and_saveexec_b64 s[6:7], vcc
	s_cbranch_execz .LBB127_1228
; %bb.1219:
	s_and_b64 vcc, exec, s[4:5]
	s_cbranch_vccnz .LBB127_1221
; %bb.1220:
	buffer_load_dword v132, v131, s[0:3], 0 offen
	ds_read_b32 v133, v130
	s_waitcnt vmcnt(0) lgkmcnt(0)
	v_mul_f32_e32 v132, v132, v133
	s_cbranch_execz .LBB127_1222
	s_branch .LBB127_1223
.LBB127_1221:
                                        ; implicit-def: $vgpr132
.LBB127_1222:
	ds_read_b32 v132, v130
.LBB127_1223:
	v_cmp_ne_u32_e32 vcc, 60, v0
	s_and_saveexec_b64 s[8:9], vcc
	s_cbranch_execz .LBB127_1227
; %bb.1224:
	s_mov_b32 s10, 0
	v_add_u32_e32 v133, 0x104, v129
	v_add3_u32 v134, v129, s10, 4
	s_mov_b64 s[10:11], 0
	v_mov_b32_e32 v135, v0
.LBB127_1225:                           ; =>This Inner Loop Header: Depth=1
	buffer_load_dword v136, v134, s[0:3], 0 offen
	ds_read_b32 v137, v133
	v_add_u32_e32 v135, 1, v135
	v_cmp_lt_u32_e32 vcc, 59, v135
	v_add_u32_e32 v133, 4, v133
	v_add_u32_e32 v134, 4, v134
	s_or_b64 s[10:11], vcc, s[10:11]
	s_waitcnt vmcnt(0) lgkmcnt(0)
	v_fmac_f32_e32 v132, v136, v137
	s_andn2_b64 exec, exec, s[10:11]
	s_cbranch_execnz .LBB127_1225
; %bb.1226:
	s_or_b64 exec, exec, s[10:11]
.LBB127_1227:
	s_or_b64 exec, exec, s[8:9]
	v_mov_b32_e32 v133, 0
	ds_read_b32 v133, v133 offset:244
	s_waitcnt lgkmcnt(0)
	v_mul_f32_e32 v132, v132, v133
	buffer_store_dword v132, off, s[0:3], 0 offset:244
.LBB127_1228:
	s_or_b64 exec, exec, s[6:7]
	buffer_load_dword v132, off, s[0:3], 0 offset:248
	v_cmp_gt_u32_e64 s[6:7], 62, v0
	s_waitcnt vmcnt(0)
	ds_write_b32 v130, v132
	s_waitcnt lgkmcnt(0)
	; wave barrier
	s_and_saveexec_b64 s[8:9], s[6:7]
	s_cbranch_execz .LBB127_1238
; %bb.1229:
	s_and_b64 vcc, exec, s[4:5]
	s_cbranch_vccnz .LBB127_1231
; %bb.1230:
	buffer_load_dword v132, v131, s[0:3], 0 offen
	ds_read_b32 v133, v130
	s_waitcnt vmcnt(0) lgkmcnt(0)
	v_mul_f32_e32 v132, v132, v133
	s_cbranch_execz .LBB127_1232
	s_branch .LBB127_1233
.LBB127_1231:
                                        ; implicit-def: $vgpr132
.LBB127_1232:
	ds_read_b32 v132, v130
.LBB127_1233:
	v_cmp_ne_u32_e32 vcc, 61, v0
	s_and_saveexec_b64 s[10:11], vcc
	s_cbranch_execz .LBB127_1237
; %bb.1234:
	s_mov_b32 s12, 0
	v_add_u32_e32 v133, 0x104, v129
	v_add3_u32 v134, v129, s12, 4
	s_mov_b64 s[12:13], 0
	v_mov_b32_e32 v135, v0
.LBB127_1235:                           ; =>This Inner Loop Header: Depth=1
	buffer_load_dword v136, v134, s[0:3], 0 offen
	ds_read_b32 v137, v133
	v_add_u32_e32 v135, 1, v135
	v_cmp_lt_u32_e32 vcc, 60, v135
	v_add_u32_e32 v133, 4, v133
	v_add_u32_e32 v134, 4, v134
	s_or_b64 s[12:13], vcc, s[12:13]
	s_waitcnt vmcnt(0) lgkmcnt(0)
	v_fmac_f32_e32 v132, v136, v137
	s_andn2_b64 exec, exec, s[12:13]
	s_cbranch_execnz .LBB127_1235
; %bb.1236:
	s_or_b64 exec, exec, s[12:13]
.LBB127_1237:
	s_or_b64 exec, exec, s[10:11]
	v_mov_b32_e32 v133, 0
	ds_read_b32 v133, v133 offset:248
	s_waitcnt lgkmcnt(0)
	v_mul_f32_e32 v132, v132, v133
	buffer_store_dword v132, off, s[0:3], 0 offset:248
.LBB127_1238:
	s_or_b64 exec, exec, s[8:9]
	buffer_load_dword v132, off, s[0:3], 0 offset:252
	v_cmp_ne_u32_e32 vcc, 63, v0
	s_waitcnt vmcnt(0)
	ds_write_b32 v130, v132
	s_waitcnt lgkmcnt(0)
	; wave barrier
	s_and_saveexec_b64 s[8:9], vcc
	s_cbranch_execz .LBB127_1248
; %bb.1239:
	s_and_b64 vcc, exec, s[4:5]
	s_cbranch_vccnz .LBB127_1241
; %bb.1240:
	buffer_load_dword v131, v131, s[0:3], 0 offen
	ds_read_b32 v132, v130
	s_waitcnt vmcnt(0) lgkmcnt(0)
	v_mul_f32_e32 v131, v131, v132
	s_cbranch_execz .LBB127_1242
	s_branch .LBB127_1243
.LBB127_1241:
                                        ; implicit-def: $vgpr131
.LBB127_1242:
	ds_read_b32 v131, v130
.LBB127_1243:
	s_and_saveexec_b64 s[4:5], s[6:7]
	s_cbranch_execz .LBB127_1247
; %bb.1244:
	s_mov_b32 s6, 0
	v_add_u32_e32 v130, 0x104, v129
	v_add3_u32 v129, v129, s6, 4
	s_mov_b64 s[6:7], 0
.LBB127_1245:                           ; =>This Inner Loop Header: Depth=1
	buffer_load_dword v132, v129, s[0:3], 0 offen
	ds_read_b32 v133, v130
	v_add_u32_e32 v0, 1, v0
	v_cmp_lt_u32_e32 vcc, 61, v0
	v_add_u32_e32 v130, 4, v130
	v_add_u32_e32 v129, 4, v129
	s_or_b64 s[6:7], vcc, s[6:7]
	s_waitcnt vmcnt(0) lgkmcnt(0)
	v_fmac_f32_e32 v131, v132, v133
	s_andn2_b64 exec, exec, s[6:7]
	s_cbranch_execnz .LBB127_1245
; %bb.1246:
	s_or_b64 exec, exec, s[6:7]
.LBB127_1247:
	s_or_b64 exec, exec, s[4:5]
	v_mov_b32_e32 v0, 0
	ds_read_b32 v0, v0 offset:252
	s_waitcnt lgkmcnt(0)
	v_mul_f32_e32 v0, v131, v0
	buffer_store_dword v0, off, s[0:3], 0 offset:252
.LBB127_1248:
	s_or_b64 exec, exec, s[8:9]
.LBB127_1249:
	buffer_load_dword v0, off, s[0:3], 0
	s_waitcnt vmcnt(0)
	flat_store_dword v[1:2], v0
	buffer_load_dword v0, off, s[0:3], 0 offset:4
	s_waitcnt vmcnt(0)
	flat_store_dword v[3:4], v0
	buffer_load_dword v0, off, s[0:3], 0 offset:8
	s_waitcnt vmcnt(0)
	flat_store_dword v[5:6], v0
	buffer_load_dword v0, off, s[0:3], 0 offset:12
	s_waitcnt vmcnt(0)
	flat_store_dword v[7:8], v0
	buffer_load_dword v0, off, s[0:3], 0 offset:16
	s_waitcnt vmcnt(0)
	flat_store_dword v[9:10], v0
	buffer_load_dword v0, off, s[0:3], 0 offset:20
	s_waitcnt vmcnt(0)
	flat_store_dword v[11:12], v0
	buffer_load_dword v0, off, s[0:3], 0 offset:24
	s_waitcnt vmcnt(0)
	flat_store_dword v[13:14], v0
	buffer_load_dword v0, off, s[0:3], 0 offset:28
	s_waitcnt vmcnt(0)
	flat_store_dword v[15:16], v0
	buffer_load_dword v0, off, s[0:3], 0 offset:32
	s_waitcnt vmcnt(0)
	flat_store_dword v[17:18], v0
	buffer_load_dword v0, off, s[0:3], 0 offset:36
	s_waitcnt vmcnt(0)
	flat_store_dword v[19:20], v0
	buffer_load_dword v0, off, s[0:3], 0 offset:40
	s_waitcnt vmcnt(0)
	flat_store_dword v[21:22], v0
	buffer_load_dword v0, off, s[0:3], 0 offset:44
	s_waitcnt vmcnt(0)
	flat_store_dword v[23:24], v0
	buffer_load_dword v0, off, s[0:3], 0 offset:48
	s_waitcnt vmcnt(0)
	flat_store_dword v[25:26], v0
	buffer_load_dword v0, off, s[0:3], 0 offset:52
	s_waitcnt vmcnt(0)
	flat_store_dword v[27:28], v0
	buffer_load_dword v0, off, s[0:3], 0 offset:56
	s_waitcnt vmcnt(0)
	flat_store_dword v[29:30], v0
	buffer_load_dword v0, off, s[0:3], 0 offset:60
	s_waitcnt vmcnt(0)
	flat_store_dword v[31:32], v0
	buffer_load_dword v0, off, s[0:3], 0 offset:64
	s_waitcnt vmcnt(0)
	flat_store_dword v[33:34], v0
	buffer_load_dword v0, off, s[0:3], 0 offset:68
	s_waitcnt vmcnt(0)
	flat_store_dword v[35:36], v0
	buffer_load_dword v0, off, s[0:3], 0 offset:72
	s_waitcnt vmcnt(0)
	flat_store_dword v[37:38], v0
	buffer_load_dword v0, off, s[0:3], 0 offset:76
	s_waitcnt vmcnt(0)
	flat_store_dword v[39:40], v0
	buffer_load_dword v0, off, s[0:3], 0 offset:80
	s_waitcnt vmcnt(0)
	flat_store_dword v[41:42], v0
	buffer_load_dword v0, off, s[0:3], 0 offset:84
	s_waitcnt vmcnt(0)
	flat_store_dword v[43:44], v0
	buffer_load_dword v0, off, s[0:3], 0 offset:88
	s_waitcnt vmcnt(0)
	flat_store_dword v[45:46], v0
	buffer_load_dword v0, off, s[0:3], 0 offset:92
	s_waitcnt vmcnt(0)
	flat_store_dword v[47:48], v0
	buffer_load_dword v0, off, s[0:3], 0 offset:96
	s_waitcnt vmcnt(0)
	flat_store_dword v[49:50], v0
	buffer_load_dword v0, off, s[0:3], 0 offset:100
	s_waitcnt vmcnt(0)
	flat_store_dword v[51:52], v0
	buffer_load_dword v0, off, s[0:3], 0 offset:104
	s_waitcnt vmcnt(0)
	flat_store_dword v[53:54], v0
	buffer_load_dword v0, off, s[0:3], 0 offset:108
	s_waitcnt vmcnt(0)
	flat_store_dword v[55:56], v0
	buffer_load_dword v0, off, s[0:3], 0 offset:112
	s_waitcnt vmcnt(0)
	flat_store_dword v[57:58], v0
	buffer_load_dword v0, off, s[0:3], 0 offset:116
	s_waitcnt vmcnt(0)
	flat_store_dword v[59:60], v0
	buffer_load_dword v0, off, s[0:3], 0 offset:120
	s_waitcnt vmcnt(0)
	flat_store_dword v[61:62], v0
	buffer_load_dword v0, off, s[0:3], 0 offset:124
	s_waitcnt vmcnt(0)
	flat_store_dword v[63:64], v0
	buffer_load_dword v0, off, s[0:3], 0 offset:128
	s_waitcnt vmcnt(0)
	flat_store_dword v[65:66], v0
	buffer_load_dword v0, off, s[0:3], 0 offset:132
	s_waitcnt vmcnt(0)
	flat_store_dword v[67:68], v0
	buffer_load_dword v0, off, s[0:3], 0 offset:136
	s_waitcnt vmcnt(0)
	flat_store_dword v[69:70], v0
	buffer_load_dword v0, off, s[0:3], 0 offset:140
	s_waitcnt vmcnt(0)
	flat_store_dword v[71:72], v0
	buffer_load_dword v0, off, s[0:3], 0 offset:144
	s_waitcnt vmcnt(0)
	flat_store_dword v[73:74], v0
	buffer_load_dword v0, off, s[0:3], 0 offset:148
	s_waitcnt vmcnt(0)
	flat_store_dword v[75:76], v0
	buffer_load_dword v0, off, s[0:3], 0 offset:152
	s_waitcnt vmcnt(0)
	flat_store_dword v[77:78], v0
	buffer_load_dword v0, off, s[0:3], 0 offset:156
	s_waitcnt vmcnt(0)
	flat_store_dword v[79:80], v0
	buffer_load_dword v0, off, s[0:3], 0 offset:160
	s_waitcnt vmcnt(0)
	flat_store_dword v[81:82], v0
	buffer_load_dword v0, off, s[0:3], 0 offset:164
	s_waitcnt vmcnt(0)
	flat_store_dword v[83:84], v0
	buffer_load_dword v0, off, s[0:3], 0 offset:168
	s_waitcnt vmcnt(0)
	flat_store_dword v[85:86], v0
	buffer_load_dword v0, off, s[0:3], 0 offset:172
	s_waitcnt vmcnt(0)
	flat_store_dword v[87:88], v0
	buffer_load_dword v0, off, s[0:3], 0 offset:176
	s_waitcnt vmcnt(0)
	flat_store_dword v[89:90], v0
	buffer_load_dword v0, off, s[0:3], 0 offset:180
	s_waitcnt vmcnt(0)
	flat_store_dword v[91:92], v0
	buffer_load_dword v0, off, s[0:3], 0 offset:184
	s_waitcnt vmcnt(0)
	flat_store_dword v[93:94], v0
	buffer_load_dword v0, off, s[0:3], 0 offset:188
	s_waitcnt vmcnt(0)
	flat_store_dword v[95:96], v0
	buffer_load_dword v0, off, s[0:3], 0 offset:192
	s_waitcnt vmcnt(0)
	flat_store_dword v[97:98], v0
	buffer_load_dword v0, off, s[0:3], 0 offset:196
	s_waitcnt vmcnt(0)
	flat_store_dword v[99:100], v0
	buffer_load_dword v0, off, s[0:3], 0 offset:200
	s_waitcnt vmcnt(0)
	flat_store_dword v[101:102], v0
	buffer_load_dword v0, off, s[0:3], 0 offset:204
	s_waitcnt vmcnt(0)
	flat_store_dword v[103:104], v0
	buffer_load_dword v0, off, s[0:3], 0 offset:208
	s_waitcnt vmcnt(0)
	flat_store_dword v[105:106], v0
	buffer_load_dword v0, off, s[0:3], 0 offset:212
	s_waitcnt vmcnt(0)
	flat_store_dword v[107:108], v0
	buffer_load_dword v0, off, s[0:3], 0 offset:216
	s_waitcnt vmcnt(0)
	flat_store_dword v[109:110], v0
	buffer_load_dword v0, off, s[0:3], 0 offset:220
	s_waitcnt vmcnt(0)
	flat_store_dword v[111:112], v0
	buffer_load_dword v0, off, s[0:3], 0 offset:224
	s_waitcnt vmcnt(0)
	flat_store_dword v[113:114], v0
	buffer_load_dword v0, off, s[0:3], 0 offset:228
	s_waitcnt vmcnt(0)
	flat_store_dword v[115:116], v0
	buffer_load_dword v0, off, s[0:3], 0 offset:232
	s_waitcnt vmcnt(0)
	flat_store_dword v[117:118], v0
	buffer_load_dword v0, off, s[0:3], 0 offset:236
	s_waitcnt vmcnt(0)
	flat_store_dword v[119:120], v0
	buffer_load_dword v0, off, s[0:3], 0 offset:240
	s_waitcnt vmcnt(0)
	flat_store_dword v[121:122], v0
	buffer_load_dword v0, off, s[0:3], 0 offset:244
	s_waitcnt vmcnt(0)
	flat_store_dword v[123:124], v0
	buffer_load_dword v0, off, s[0:3], 0 offset:248
	s_waitcnt vmcnt(0)
	flat_store_dword v[125:126], v0
	buffer_load_dword v0, off, s[0:3], 0 offset:252
	s_waitcnt vmcnt(0)
	flat_store_dword v[127:128], v0
.LBB127_1250:
	s_endpgm
	.section	.rodata,"a",@progbits
	.p2align	6, 0x0
	.amdhsa_kernel _ZN9rocsolver6v33100L18trti2_kernel_smallILi64EfPKPfEEv13rocblas_fill_17rocblas_diagonal_T1_iil
		.amdhsa_group_segment_fixed_size 512
		.amdhsa_private_segment_fixed_size 272
		.amdhsa_kernarg_size 32
		.amdhsa_user_sgpr_count 6
		.amdhsa_user_sgpr_private_segment_buffer 1
		.amdhsa_user_sgpr_dispatch_ptr 0
		.amdhsa_user_sgpr_queue_ptr 0
		.amdhsa_user_sgpr_kernarg_segment_ptr 1
		.amdhsa_user_sgpr_dispatch_id 0
		.amdhsa_user_sgpr_flat_scratch_init 0
		.amdhsa_user_sgpr_private_segment_size 0
		.amdhsa_uses_dynamic_stack 0
		.amdhsa_system_sgpr_private_segment_wavefront_offset 1
		.amdhsa_system_sgpr_workgroup_id_x 1
		.amdhsa_system_sgpr_workgroup_id_y 0
		.amdhsa_system_sgpr_workgroup_id_z 0
		.amdhsa_system_sgpr_workgroup_info 0
		.amdhsa_system_vgpr_workitem_id 0
		.amdhsa_next_free_vgpr 138
		.amdhsa_next_free_sgpr 77
		.amdhsa_reserve_vcc 1
		.amdhsa_reserve_flat_scratch 0
		.amdhsa_float_round_mode_32 0
		.amdhsa_float_round_mode_16_64 0
		.amdhsa_float_denorm_mode_32 3
		.amdhsa_float_denorm_mode_16_64 3
		.amdhsa_dx10_clamp 1
		.amdhsa_ieee_mode 1
		.amdhsa_fp16_overflow 0
		.amdhsa_exception_fp_ieee_invalid_op 0
		.amdhsa_exception_fp_denorm_src 0
		.amdhsa_exception_fp_ieee_div_zero 0
		.amdhsa_exception_fp_ieee_overflow 0
		.amdhsa_exception_fp_ieee_underflow 0
		.amdhsa_exception_fp_ieee_inexact 0
		.amdhsa_exception_int_div_zero 0
	.end_amdhsa_kernel
	.section	.text._ZN9rocsolver6v33100L18trti2_kernel_smallILi64EfPKPfEEv13rocblas_fill_17rocblas_diagonal_T1_iil,"axG",@progbits,_ZN9rocsolver6v33100L18trti2_kernel_smallILi64EfPKPfEEv13rocblas_fill_17rocblas_diagonal_T1_iil,comdat
.Lfunc_end127:
	.size	_ZN9rocsolver6v33100L18trti2_kernel_smallILi64EfPKPfEEv13rocblas_fill_17rocblas_diagonal_T1_iil, .Lfunc_end127-_ZN9rocsolver6v33100L18trti2_kernel_smallILi64EfPKPfEEv13rocblas_fill_17rocblas_diagonal_T1_iil
                                        ; -- End function
	.set _ZN9rocsolver6v33100L18trti2_kernel_smallILi64EfPKPfEEv13rocblas_fill_17rocblas_diagonal_T1_iil.num_vgpr, 138
	.set _ZN9rocsolver6v33100L18trti2_kernel_smallILi64EfPKPfEEv13rocblas_fill_17rocblas_diagonal_T1_iil.num_agpr, 0
	.set _ZN9rocsolver6v33100L18trti2_kernel_smallILi64EfPKPfEEv13rocblas_fill_17rocblas_diagonal_T1_iil.numbered_sgpr, 77
	.set _ZN9rocsolver6v33100L18trti2_kernel_smallILi64EfPKPfEEv13rocblas_fill_17rocblas_diagonal_T1_iil.num_named_barrier, 0
	.set _ZN9rocsolver6v33100L18trti2_kernel_smallILi64EfPKPfEEv13rocblas_fill_17rocblas_diagonal_T1_iil.private_seg_size, 272
	.set _ZN9rocsolver6v33100L18trti2_kernel_smallILi64EfPKPfEEv13rocblas_fill_17rocblas_diagonal_T1_iil.uses_vcc, 1
	.set _ZN9rocsolver6v33100L18trti2_kernel_smallILi64EfPKPfEEv13rocblas_fill_17rocblas_diagonal_T1_iil.uses_flat_scratch, 0
	.set _ZN9rocsolver6v33100L18trti2_kernel_smallILi64EfPKPfEEv13rocblas_fill_17rocblas_diagonal_T1_iil.has_dyn_sized_stack, 0
	.set _ZN9rocsolver6v33100L18trti2_kernel_smallILi64EfPKPfEEv13rocblas_fill_17rocblas_diagonal_T1_iil.has_recursion, 0
	.set _ZN9rocsolver6v33100L18trti2_kernel_smallILi64EfPKPfEEv13rocblas_fill_17rocblas_diagonal_T1_iil.has_indirect_call, 0
	.section	.AMDGPU.csdata,"",@progbits
; Kernel info:
; codeLenInByte = 31232
; TotalNumSgprs: 81
; NumVgprs: 138
; ScratchSize: 272
; MemoryBound: 0
; FloatMode: 240
; IeeeMode: 1
; LDSByteSize: 512 bytes/workgroup (compile time only)
; SGPRBlocks: 10
; VGPRBlocks: 34
; NumSGPRsForWavesPerEU: 81
; NumVGPRsForWavesPerEU: 138
; Occupancy: 1
; WaveLimiterHint : 1
; COMPUTE_PGM_RSRC2:SCRATCH_EN: 1
; COMPUTE_PGM_RSRC2:USER_SGPR: 6
; COMPUTE_PGM_RSRC2:TRAP_HANDLER: 0
; COMPUTE_PGM_RSRC2:TGID_X_EN: 1
; COMPUTE_PGM_RSRC2:TGID_Y_EN: 0
; COMPUTE_PGM_RSRC2:TGID_Z_EN: 0
; COMPUTE_PGM_RSRC2:TIDIG_COMP_CNT: 0
	.section	.AMDGPU.gpr_maximums,"",@progbits
	.set amdgpu.max_num_vgpr, 0
	.set amdgpu.max_num_agpr, 0
	.set amdgpu.max_num_sgpr, 0
	.section	.AMDGPU.csdata,"",@progbits
	.type	__hip_cuid_5971f0ca1fb06edf,@object ; @__hip_cuid_5971f0ca1fb06edf
	.section	.bss,"aw",@nobits
	.globl	__hip_cuid_5971f0ca1fb06edf
__hip_cuid_5971f0ca1fb06edf:
	.byte	0                               ; 0x0
	.size	__hip_cuid_5971f0ca1fb06edf, 1

	.ident	"AMD clang version 22.0.0git (https://github.com/RadeonOpenCompute/llvm-project roc-7.2.4 26084 f58b06dce1f9c15707c5f808fd002e18c2accf7e)"
	.section	".note.GNU-stack","",@progbits
	.addrsig
	.addrsig_sym __hip_cuid_5971f0ca1fb06edf
	.amdgpu_metadata
---
amdhsa.kernels:
  - .args:
      - .offset:         0
        .size:           4
        .value_kind:     by_value
      - .offset:         4
        .size:           4
        .value_kind:     by_value
      - .address_space:  global
        .offset:         8
        .size:           8
        .value_kind:     global_buffer
      - .offset:         16
        .size:           4
        .value_kind:     by_value
      - .offset:         20
        .size:           4
        .value_kind:     by_value
      - .offset:         24
        .size:           8
        .value_kind:     by_value
    .group_segment_fixed_size: 0
    .kernarg_segment_align: 8
    .kernarg_segment_size: 32
    .language:       OpenCL C
    .language_version:
      - 2
      - 0
    .max_flat_workgroup_size: 64
    .name:           _ZN9rocsolver6v33100L18trti2_kernel_smallILi1EfPfEEv13rocblas_fill_17rocblas_diagonal_T1_iil
    .private_segment_fixed_size: 0
    .sgpr_count:     15
    .sgpr_spill_count: 0
    .symbol:         _ZN9rocsolver6v33100L18trti2_kernel_smallILi1EfPfEEv13rocblas_fill_17rocblas_diagonal_T1_iil.kd
    .uniform_work_group_size: 1
    .uses_dynamic_stack: false
    .vgpr_count:     5
    .vgpr_spill_count: 0
    .wavefront_size: 64
  - .args:
      - .offset:         0
        .size:           4
        .value_kind:     by_value
      - .offset:         4
        .size:           4
        .value_kind:     by_value
      - .address_space:  global
        .offset:         8
        .size:           8
        .value_kind:     global_buffer
      - .offset:         16
        .size:           4
        .value_kind:     by_value
      - .offset:         20
        .size:           4
        .value_kind:     by_value
      - .offset:         24
        .size:           8
        .value_kind:     by_value
    .group_segment_fixed_size: 16
    .kernarg_segment_align: 8
    .kernarg_segment_size: 32
    .language:       OpenCL C
    .language_version:
      - 2
      - 0
    .max_flat_workgroup_size: 64
    .name:           _ZN9rocsolver6v33100L18trti2_kernel_smallILi2EfPfEEv13rocblas_fill_17rocblas_diagonal_T1_iil
    .private_segment_fixed_size: 0
    .sgpr_count:     20
    .sgpr_spill_count: 0
    .symbol:         _ZN9rocsolver6v33100L18trti2_kernel_smallILi2EfPfEEv13rocblas_fill_17rocblas_diagonal_T1_iil.kd
    .uniform_work_group_size: 1
    .uses_dynamic_stack: false
    .vgpr_count:     14
    .vgpr_spill_count: 0
    .wavefront_size: 64
  - .args:
      - .offset:         0
        .size:           4
        .value_kind:     by_value
      - .offset:         4
        .size:           4
        .value_kind:     by_value
      - .address_space:  global
        .offset:         8
        .size:           8
        .value_kind:     global_buffer
      - .offset:         16
        .size:           4
        .value_kind:     by_value
      - .offset:         20
        .size:           4
        .value_kind:     by_value
      - .offset:         24
        .size:           8
        .value_kind:     by_value
    .group_segment_fixed_size: 28
    .kernarg_segment_align: 8
    .kernarg_segment_size: 32
    .language:       OpenCL C
    .language_version:
      - 2
      - 0
    .max_flat_workgroup_size: 64
    .name:           _ZN9rocsolver6v33100L18trti2_kernel_smallILi3EfPfEEv13rocblas_fill_17rocblas_diagonal_T1_iil
    .private_segment_fixed_size: 0
    .sgpr_count:     20
    .sgpr_spill_count: 0
    .symbol:         _ZN9rocsolver6v33100L18trti2_kernel_smallILi3EfPfEEv13rocblas_fill_17rocblas_diagonal_T1_iil.kd
    .uniform_work_group_size: 1
    .uses_dynamic_stack: false
    .vgpr_count:     17
    .vgpr_spill_count: 0
    .wavefront_size: 64
  - .args:
      - .offset:         0
        .size:           4
        .value_kind:     by_value
      - .offset:         4
        .size:           4
        .value_kind:     by_value
      - .address_space:  global
        .offset:         8
        .size:           8
        .value_kind:     global_buffer
      - .offset:         16
        .size:           4
        .value_kind:     by_value
      - .offset:         20
        .size:           4
        .value_kind:     by_value
      - .offset:         24
        .size:           8
        .value_kind:     by_value
    .group_segment_fixed_size: 32
    .kernarg_segment_align: 8
    .kernarg_segment_size: 32
    .language:       OpenCL C
    .language_version:
      - 2
      - 0
    .max_flat_workgroup_size: 64
    .name:           _ZN9rocsolver6v33100L18trti2_kernel_smallILi4EfPfEEv13rocblas_fill_17rocblas_diagonal_T1_iil
    .private_segment_fixed_size: 0
    .sgpr_count:     20
    .sgpr_spill_count: 0
    .symbol:         _ZN9rocsolver6v33100L18trti2_kernel_smallILi4EfPfEEv13rocblas_fill_17rocblas_diagonal_T1_iil.kd
    .uniform_work_group_size: 1
    .uses_dynamic_stack: false
    .vgpr_count:     25
    .vgpr_spill_count: 0
    .wavefront_size: 64
  - .args:
      - .offset:         0
        .size:           4
        .value_kind:     by_value
      - .offset:         4
        .size:           4
        .value_kind:     by_value
      - .address_space:  global
        .offset:         8
        .size:           8
        .value_kind:     global_buffer
      - .offset:         16
        .size:           4
        .value_kind:     by_value
      - .offset:         20
        .size:           4
        .value_kind:     by_value
      - .offset:         24
        .size:           8
        .value_kind:     by_value
    .group_segment_fixed_size: 52
    .kernarg_segment_align: 8
    .kernarg_segment_size: 32
    .language:       OpenCL C
    .language_version:
      - 2
      - 0
    .max_flat_workgroup_size: 64
    .name:           _ZN9rocsolver6v33100L18trti2_kernel_smallILi5EfPfEEv13rocblas_fill_17rocblas_diagonal_T1_iil
    .private_segment_fixed_size: 0
    .sgpr_count:     24
    .sgpr_spill_count: 0
    .symbol:         _ZN9rocsolver6v33100L18trti2_kernel_smallILi5EfPfEEv13rocblas_fill_17rocblas_diagonal_T1_iil.kd
    .uniform_work_group_size: 1
    .uses_dynamic_stack: false
    .vgpr_count:     32
    .vgpr_spill_count: 0
    .wavefront_size: 64
  - .args:
      - .offset:         0
        .size:           4
        .value_kind:     by_value
      - .offset:         4
        .size:           4
        .value_kind:     by_value
      - .address_space:  global
        .offset:         8
        .size:           8
        .value_kind:     global_buffer
      - .offset:         16
        .size:           4
        .value_kind:     by_value
      - .offset:         20
        .size:           4
        .value_kind:     by_value
      - .offset:         24
        .size:           8
        .value_kind:     by_value
    .group_segment_fixed_size: 56
    .kernarg_segment_align: 8
    .kernarg_segment_size: 32
    .language:       OpenCL C
    .language_version:
      - 2
      - 0
    .max_flat_workgroup_size: 64
    .name:           _ZN9rocsolver6v33100L18trti2_kernel_smallILi6EfPfEEv13rocblas_fill_17rocblas_diagonal_T1_iil
    .private_segment_fixed_size: 0
    .sgpr_count:     24
    .sgpr_spill_count: 0
    .symbol:         _ZN9rocsolver6v33100L18trti2_kernel_smallILi6EfPfEEv13rocblas_fill_17rocblas_diagonal_T1_iil.kd
    .uniform_work_group_size: 1
    .uses_dynamic_stack: false
    .vgpr_count:     36
    .vgpr_spill_count: 0
    .wavefront_size: 64
  - .args:
      - .offset:         0
        .size:           4
        .value_kind:     by_value
      - .offset:         4
        .size:           4
        .value_kind:     by_value
      - .address_space:  global
        .offset:         8
        .size:           8
        .value_kind:     global_buffer
      - .offset:         16
        .size:           4
        .value_kind:     by_value
      - .offset:         20
        .size:           4
        .value_kind:     by_value
      - .offset:         24
        .size:           8
        .value_kind:     by_value
    .group_segment_fixed_size: 60
    .kernarg_segment_align: 8
    .kernarg_segment_size: 32
    .language:       OpenCL C
    .language_version:
      - 2
      - 0
    .max_flat_workgroup_size: 64
    .name:           _ZN9rocsolver6v33100L18trti2_kernel_smallILi7EfPfEEv13rocblas_fill_17rocblas_diagonal_T1_iil
    .private_segment_fixed_size: 0
    .sgpr_count:     28
    .sgpr_spill_count: 0
    .symbol:         _ZN9rocsolver6v33100L18trti2_kernel_smallILi7EfPfEEv13rocblas_fill_17rocblas_diagonal_T1_iil.kd
    .uniform_work_group_size: 1
    .uses_dynamic_stack: false
    .vgpr_count:     43
    .vgpr_spill_count: 0
    .wavefront_size: 64
  - .args:
      - .offset:         0
        .size:           4
        .value_kind:     by_value
      - .offset:         4
        .size:           4
        .value_kind:     by_value
      - .address_space:  global
        .offset:         8
        .size:           8
        .value_kind:     global_buffer
      - .offset:         16
        .size:           4
        .value_kind:     by_value
      - .offset:         20
        .size:           4
        .value_kind:     by_value
      - .offset:         24
        .size:           8
        .value_kind:     by_value
    .group_segment_fixed_size: 64
    .kernarg_segment_align: 8
    .kernarg_segment_size: 32
    .language:       OpenCL C
    .language_version:
      - 2
      - 0
    .max_flat_workgroup_size: 64
    .name:           _ZN9rocsolver6v33100L18trti2_kernel_smallILi8EfPfEEv13rocblas_fill_17rocblas_diagonal_T1_iil
    .private_segment_fixed_size: 0
    .sgpr_count:     28
    .sgpr_spill_count: 0
    .symbol:         _ZN9rocsolver6v33100L18trti2_kernel_smallILi8EfPfEEv13rocblas_fill_17rocblas_diagonal_T1_iil.kd
    .uniform_work_group_size: 1
    .uses_dynamic_stack: false
    .vgpr_count:     47
    .vgpr_spill_count: 0
    .wavefront_size: 64
  - .args:
      - .offset:         0
        .size:           4
        .value_kind:     by_value
      - .offset:         4
        .size:           4
        .value_kind:     by_value
      - .address_space:  global
        .offset:         8
        .size:           8
        .value_kind:     global_buffer
      - .offset:         16
        .size:           4
        .value_kind:     by_value
      - .offset:         20
        .size:           4
        .value_kind:     by_value
      - .offset:         24
        .size:           8
        .value_kind:     by_value
    .group_segment_fixed_size: 84
    .kernarg_segment_align: 8
    .kernarg_segment_size: 32
    .language:       OpenCL C
    .language_version:
      - 2
      - 0
    .max_flat_workgroup_size: 64
    .name:           _ZN9rocsolver6v33100L18trti2_kernel_smallILi9EfPfEEv13rocblas_fill_17rocblas_diagonal_T1_iil
    .private_segment_fixed_size: 0
    .sgpr_count:     32
    .sgpr_spill_count: 0
    .symbol:         _ZN9rocsolver6v33100L18trti2_kernel_smallILi9EfPfEEv13rocblas_fill_17rocblas_diagonal_T1_iil.kd
    .uniform_work_group_size: 1
    .uses_dynamic_stack: false
    .vgpr_count:     56
    .vgpr_spill_count: 0
    .wavefront_size: 64
  - .args:
      - .offset:         0
        .size:           4
        .value_kind:     by_value
      - .offset:         4
        .size:           4
        .value_kind:     by_value
      - .address_space:  global
        .offset:         8
        .size:           8
        .value_kind:     global_buffer
      - .offset:         16
        .size:           4
        .value_kind:     by_value
      - .offset:         20
        .size:           4
        .value_kind:     by_value
      - .offset:         24
        .size:           8
        .value_kind:     by_value
    .group_segment_fixed_size: 88
    .kernarg_segment_align: 8
    .kernarg_segment_size: 32
    .language:       OpenCL C
    .language_version:
      - 2
      - 0
    .max_flat_workgroup_size: 64
    .name:           _ZN9rocsolver6v33100L18trti2_kernel_smallILi10EfPfEEv13rocblas_fill_17rocblas_diagonal_T1_iil
    .private_segment_fixed_size: 0
    .sgpr_count:     32
    .sgpr_spill_count: 0
    .symbol:         _ZN9rocsolver6v33100L18trti2_kernel_smallILi10EfPfEEv13rocblas_fill_17rocblas_diagonal_T1_iil.kd
    .uniform_work_group_size: 1
    .uses_dynamic_stack: false
    .vgpr_count:     60
    .vgpr_spill_count: 0
    .wavefront_size: 64
  - .args:
      - .offset:         0
        .size:           4
        .value_kind:     by_value
      - .offset:         4
        .size:           4
        .value_kind:     by_value
      - .address_space:  global
        .offset:         8
        .size:           8
        .value_kind:     global_buffer
      - .offset:         16
        .size:           4
        .value_kind:     by_value
      - .offset:         20
        .size:           4
        .value_kind:     by_value
      - .offset:         24
        .size:           8
        .value_kind:     by_value
    .group_segment_fixed_size: 92
    .kernarg_segment_align: 8
    .kernarg_segment_size: 32
    .language:       OpenCL C
    .language_version:
      - 2
      - 0
    .max_flat_workgroup_size: 64
    .name:           _ZN9rocsolver6v33100L18trti2_kernel_smallILi11EfPfEEv13rocblas_fill_17rocblas_diagonal_T1_iil
    .private_segment_fixed_size: 0
    .sgpr_count:     36
    .sgpr_spill_count: 0
    .symbol:         _ZN9rocsolver6v33100L18trti2_kernel_smallILi11EfPfEEv13rocblas_fill_17rocblas_diagonal_T1_iil.kd
    .uniform_work_group_size: 1
    .uses_dynamic_stack: false
    .vgpr_count:     64
    .vgpr_spill_count: 0
    .wavefront_size: 64
  - .args:
      - .offset:         0
        .size:           4
        .value_kind:     by_value
      - .offset:         4
        .size:           4
        .value_kind:     by_value
      - .address_space:  global
        .offset:         8
        .size:           8
        .value_kind:     global_buffer
      - .offset:         16
        .size:           4
        .value_kind:     by_value
      - .offset:         20
        .size:           4
        .value_kind:     by_value
      - .offset:         24
        .size:           8
        .value_kind:     by_value
    .group_segment_fixed_size: 96
    .kernarg_segment_align: 8
    .kernarg_segment_size: 32
    .language:       OpenCL C
    .language_version:
      - 2
      - 0
    .max_flat_workgroup_size: 64
    .name:           _ZN9rocsolver6v33100L18trti2_kernel_smallILi12EfPfEEv13rocblas_fill_17rocblas_diagonal_T1_iil
    .private_segment_fixed_size: 0
    .sgpr_count:     36
    .sgpr_spill_count: 0
    .symbol:         _ZN9rocsolver6v33100L18trti2_kernel_smallILi12EfPfEEv13rocblas_fill_17rocblas_diagonal_T1_iil.kd
    .uniform_work_group_size: 1
    .uses_dynamic_stack: false
    .vgpr_count:     63
    .vgpr_spill_count: 0
    .wavefront_size: 64
  - .args:
      - .offset:         0
        .size:           4
        .value_kind:     by_value
      - .offset:         4
        .size:           4
        .value_kind:     by_value
      - .address_space:  global
        .offset:         8
        .size:           8
        .value_kind:     global_buffer
      - .offset:         16
        .size:           4
        .value_kind:     by_value
      - .offset:         20
        .size:           4
        .value_kind:     by_value
      - .offset:         24
        .size:           8
        .value_kind:     by_value
    .group_segment_fixed_size: 116
    .kernarg_segment_align: 8
    .kernarg_segment_size: 32
    .language:       OpenCL C
    .language_version:
      - 2
      - 0
    .max_flat_workgroup_size: 64
    .name:           _ZN9rocsolver6v33100L18trti2_kernel_smallILi13EfPfEEv13rocblas_fill_17rocblas_diagonal_T1_iil
    .private_segment_fixed_size: 0
    .sgpr_count:     48
    .sgpr_spill_count: 0
    .symbol:         _ZN9rocsolver6v33100L18trti2_kernel_smallILi13EfPfEEv13rocblas_fill_17rocblas_diagonal_T1_iil.kd
    .uniform_work_group_size: 1
    .uses_dynamic_stack: false
    .vgpr_count:     75
    .vgpr_spill_count: 0
    .wavefront_size: 64
  - .args:
      - .offset:         0
        .size:           4
        .value_kind:     by_value
      - .offset:         4
        .size:           4
        .value_kind:     by_value
      - .address_space:  global
        .offset:         8
        .size:           8
        .value_kind:     global_buffer
      - .offset:         16
        .size:           4
        .value_kind:     by_value
      - .offset:         20
        .size:           4
        .value_kind:     by_value
      - .offset:         24
        .size:           8
        .value_kind:     by_value
    .group_segment_fixed_size: 120
    .kernarg_segment_align: 8
    .kernarg_segment_size: 32
    .language:       OpenCL C
    .language_version:
      - 2
      - 0
    .max_flat_workgroup_size: 64
    .name:           _ZN9rocsolver6v33100L18trti2_kernel_smallILi14EfPfEEv13rocblas_fill_17rocblas_diagonal_T1_iil
    .private_segment_fixed_size: 0
    .sgpr_count:     48
    .sgpr_spill_count: 0
    .symbol:         _ZN9rocsolver6v33100L18trti2_kernel_smallILi14EfPfEEv13rocblas_fill_17rocblas_diagonal_T1_iil.kd
    .uniform_work_group_size: 1
    .uses_dynamic_stack: false
    .vgpr_count:     78
    .vgpr_spill_count: 0
    .wavefront_size: 64
  - .args:
      - .offset:         0
        .size:           4
        .value_kind:     by_value
      - .offset:         4
        .size:           4
        .value_kind:     by_value
      - .address_space:  global
        .offset:         8
        .size:           8
        .value_kind:     global_buffer
      - .offset:         16
        .size:           4
        .value_kind:     by_value
      - .offset:         20
        .size:           4
        .value_kind:     by_value
      - .offset:         24
        .size:           8
        .value_kind:     by_value
    .group_segment_fixed_size: 124
    .kernarg_segment_align: 8
    .kernarg_segment_size: 32
    .language:       OpenCL C
    .language_version:
      - 2
      - 0
    .max_flat_workgroup_size: 64
    .name:           _ZN9rocsolver6v33100L18trti2_kernel_smallILi15EfPfEEv13rocblas_fill_17rocblas_diagonal_T1_iil
    .private_segment_fixed_size: 0
    .sgpr_count:     48
    .sgpr_spill_count: 0
    .symbol:         _ZN9rocsolver6v33100L18trti2_kernel_smallILi15EfPfEEv13rocblas_fill_17rocblas_diagonal_T1_iil.kd
    .uniform_work_group_size: 1
    .uses_dynamic_stack: false
    .vgpr_count:     81
    .vgpr_spill_count: 0
    .wavefront_size: 64
  - .args:
      - .offset:         0
        .size:           4
        .value_kind:     by_value
      - .offset:         4
        .size:           4
        .value_kind:     by_value
      - .address_space:  global
        .offset:         8
        .size:           8
        .value_kind:     global_buffer
      - .offset:         16
        .size:           4
        .value_kind:     by_value
      - .offset:         20
        .size:           4
        .value_kind:     by_value
      - .offset:         24
        .size:           8
        .value_kind:     by_value
    .group_segment_fixed_size: 128
    .kernarg_segment_align: 8
    .kernarg_segment_size: 32
    .language:       OpenCL C
    .language_version:
      - 2
      - 0
    .max_flat_workgroup_size: 64
    .name:           _ZN9rocsolver6v33100L18trti2_kernel_smallILi16EfPfEEv13rocblas_fill_17rocblas_diagonal_T1_iil
    .private_segment_fixed_size: 0
    .sgpr_count:     48
    .sgpr_spill_count: 0
    .symbol:         _ZN9rocsolver6v33100L18trti2_kernel_smallILi16EfPfEEv13rocblas_fill_17rocblas_diagonal_T1_iil.kd
    .uniform_work_group_size: 1
    .uses_dynamic_stack: false
    .vgpr_count:     84
    .vgpr_spill_count: 0
    .wavefront_size: 64
  - .args:
      - .offset:         0
        .size:           4
        .value_kind:     by_value
      - .offset:         4
        .size:           4
        .value_kind:     by_value
      - .address_space:  global
        .offset:         8
        .size:           8
        .value_kind:     global_buffer
      - .offset:         16
        .size:           4
        .value_kind:     by_value
      - .offset:         20
        .size:           4
        .value_kind:     by_value
      - .offset:         24
        .size:           8
        .value_kind:     by_value
    .group_segment_fixed_size: 148
    .kernarg_segment_align: 8
    .kernarg_segment_size: 32
    .language:       OpenCL C
    .language_version:
      - 2
      - 0
    .max_flat_workgroup_size: 64
    .name:           _ZN9rocsolver6v33100L18trti2_kernel_smallILi17EfPfEEv13rocblas_fill_17rocblas_diagonal_T1_iil
    .private_segment_fixed_size: 0
    .sgpr_count:     48
    .sgpr_spill_count: 0
    .symbol:         _ZN9rocsolver6v33100L18trti2_kernel_smallILi17EfPfEEv13rocblas_fill_17rocblas_diagonal_T1_iil.kd
    .uniform_work_group_size: 1
    .uses_dynamic_stack: false
    .vgpr_count:     103
    .vgpr_spill_count: 0
    .wavefront_size: 64
  - .args:
      - .offset:         0
        .size:           4
        .value_kind:     by_value
      - .offset:         4
        .size:           4
        .value_kind:     by_value
      - .address_space:  global
        .offset:         8
        .size:           8
        .value_kind:     global_buffer
      - .offset:         16
        .size:           4
        .value_kind:     by_value
      - .offset:         20
        .size:           4
        .value_kind:     by_value
      - .offset:         24
        .size:           8
        .value_kind:     by_value
    .group_segment_fixed_size: 152
    .kernarg_segment_align: 8
    .kernarg_segment_size: 32
    .language:       OpenCL C
    .language_version:
      - 2
      - 0
    .max_flat_workgroup_size: 64
    .name:           _ZN9rocsolver6v33100L18trti2_kernel_smallILi18EfPfEEv13rocblas_fill_17rocblas_diagonal_T1_iil
    .private_segment_fixed_size: 0
    .sgpr_count:     52
    .sgpr_spill_count: 0
    .symbol:         _ZN9rocsolver6v33100L18trti2_kernel_smallILi18EfPfEEv13rocblas_fill_17rocblas_diagonal_T1_iil.kd
    .uniform_work_group_size: 1
    .uses_dynamic_stack: false
    .vgpr_count:     106
    .vgpr_spill_count: 0
    .wavefront_size: 64
  - .args:
      - .offset:         0
        .size:           4
        .value_kind:     by_value
      - .offset:         4
        .size:           4
        .value_kind:     by_value
      - .address_space:  global
        .offset:         8
        .size:           8
        .value_kind:     global_buffer
      - .offset:         16
        .size:           4
        .value_kind:     by_value
      - .offset:         20
        .size:           4
        .value_kind:     by_value
      - .offset:         24
        .size:           8
        .value_kind:     by_value
    .group_segment_fixed_size: 156
    .kernarg_segment_align: 8
    .kernarg_segment_size: 32
    .language:       OpenCL C
    .language_version:
      - 2
      - 0
    .max_flat_workgroup_size: 64
    .name:           _ZN9rocsolver6v33100L18trti2_kernel_smallILi19EfPfEEv13rocblas_fill_17rocblas_diagonal_T1_iil
    .private_segment_fixed_size: 0
    .sgpr_count:     52
    .sgpr_spill_count: 0
    .symbol:         _ZN9rocsolver6v33100L18trti2_kernel_smallILi19EfPfEEv13rocblas_fill_17rocblas_diagonal_T1_iil.kd
    .uniform_work_group_size: 1
    .uses_dynamic_stack: false
    .vgpr_count:     109
    .vgpr_spill_count: 0
    .wavefront_size: 64
  - .args:
      - .offset:         0
        .size:           4
        .value_kind:     by_value
      - .offset:         4
        .size:           4
        .value_kind:     by_value
      - .address_space:  global
        .offset:         8
        .size:           8
        .value_kind:     global_buffer
      - .offset:         16
        .size:           4
        .value_kind:     by_value
      - .offset:         20
        .size:           4
        .value_kind:     by_value
      - .offset:         24
        .size:           8
        .value_kind:     by_value
    .group_segment_fixed_size: 160
    .kernarg_segment_align: 8
    .kernarg_segment_size: 32
    .language:       OpenCL C
    .language_version:
      - 2
      - 0
    .max_flat_workgroup_size: 64
    .name:           _ZN9rocsolver6v33100L18trti2_kernel_smallILi20EfPfEEv13rocblas_fill_17rocblas_diagonal_T1_iil
    .private_segment_fixed_size: 0
    .sgpr_count:     56
    .sgpr_spill_count: 0
    .symbol:         _ZN9rocsolver6v33100L18trti2_kernel_smallILi20EfPfEEv13rocblas_fill_17rocblas_diagonal_T1_iil.kd
    .uniform_work_group_size: 1
    .uses_dynamic_stack: false
    .vgpr_count:     112
    .vgpr_spill_count: 0
    .wavefront_size: 64
  - .args:
      - .offset:         0
        .size:           4
        .value_kind:     by_value
      - .offset:         4
        .size:           4
        .value_kind:     by_value
      - .address_space:  global
        .offset:         8
        .size:           8
        .value_kind:     global_buffer
      - .offset:         16
        .size:           4
        .value_kind:     by_value
      - .offset:         20
        .size:           4
        .value_kind:     by_value
      - .offset:         24
        .size:           8
        .value_kind:     by_value
    .group_segment_fixed_size: 180
    .kernarg_segment_align: 8
    .kernarg_segment_size: 32
    .language:       OpenCL C
    .language_version:
      - 2
      - 0
    .max_flat_workgroup_size: 64
    .name:           _ZN9rocsolver6v33100L18trti2_kernel_smallILi21EfPfEEv13rocblas_fill_17rocblas_diagonal_T1_iil
    .private_segment_fixed_size: 0
    .sgpr_count:     56
    .sgpr_spill_count: 0
    .symbol:         _ZN9rocsolver6v33100L18trti2_kernel_smallILi21EfPfEEv13rocblas_fill_17rocblas_diagonal_T1_iil.kd
    .uniform_work_group_size: 1
    .uses_dynamic_stack: false
    .vgpr_count:     115
    .vgpr_spill_count: 0
    .wavefront_size: 64
  - .args:
      - .offset:         0
        .size:           4
        .value_kind:     by_value
      - .offset:         4
        .size:           4
        .value_kind:     by_value
      - .address_space:  global
        .offset:         8
        .size:           8
        .value_kind:     global_buffer
      - .offset:         16
        .size:           4
        .value_kind:     by_value
      - .offset:         20
        .size:           4
        .value_kind:     by_value
      - .offset:         24
        .size:           8
        .value_kind:     by_value
    .group_segment_fixed_size: 184
    .kernarg_segment_align: 8
    .kernarg_segment_size: 32
    .language:       OpenCL C
    .language_version:
      - 2
      - 0
    .max_flat_workgroup_size: 64
    .name:           _ZN9rocsolver6v33100L18trti2_kernel_smallILi22EfPfEEv13rocblas_fill_17rocblas_diagonal_T1_iil
    .private_segment_fixed_size: 0
    .sgpr_count:     60
    .sgpr_spill_count: 0
    .symbol:         _ZN9rocsolver6v33100L18trti2_kernel_smallILi22EfPfEEv13rocblas_fill_17rocblas_diagonal_T1_iil.kd
    .uniform_work_group_size: 1
    .uses_dynamic_stack: false
    .vgpr_count:     118
    .vgpr_spill_count: 0
    .wavefront_size: 64
  - .args:
      - .offset:         0
        .size:           4
        .value_kind:     by_value
      - .offset:         4
        .size:           4
        .value_kind:     by_value
      - .address_space:  global
        .offset:         8
        .size:           8
        .value_kind:     global_buffer
      - .offset:         16
        .size:           4
        .value_kind:     by_value
      - .offset:         20
        .size:           4
        .value_kind:     by_value
      - .offset:         24
        .size:           8
        .value_kind:     by_value
    .group_segment_fixed_size: 188
    .kernarg_segment_align: 8
    .kernarg_segment_size: 32
    .language:       OpenCL C
    .language_version:
      - 2
      - 0
    .max_flat_workgroup_size: 64
    .name:           _ZN9rocsolver6v33100L18trti2_kernel_smallILi23EfPfEEv13rocblas_fill_17rocblas_diagonal_T1_iil
    .private_segment_fixed_size: 0
    .sgpr_count:     60
    .sgpr_spill_count: 0
    .symbol:         _ZN9rocsolver6v33100L18trti2_kernel_smallILi23EfPfEEv13rocblas_fill_17rocblas_diagonal_T1_iil.kd
    .uniform_work_group_size: 1
    .uses_dynamic_stack: false
    .vgpr_count:     119
    .vgpr_spill_count: 0
    .wavefront_size: 64
  - .args:
      - .offset:         0
        .size:           4
        .value_kind:     by_value
      - .offset:         4
        .size:           4
        .value_kind:     by_value
      - .address_space:  global
        .offset:         8
        .size:           8
        .value_kind:     global_buffer
      - .offset:         16
        .size:           4
        .value_kind:     by_value
      - .offset:         20
        .size:           4
        .value_kind:     by_value
      - .offset:         24
        .size:           8
        .value_kind:     by_value
    .group_segment_fixed_size: 192
    .kernarg_segment_align: 8
    .kernarg_segment_size: 32
    .language:       OpenCL C
    .language_version:
      - 2
      - 0
    .max_flat_workgroup_size: 64
    .name:           _ZN9rocsolver6v33100L18trti2_kernel_smallILi24EfPfEEv13rocblas_fill_17rocblas_diagonal_T1_iil
    .private_segment_fixed_size: 0
    .sgpr_count:     64
    .sgpr_spill_count: 0
    .symbol:         _ZN9rocsolver6v33100L18trti2_kernel_smallILi24EfPfEEv13rocblas_fill_17rocblas_diagonal_T1_iil.kd
    .uniform_work_group_size: 1
    .uses_dynamic_stack: false
    .vgpr_count:     119
    .vgpr_spill_count: 0
    .wavefront_size: 64
  - .args:
      - .offset:         0
        .size:           4
        .value_kind:     by_value
      - .offset:         4
        .size:           4
        .value_kind:     by_value
      - .address_space:  global
        .offset:         8
        .size:           8
        .value_kind:     global_buffer
      - .offset:         16
        .size:           4
        .value_kind:     by_value
      - .offset:         20
        .size:           4
        .value_kind:     by_value
      - .offset:         24
        .size:           8
        .value_kind:     by_value
    .group_segment_fixed_size: 212
    .kernarg_segment_align: 8
    .kernarg_segment_size: 32
    .language:       OpenCL C
    .language_version:
      - 2
      - 0
    .max_flat_workgroup_size: 64
    .name:           _ZN9rocsolver6v33100L18trti2_kernel_smallILi25EfPfEEv13rocblas_fill_17rocblas_diagonal_T1_iil
    .private_segment_fixed_size: 0
    .sgpr_count:     64
    .sgpr_spill_count: 0
    .symbol:         _ZN9rocsolver6v33100L18trti2_kernel_smallILi25EfPfEEv13rocblas_fill_17rocblas_diagonal_T1_iil.kd
    .uniform_work_group_size: 1
    .uses_dynamic_stack: false
    .vgpr_count:     127
    .vgpr_spill_count: 0
    .wavefront_size: 64
  - .args:
      - .offset:         0
        .size:           4
        .value_kind:     by_value
      - .offset:         4
        .size:           4
        .value_kind:     by_value
      - .address_space:  global
        .offset:         8
        .size:           8
        .value_kind:     global_buffer
      - .offset:         16
        .size:           4
        .value_kind:     by_value
      - .offset:         20
        .size:           4
        .value_kind:     by_value
      - .offset:         24
        .size:           8
        .value_kind:     by_value
    .group_segment_fixed_size: 216
    .kernarg_segment_align: 8
    .kernarg_segment_size: 32
    .language:       OpenCL C
    .language_version:
      - 2
      - 0
    .max_flat_workgroup_size: 64
    .name:           _ZN9rocsolver6v33100L18trti2_kernel_smallILi26EfPfEEv13rocblas_fill_17rocblas_diagonal_T1_iil
    .private_segment_fixed_size: 0
    .sgpr_count:     68
    .sgpr_spill_count: 0
    .symbol:         _ZN9rocsolver6v33100L18trti2_kernel_smallILi26EfPfEEv13rocblas_fill_17rocblas_diagonal_T1_iil.kd
    .uniform_work_group_size: 1
    .uses_dynamic_stack: false
    .vgpr_count:     130
    .vgpr_spill_count: 0
    .wavefront_size: 64
  - .args:
      - .offset:         0
        .size:           4
        .value_kind:     by_value
      - .offset:         4
        .size:           4
        .value_kind:     by_value
      - .address_space:  global
        .offset:         8
        .size:           8
        .value_kind:     global_buffer
      - .offset:         16
        .size:           4
        .value_kind:     by_value
      - .offset:         20
        .size:           4
        .value_kind:     by_value
      - .offset:         24
        .size:           8
        .value_kind:     by_value
    .group_segment_fixed_size: 220
    .kernarg_segment_align: 8
    .kernarg_segment_size: 32
    .language:       OpenCL C
    .language_version:
      - 2
      - 0
    .max_flat_workgroup_size: 64
    .name:           _ZN9rocsolver6v33100L18trti2_kernel_smallILi27EfPfEEv13rocblas_fill_17rocblas_diagonal_T1_iil
    .private_segment_fixed_size: 0
    .sgpr_count:     68
    .sgpr_spill_count: 0
    .symbol:         _ZN9rocsolver6v33100L18trti2_kernel_smallILi27EfPfEEv13rocblas_fill_17rocblas_diagonal_T1_iil.kd
    .uniform_work_group_size: 1
    .uses_dynamic_stack: false
    .vgpr_count:     133
    .vgpr_spill_count: 0
    .wavefront_size: 64
  - .args:
      - .offset:         0
        .size:           4
        .value_kind:     by_value
      - .offset:         4
        .size:           4
        .value_kind:     by_value
      - .address_space:  global
        .offset:         8
        .size:           8
        .value_kind:     global_buffer
      - .offset:         16
        .size:           4
        .value_kind:     by_value
      - .offset:         20
        .size:           4
        .value_kind:     by_value
      - .offset:         24
        .size:           8
        .value_kind:     by_value
    .group_segment_fixed_size: 224
    .kernarg_segment_align: 8
    .kernarg_segment_size: 32
    .language:       OpenCL C
    .language_version:
      - 2
      - 0
    .max_flat_workgroup_size: 64
    .name:           _ZN9rocsolver6v33100L18trti2_kernel_smallILi28EfPfEEv13rocblas_fill_17rocblas_diagonal_T1_iil
    .private_segment_fixed_size: 0
    .sgpr_count:     72
    .sgpr_spill_count: 0
    .symbol:         _ZN9rocsolver6v33100L18trti2_kernel_smallILi28EfPfEEv13rocblas_fill_17rocblas_diagonal_T1_iil.kd
    .uniform_work_group_size: 1
    .uses_dynamic_stack: false
    .vgpr_count:     136
    .vgpr_spill_count: 0
    .wavefront_size: 64
  - .args:
      - .offset:         0
        .size:           4
        .value_kind:     by_value
      - .offset:         4
        .size:           4
        .value_kind:     by_value
      - .address_space:  global
        .offset:         8
        .size:           8
        .value_kind:     global_buffer
      - .offset:         16
        .size:           4
        .value_kind:     by_value
      - .offset:         20
        .size:           4
        .value_kind:     by_value
      - .offset:         24
        .size:           8
        .value_kind:     by_value
    .group_segment_fixed_size: 244
    .kernarg_segment_align: 8
    .kernarg_segment_size: 32
    .language:       OpenCL C
    .language_version:
      - 2
      - 0
    .max_flat_workgroup_size: 64
    .name:           _ZN9rocsolver6v33100L18trti2_kernel_smallILi29EfPfEEv13rocblas_fill_17rocblas_diagonal_T1_iil
    .private_segment_fixed_size: 0
    .sgpr_count:     72
    .sgpr_spill_count: 0
    .symbol:         _ZN9rocsolver6v33100L18trti2_kernel_smallILi29EfPfEEv13rocblas_fill_17rocblas_diagonal_T1_iil.kd
    .uniform_work_group_size: 1
    .uses_dynamic_stack: false
    .vgpr_count:     139
    .vgpr_spill_count: 0
    .wavefront_size: 64
  - .args:
      - .offset:         0
        .size:           4
        .value_kind:     by_value
      - .offset:         4
        .size:           4
        .value_kind:     by_value
      - .address_space:  global
        .offset:         8
        .size:           8
        .value_kind:     global_buffer
      - .offset:         16
        .size:           4
        .value_kind:     by_value
      - .offset:         20
        .size:           4
        .value_kind:     by_value
      - .offset:         24
        .size:           8
        .value_kind:     by_value
    .group_segment_fixed_size: 248
    .kernarg_segment_align: 8
    .kernarg_segment_size: 32
    .language:       OpenCL C
    .language_version:
      - 2
      - 0
    .max_flat_workgroup_size: 64
    .name:           _ZN9rocsolver6v33100L18trti2_kernel_smallILi30EfPfEEv13rocblas_fill_17rocblas_diagonal_T1_iil
    .private_segment_fixed_size: 0
    .sgpr_count:     76
    .sgpr_spill_count: 0
    .symbol:         _ZN9rocsolver6v33100L18trti2_kernel_smallILi30EfPfEEv13rocblas_fill_17rocblas_diagonal_T1_iil.kd
    .uniform_work_group_size: 1
    .uses_dynamic_stack: false
    .vgpr_count:     142
    .vgpr_spill_count: 0
    .wavefront_size: 64
  - .args:
      - .offset:         0
        .size:           4
        .value_kind:     by_value
      - .offset:         4
        .size:           4
        .value_kind:     by_value
      - .address_space:  global
        .offset:         8
        .size:           8
        .value_kind:     global_buffer
      - .offset:         16
        .size:           4
        .value_kind:     by_value
      - .offset:         20
        .size:           4
        .value_kind:     by_value
      - .offset:         24
        .size:           8
        .value_kind:     by_value
    .group_segment_fixed_size: 252
    .kernarg_segment_align: 8
    .kernarg_segment_size: 32
    .language:       OpenCL C
    .language_version:
      - 2
      - 0
    .max_flat_workgroup_size: 64
    .name:           _ZN9rocsolver6v33100L18trti2_kernel_smallILi31EfPfEEv13rocblas_fill_17rocblas_diagonal_T1_iil
    .private_segment_fixed_size: 0
    .sgpr_count:     76
    .sgpr_spill_count: 0
    .symbol:         _ZN9rocsolver6v33100L18trti2_kernel_smallILi31EfPfEEv13rocblas_fill_17rocblas_diagonal_T1_iil.kd
    .uniform_work_group_size: 1
    .uses_dynamic_stack: false
    .vgpr_count:     145
    .vgpr_spill_count: 0
    .wavefront_size: 64
  - .args:
      - .offset:         0
        .size:           4
        .value_kind:     by_value
      - .offset:         4
        .size:           4
        .value_kind:     by_value
      - .address_space:  global
        .offset:         8
        .size:           8
        .value_kind:     global_buffer
      - .offset:         16
        .size:           4
        .value_kind:     by_value
      - .offset:         20
        .size:           4
        .value_kind:     by_value
      - .offset:         24
        .size:           8
        .value_kind:     by_value
    .group_segment_fixed_size: 256
    .kernarg_segment_align: 8
    .kernarg_segment_size: 32
    .language:       OpenCL C
    .language_version:
      - 2
      - 0
    .max_flat_workgroup_size: 64
    .name:           _ZN9rocsolver6v33100L18trti2_kernel_smallILi32EfPfEEv13rocblas_fill_17rocblas_diagonal_T1_iil
    .private_segment_fixed_size: 0
    .sgpr_count:     80
    .sgpr_spill_count: 0
    .symbol:         _ZN9rocsolver6v33100L18trti2_kernel_smallILi32EfPfEEv13rocblas_fill_17rocblas_diagonal_T1_iil.kd
    .uniform_work_group_size: 1
    .uses_dynamic_stack: false
    .vgpr_count:     148
    .vgpr_spill_count: 0
    .wavefront_size: 64
  - .args:
      - .offset:         0
        .size:           4
        .value_kind:     by_value
      - .offset:         4
        .size:           4
        .value_kind:     by_value
      - .address_space:  global
        .offset:         8
        .size:           8
        .value_kind:     global_buffer
      - .offset:         16
        .size:           4
        .value_kind:     by_value
      - .offset:         20
        .size:           4
        .value_kind:     by_value
      - .offset:         24
        .size:           8
        .value_kind:     by_value
    .group_segment_fixed_size: 276
    .kernarg_segment_align: 8
    .kernarg_segment_size: 32
    .language:       OpenCL C
    .language_version:
      - 2
      - 0
    .max_flat_workgroup_size: 64
    .name:           _ZN9rocsolver6v33100L18trti2_kernel_smallILi33EfPfEEv13rocblas_fill_17rocblas_diagonal_T1_iil
    .private_segment_fixed_size: 144
    .sgpr_count:     50
    .sgpr_spill_count: 0
    .symbol:         _ZN9rocsolver6v33100L18trti2_kernel_smallILi33EfPfEEv13rocblas_fill_17rocblas_diagonal_T1_iil.kd
    .uniform_work_group_size: 1
    .uses_dynamic_stack: false
    .vgpr_count:     80
    .vgpr_spill_count: 0
    .wavefront_size: 64
  - .args:
      - .offset:         0
        .size:           4
        .value_kind:     by_value
      - .offset:         4
        .size:           4
        .value_kind:     by_value
      - .address_space:  global
        .offset:         8
        .size:           8
        .value_kind:     global_buffer
      - .offset:         16
        .size:           4
        .value_kind:     by_value
      - .offset:         20
        .size:           4
        .value_kind:     by_value
      - .offset:         24
        .size:           8
        .value_kind:     by_value
    .group_segment_fixed_size: 280
    .kernarg_segment_align: 8
    .kernarg_segment_size: 32
    .language:       OpenCL C
    .language_version:
      - 2
      - 0
    .max_flat_workgroup_size: 64
    .name:           _ZN9rocsolver6v33100L18trti2_kernel_smallILi34EfPfEEv13rocblas_fill_17rocblas_diagonal_T1_iil
    .private_segment_fixed_size: 144
    .sgpr_count:     51
    .sgpr_spill_count: 0
    .symbol:         _ZN9rocsolver6v33100L18trti2_kernel_smallILi34EfPfEEv13rocblas_fill_17rocblas_diagonal_T1_iil.kd
    .uniform_work_group_size: 1
    .uses_dynamic_stack: false
    .vgpr_count:     80
    .vgpr_spill_count: 0
    .wavefront_size: 64
  - .args:
      - .offset:         0
        .size:           4
        .value_kind:     by_value
      - .offset:         4
        .size:           4
        .value_kind:     by_value
      - .address_space:  global
        .offset:         8
        .size:           8
        .value_kind:     global_buffer
      - .offset:         16
        .size:           4
        .value_kind:     by_value
      - .offset:         20
        .size:           4
        .value_kind:     by_value
      - .offset:         24
        .size:           8
        .value_kind:     by_value
    .group_segment_fixed_size: 284
    .kernarg_segment_align: 8
    .kernarg_segment_size: 32
    .language:       OpenCL C
    .language_version:
      - 2
      - 0
    .max_flat_workgroup_size: 64
    .name:           _ZN9rocsolver6v33100L18trti2_kernel_smallILi35EfPfEEv13rocblas_fill_17rocblas_diagonal_T1_iil
    .private_segment_fixed_size: 144
    .sgpr_count:     52
    .sgpr_spill_count: 0
    .symbol:         _ZN9rocsolver6v33100L18trti2_kernel_smallILi35EfPfEEv13rocblas_fill_17rocblas_diagonal_T1_iil.kd
    .uniform_work_group_size: 1
    .uses_dynamic_stack: false
    .vgpr_count:     81
    .vgpr_spill_count: 0
    .wavefront_size: 64
  - .args:
      - .offset:         0
        .size:           4
        .value_kind:     by_value
      - .offset:         4
        .size:           4
        .value_kind:     by_value
      - .address_space:  global
        .offset:         8
        .size:           8
        .value_kind:     global_buffer
      - .offset:         16
        .size:           4
        .value_kind:     by_value
      - .offset:         20
        .size:           4
        .value_kind:     by_value
      - .offset:         24
        .size:           8
        .value_kind:     by_value
    .group_segment_fixed_size: 288
    .kernarg_segment_align: 8
    .kernarg_segment_size: 32
    .language:       OpenCL C
    .language_version:
      - 2
      - 0
    .max_flat_workgroup_size: 64
    .name:           _ZN9rocsolver6v33100L18trti2_kernel_smallILi36EfPfEEv13rocblas_fill_17rocblas_diagonal_T1_iil
    .private_segment_fixed_size: 160
    .sgpr_count:     53
    .sgpr_spill_count: 0
    .symbol:         _ZN9rocsolver6v33100L18trti2_kernel_smallILi36EfPfEEv13rocblas_fill_17rocblas_diagonal_T1_iil.kd
    .uniform_work_group_size: 1
    .uses_dynamic_stack: false
    .vgpr_count:     83
    .vgpr_spill_count: 0
    .wavefront_size: 64
  - .args:
      - .offset:         0
        .size:           4
        .value_kind:     by_value
      - .offset:         4
        .size:           4
        .value_kind:     by_value
      - .address_space:  global
        .offset:         8
        .size:           8
        .value_kind:     global_buffer
      - .offset:         16
        .size:           4
        .value_kind:     by_value
      - .offset:         20
        .size:           4
        .value_kind:     by_value
      - .offset:         24
        .size:           8
        .value_kind:     by_value
    .group_segment_fixed_size: 308
    .kernarg_segment_align: 8
    .kernarg_segment_size: 32
    .language:       OpenCL C
    .language_version:
      - 2
      - 0
    .max_flat_workgroup_size: 64
    .name:           _ZN9rocsolver6v33100L18trti2_kernel_smallILi37EfPfEEv13rocblas_fill_17rocblas_diagonal_T1_iil
    .private_segment_fixed_size: 160
    .sgpr_count:     54
    .sgpr_spill_count: 0
    .symbol:         _ZN9rocsolver6v33100L18trti2_kernel_smallILi37EfPfEEv13rocblas_fill_17rocblas_diagonal_T1_iil.kd
    .uniform_work_group_size: 1
    .uses_dynamic_stack: false
    .vgpr_count:     84
    .vgpr_spill_count: 0
    .wavefront_size: 64
  - .args:
      - .offset:         0
        .size:           4
        .value_kind:     by_value
      - .offset:         4
        .size:           4
        .value_kind:     by_value
      - .address_space:  global
        .offset:         8
        .size:           8
        .value_kind:     global_buffer
      - .offset:         16
        .size:           4
        .value_kind:     by_value
      - .offset:         20
        .size:           4
        .value_kind:     by_value
      - .offset:         24
        .size:           8
        .value_kind:     by_value
    .group_segment_fixed_size: 312
    .kernarg_segment_align: 8
    .kernarg_segment_size: 32
    .language:       OpenCL C
    .language_version:
      - 2
      - 0
    .max_flat_workgroup_size: 64
    .name:           _ZN9rocsolver6v33100L18trti2_kernel_smallILi38EfPfEEv13rocblas_fill_17rocblas_diagonal_T1_iil
    .private_segment_fixed_size: 160
    .sgpr_count:     55
    .sgpr_spill_count: 0
    .symbol:         _ZN9rocsolver6v33100L18trti2_kernel_smallILi38EfPfEEv13rocblas_fill_17rocblas_diagonal_T1_iil.kd
    .uniform_work_group_size: 1
    .uses_dynamic_stack: false
    .vgpr_count:     116
    .vgpr_spill_count: 0
    .wavefront_size: 64
  - .args:
      - .offset:         0
        .size:           4
        .value_kind:     by_value
      - .offset:         4
        .size:           4
        .value_kind:     by_value
      - .address_space:  global
        .offset:         8
        .size:           8
        .value_kind:     global_buffer
      - .offset:         16
        .size:           4
        .value_kind:     by_value
      - .offset:         20
        .size:           4
        .value_kind:     by_value
      - .offset:         24
        .size:           8
        .value_kind:     by_value
    .group_segment_fixed_size: 316
    .kernarg_segment_align: 8
    .kernarg_segment_size: 32
    .language:       OpenCL C
    .language_version:
      - 2
      - 0
    .max_flat_workgroup_size: 64
    .name:           _ZN9rocsolver6v33100L18trti2_kernel_smallILi39EfPfEEv13rocblas_fill_17rocblas_diagonal_T1_iil
    .private_segment_fixed_size: 160
    .sgpr_count:     56
    .sgpr_spill_count: 0
    .symbol:         _ZN9rocsolver6v33100L18trti2_kernel_smallILi39EfPfEEv13rocblas_fill_17rocblas_diagonal_T1_iil.kd
    .uniform_work_group_size: 1
    .uses_dynamic_stack: false
    .vgpr_count:     119
    .vgpr_spill_count: 0
    .wavefront_size: 64
  - .args:
      - .offset:         0
        .size:           4
        .value_kind:     by_value
      - .offset:         4
        .size:           4
        .value_kind:     by_value
      - .address_space:  global
        .offset:         8
        .size:           8
        .value_kind:     global_buffer
      - .offset:         16
        .size:           4
        .value_kind:     by_value
      - .offset:         20
        .size:           4
        .value_kind:     by_value
      - .offset:         24
        .size:           8
        .value_kind:     by_value
    .group_segment_fixed_size: 320
    .kernarg_segment_align: 8
    .kernarg_segment_size: 32
    .language:       OpenCL C
    .language_version:
      - 2
      - 0
    .max_flat_workgroup_size: 64
    .name:           _ZN9rocsolver6v33100L18trti2_kernel_smallILi40EfPfEEv13rocblas_fill_17rocblas_diagonal_T1_iil
    .private_segment_fixed_size: 176
    .sgpr_count:     57
    .sgpr_spill_count: 0
    .symbol:         _ZN9rocsolver6v33100L18trti2_kernel_smallILi40EfPfEEv13rocblas_fill_17rocblas_diagonal_T1_iil.kd
    .uniform_work_group_size: 1
    .uses_dynamic_stack: false
    .vgpr_count:     122
    .vgpr_spill_count: 0
    .wavefront_size: 64
  - .args:
      - .offset:         0
        .size:           4
        .value_kind:     by_value
      - .offset:         4
        .size:           4
        .value_kind:     by_value
      - .address_space:  global
        .offset:         8
        .size:           8
        .value_kind:     global_buffer
      - .offset:         16
        .size:           4
        .value_kind:     by_value
      - .offset:         20
        .size:           4
        .value_kind:     by_value
      - .offset:         24
        .size:           8
        .value_kind:     by_value
    .group_segment_fixed_size: 340
    .kernarg_segment_align: 8
    .kernarg_segment_size: 32
    .language:       OpenCL C
    .language_version:
      - 2
      - 0
    .max_flat_workgroup_size: 64
    .name:           _ZN9rocsolver6v33100L18trti2_kernel_smallILi41EfPfEEv13rocblas_fill_17rocblas_diagonal_T1_iil
    .private_segment_fixed_size: 176
    .sgpr_count:     58
    .sgpr_spill_count: 0
    .symbol:         _ZN9rocsolver6v33100L18trti2_kernel_smallILi41EfPfEEv13rocblas_fill_17rocblas_diagonal_T1_iil.kd
    .uniform_work_group_size: 1
    .uses_dynamic_stack: false
    .vgpr_count:     124
    .vgpr_spill_count: 0
    .wavefront_size: 64
  - .args:
      - .offset:         0
        .size:           4
        .value_kind:     by_value
      - .offset:         4
        .size:           4
        .value_kind:     by_value
      - .address_space:  global
        .offset:         8
        .size:           8
        .value_kind:     global_buffer
      - .offset:         16
        .size:           4
        .value_kind:     by_value
      - .offset:         20
        .size:           4
        .value_kind:     by_value
      - .offset:         24
        .size:           8
        .value_kind:     by_value
    .group_segment_fixed_size: 344
    .kernarg_segment_align: 8
    .kernarg_segment_size: 32
    .language:       OpenCL C
    .language_version:
      - 2
      - 0
    .max_flat_workgroup_size: 64
    .name:           _ZN9rocsolver6v33100L18trti2_kernel_smallILi42EfPfEEv13rocblas_fill_17rocblas_diagonal_T1_iil
    .private_segment_fixed_size: 176
    .sgpr_count:     59
    .sgpr_spill_count: 0
    .symbol:         _ZN9rocsolver6v33100L18trti2_kernel_smallILi42EfPfEEv13rocblas_fill_17rocblas_diagonal_T1_iil.kd
    .uniform_work_group_size: 1
    .uses_dynamic_stack: false
    .vgpr_count:     124
    .vgpr_spill_count: 0
    .wavefront_size: 64
  - .args:
      - .offset:         0
        .size:           4
        .value_kind:     by_value
      - .offset:         4
        .size:           4
        .value_kind:     by_value
      - .address_space:  global
        .offset:         8
        .size:           8
        .value_kind:     global_buffer
      - .offset:         16
        .size:           4
        .value_kind:     by_value
      - .offset:         20
        .size:           4
        .value_kind:     by_value
      - .offset:         24
        .size:           8
        .value_kind:     by_value
    .group_segment_fixed_size: 348
    .kernarg_segment_align: 8
    .kernarg_segment_size: 32
    .language:       OpenCL C
    .language_version:
      - 2
      - 0
    .max_flat_workgroup_size: 64
    .name:           _ZN9rocsolver6v33100L18trti2_kernel_smallILi43EfPfEEv13rocblas_fill_17rocblas_diagonal_T1_iil
    .private_segment_fixed_size: 176
    .sgpr_count:     60
    .sgpr_spill_count: 0
    .symbol:         _ZN9rocsolver6v33100L18trti2_kernel_smallILi43EfPfEEv13rocblas_fill_17rocblas_diagonal_T1_iil.kd
    .uniform_work_group_size: 1
    .uses_dynamic_stack: false
    .vgpr_count:     124
    .vgpr_spill_count: 0
    .wavefront_size: 64
  - .args:
      - .offset:         0
        .size:           4
        .value_kind:     by_value
      - .offset:         4
        .size:           4
        .value_kind:     by_value
      - .address_space:  global
        .offset:         8
        .size:           8
        .value_kind:     global_buffer
      - .offset:         16
        .size:           4
        .value_kind:     by_value
      - .offset:         20
        .size:           4
        .value_kind:     by_value
      - .offset:         24
        .size:           8
        .value_kind:     by_value
    .group_segment_fixed_size: 352
    .kernarg_segment_align: 8
    .kernarg_segment_size: 32
    .language:       OpenCL C
    .language_version:
      - 2
      - 0
    .max_flat_workgroup_size: 64
    .name:           _ZN9rocsolver6v33100L18trti2_kernel_smallILi44EfPfEEv13rocblas_fill_17rocblas_diagonal_T1_iil
    .private_segment_fixed_size: 192
    .sgpr_count:     61
    .sgpr_spill_count: 0
    .symbol:         _ZN9rocsolver6v33100L18trti2_kernel_smallILi44EfPfEEv13rocblas_fill_17rocblas_diagonal_T1_iil.kd
    .uniform_work_group_size: 1
    .uses_dynamic_stack: false
    .vgpr_count:     124
    .vgpr_spill_count: 0
    .wavefront_size: 64
  - .args:
      - .offset:         0
        .size:           4
        .value_kind:     by_value
      - .offset:         4
        .size:           4
        .value_kind:     by_value
      - .address_space:  global
        .offset:         8
        .size:           8
        .value_kind:     global_buffer
      - .offset:         16
        .size:           4
        .value_kind:     by_value
      - .offset:         20
        .size:           4
        .value_kind:     by_value
      - .offset:         24
        .size:           8
        .value_kind:     by_value
    .group_segment_fixed_size: 372
    .kernarg_segment_align: 8
    .kernarg_segment_size: 32
    .language:       OpenCL C
    .language_version:
      - 2
      - 0
    .max_flat_workgroup_size: 64
    .name:           _ZN9rocsolver6v33100L18trti2_kernel_smallILi45EfPfEEv13rocblas_fill_17rocblas_diagonal_T1_iil
    .private_segment_fixed_size: 192
    .sgpr_count:     62
    .sgpr_spill_count: 0
    .symbol:         _ZN9rocsolver6v33100L18trti2_kernel_smallILi45EfPfEEv13rocblas_fill_17rocblas_diagonal_T1_iil.kd
    .uniform_work_group_size: 1
    .uses_dynamic_stack: false
    .vgpr_count:     124
    .vgpr_spill_count: 0
    .wavefront_size: 64
  - .args:
      - .offset:         0
        .size:           4
        .value_kind:     by_value
      - .offset:         4
        .size:           4
        .value_kind:     by_value
      - .address_space:  global
        .offset:         8
        .size:           8
        .value_kind:     global_buffer
      - .offset:         16
        .size:           4
        .value_kind:     by_value
      - .offset:         20
        .size:           4
        .value_kind:     by_value
      - .offset:         24
        .size:           8
        .value_kind:     by_value
    .group_segment_fixed_size: 376
    .kernarg_segment_align: 8
    .kernarg_segment_size: 32
    .language:       OpenCL C
    .language_version:
      - 2
      - 0
    .max_flat_workgroup_size: 64
    .name:           _ZN9rocsolver6v33100L18trti2_kernel_smallILi46EfPfEEv13rocblas_fill_17rocblas_diagonal_T1_iil
    .private_segment_fixed_size: 192
    .sgpr_count:     63
    .sgpr_spill_count: 0
    .symbol:         _ZN9rocsolver6v33100L18trti2_kernel_smallILi46EfPfEEv13rocblas_fill_17rocblas_diagonal_T1_iil.kd
    .uniform_work_group_size: 1
    .uses_dynamic_stack: false
    .vgpr_count:     124
    .vgpr_spill_count: 0
    .wavefront_size: 64
  - .args:
      - .offset:         0
        .size:           4
        .value_kind:     by_value
      - .offset:         4
        .size:           4
        .value_kind:     by_value
      - .address_space:  global
        .offset:         8
        .size:           8
        .value_kind:     global_buffer
      - .offset:         16
        .size:           4
        .value_kind:     by_value
      - .offset:         20
        .size:           4
        .value_kind:     by_value
      - .offset:         24
        .size:           8
        .value_kind:     by_value
    .group_segment_fixed_size: 380
    .kernarg_segment_align: 8
    .kernarg_segment_size: 32
    .language:       OpenCL C
    .language_version:
      - 2
      - 0
    .max_flat_workgroup_size: 64
    .name:           _ZN9rocsolver6v33100L18trti2_kernel_smallILi47EfPfEEv13rocblas_fill_17rocblas_diagonal_T1_iil
    .private_segment_fixed_size: 192
    .sgpr_count:     64
    .sgpr_spill_count: 0
    .symbol:         _ZN9rocsolver6v33100L18trti2_kernel_smallILi47EfPfEEv13rocblas_fill_17rocblas_diagonal_T1_iil.kd
    .uniform_work_group_size: 1
    .uses_dynamic_stack: false
    .vgpr_count:     124
    .vgpr_spill_count: 0
    .wavefront_size: 64
  - .args:
      - .offset:         0
        .size:           4
        .value_kind:     by_value
      - .offset:         4
        .size:           4
        .value_kind:     by_value
      - .address_space:  global
        .offset:         8
        .size:           8
        .value_kind:     global_buffer
      - .offset:         16
        .size:           4
        .value_kind:     by_value
      - .offset:         20
        .size:           4
        .value_kind:     by_value
      - .offset:         24
        .size:           8
        .value_kind:     by_value
    .group_segment_fixed_size: 384
    .kernarg_segment_align: 8
    .kernarg_segment_size: 32
    .language:       OpenCL C
    .language_version:
      - 2
      - 0
    .max_flat_workgroup_size: 64
    .name:           _ZN9rocsolver6v33100L18trti2_kernel_smallILi48EfPfEEv13rocblas_fill_17rocblas_diagonal_T1_iil
    .private_segment_fixed_size: 208
    .sgpr_count:     65
    .sgpr_spill_count: 0
    .symbol:         _ZN9rocsolver6v33100L18trti2_kernel_smallILi48EfPfEEv13rocblas_fill_17rocblas_diagonal_T1_iil.kd
    .uniform_work_group_size: 1
    .uses_dynamic_stack: false
    .vgpr_count:     124
    .vgpr_spill_count: 0
    .wavefront_size: 64
  - .args:
      - .offset:         0
        .size:           4
        .value_kind:     by_value
      - .offset:         4
        .size:           4
        .value_kind:     by_value
      - .address_space:  global
        .offset:         8
        .size:           8
        .value_kind:     global_buffer
      - .offset:         16
        .size:           4
        .value_kind:     by_value
      - .offset:         20
        .size:           4
        .value_kind:     by_value
      - .offset:         24
        .size:           8
        .value_kind:     by_value
    .group_segment_fixed_size: 404
    .kernarg_segment_align: 8
    .kernarg_segment_size: 32
    .language:       OpenCL C
    .language_version:
      - 2
      - 0
    .max_flat_workgroup_size: 64
    .name:           _ZN9rocsolver6v33100L18trti2_kernel_smallILi49EfPfEEv13rocblas_fill_17rocblas_diagonal_T1_iil
    .private_segment_fixed_size: 208
    .sgpr_count:     66
    .sgpr_spill_count: 0
    .symbol:         _ZN9rocsolver6v33100L18trti2_kernel_smallILi49EfPfEEv13rocblas_fill_17rocblas_diagonal_T1_iil.kd
    .uniform_work_group_size: 1
    .uses_dynamic_stack: false
    .vgpr_count:     124
    .vgpr_spill_count: 0
    .wavefront_size: 64
  - .args:
      - .offset:         0
        .size:           4
        .value_kind:     by_value
      - .offset:         4
        .size:           4
        .value_kind:     by_value
      - .address_space:  global
        .offset:         8
        .size:           8
        .value_kind:     global_buffer
      - .offset:         16
        .size:           4
        .value_kind:     by_value
      - .offset:         20
        .size:           4
        .value_kind:     by_value
      - .offset:         24
        .size:           8
        .value_kind:     by_value
    .group_segment_fixed_size: 408
    .kernarg_segment_align: 8
    .kernarg_segment_size: 32
    .language:       OpenCL C
    .language_version:
      - 2
      - 0
    .max_flat_workgroup_size: 64
    .name:           _ZN9rocsolver6v33100L18trti2_kernel_smallILi50EfPfEEv13rocblas_fill_17rocblas_diagonal_T1_iil
    .private_segment_fixed_size: 208
    .sgpr_count:     67
    .sgpr_spill_count: 0
    .symbol:         _ZN9rocsolver6v33100L18trti2_kernel_smallILi50EfPfEEv13rocblas_fill_17rocblas_diagonal_T1_iil.kd
    .uniform_work_group_size: 1
    .uses_dynamic_stack: false
    .vgpr_count:     124
    .vgpr_spill_count: 0
    .wavefront_size: 64
  - .args:
      - .offset:         0
        .size:           4
        .value_kind:     by_value
      - .offset:         4
        .size:           4
        .value_kind:     by_value
      - .address_space:  global
        .offset:         8
        .size:           8
        .value_kind:     global_buffer
      - .offset:         16
        .size:           4
        .value_kind:     by_value
      - .offset:         20
        .size:           4
        .value_kind:     by_value
      - .offset:         24
        .size:           8
        .value_kind:     by_value
    .group_segment_fixed_size: 412
    .kernarg_segment_align: 8
    .kernarg_segment_size: 32
    .language:       OpenCL C
    .language_version:
      - 2
      - 0
    .max_flat_workgroup_size: 64
    .name:           _ZN9rocsolver6v33100L18trti2_kernel_smallILi51EfPfEEv13rocblas_fill_17rocblas_diagonal_T1_iil
    .private_segment_fixed_size: 208
    .sgpr_count:     68
    .sgpr_spill_count: 0
    .symbol:         _ZN9rocsolver6v33100L18trti2_kernel_smallILi51EfPfEEv13rocblas_fill_17rocblas_diagonal_T1_iil.kd
    .uniform_work_group_size: 1
    .uses_dynamic_stack: false
    .vgpr_count:     124
    .vgpr_spill_count: 0
    .wavefront_size: 64
  - .args:
      - .offset:         0
        .size:           4
        .value_kind:     by_value
      - .offset:         4
        .size:           4
        .value_kind:     by_value
      - .address_space:  global
        .offset:         8
        .size:           8
        .value_kind:     global_buffer
      - .offset:         16
        .size:           4
        .value_kind:     by_value
      - .offset:         20
        .size:           4
        .value_kind:     by_value
      - .offset:         24
        .size:           8
        .value_kind:     by_value
    .group_segment_fixed_size: 416
    .kernarg_segment_align: 8
    .kernarg_segment_size: 32
    .language:       OpenCL C
    .language_version:
      - 2
      - 0
    .max_flat_workgroup_size: 64
    .name:           _ZN9rocsolver6v33100L18trti2_kernel_smallILi52EfPfEEv13rocblas_fill_17rocblas_diagonal_T1_iil
    .private_segment_fixed_size: 224
    .sgpr_count:     69
    .sgpr_spill_count: 0
    .symbol:         _ZN9rocsolver6v33100L18trti2_kernel_smallILi52EfPfEEv13rocblas_fill_17rocblas_diagonal_T1_iil.kd
    .uniform_work_group_size: 1
    .uses_dynamic_stack: false
    .vgpr_count:     124
    .vgpr_spill_count: 0
    .wavefront_size: 64
  - .args:
      - .offset:         0
        .size:           4
        .value_kind:     by_value
      - .offset:         4
        .size:           4
        .value_kind:     by_value
      - .address_space:  global
        .offset:         8
        .size:           8
        .value_kind:     global_buffer
      - .offset:         16
        .size:           4
        .value_kind:     by_value
      - .offset:         20
        .size:           4
        .value_kind:     by_value
      - .offset:         24
        .size:           8
        .value_kind:     by_value
    .group_segment_fixed_size: 436
    .kernarg_segment_align: 8
    .kernarg_segment_size: 32
    .language:       OpenCL C
    .language_version:
      - 2
      - 0
    .max_flat_workgroup_size: 64
    .name:           _ZN9rocsolver6v33100L18trti2_kernel_smallILi53EfPfEEv13rocblas_fill_17rocblas_diagonal_T1_iil
    .private_segment_fixed_size: 224
    .sgpr_count:     70
    .sgpr_spill_count: 0
    .symbol:         _ZN9rocsolver6v33100L18trti2_kernel_smallILi53EfPfEEv13rocblas_fill_17rocblas_diagonal_T1_iil.kd
    .uniform_work_group_size: 1
    .uses_dynamic_stack: false
    .vgpr_count:     124
    .vgpr_spill_count: 0
    .wavefront_size: 64
  - .args:
      - .offset:         0
        .size:           4
        .value_kind:     by_value
      - .offset:         4
        .size:           4
        .value_kind:     by_value
      - .address_space:  global
        .offset:         8
        .size:           8
        .value_kind:     global_buffer
      - .offset:         16
        .size:           4
        .value_kind:     by_value
      - .offset:         20
        .size:           4
        .value_kind:     by_value
      - .offset:         24
        .size:           8
        .value_kind:     by_value
    .group_segment_fixed_size: 440
    .kernarg_segment_align: 8
    .kernarg_segment_size: 32
    .language:       OpenCL C
    .language_version:
      - 2
      - 0
    .max_flat_workgroup_size: 64
    .name:           _ZN9rocsolver6v33100L18trti2_kernel_smallILi54EfPfEEv13rocblas_fill_17rocblas_diagonal_T1_iil
    .private_segment_fixed_size: 224
    .sgpr_count:     71
    .sgpr_spill_count: 0
    .symbol:         _ZN9rocsolver6v33100L18trti2_kernel_smallILi54EfPfEEv13rocblas_fill_17rocblas_diagonal_T1_iil.kd
    .uniform_work_group_size: 1
    .uses_dynamic_stack: false
    .vgpr_count:     124
    .vgpr_spill_count: 0
    .wavefront_size: 64
  - .args:
      - .offset:         0
        .size:           4
        .value_kind:     by_value
      - .offset:         4
        .size:           4
        .value_kind:     by_value
      - .address_space:  global
        .offset:         8
        .size:           8
        .value_kind:     global_buffer
      - .offset:         16
        .size:           4
        .value_kind:     by_value
      - .offset:         20
        .size:           4
        .value_kind:     by_value
      - .offset:         24
        .size:           8
        .value_kind:     by_value
    .group_segment_fixed_size: 444
    .kernarg_segment_align: 8
    .kernarg_segment_size: 32
    .language:       OpenCL C
    .language_version:
      - 2
      - 0
    .max_flat_workgroup_size: 64
    .name:           _ZN9rocsolver6v33100L18trti2_kernel_smallILi55EfPfEEv13rocblas_fill_17rocblas_diagonal_T1_iil
    .private_segment_fixed_size: 224
    .sgpr_count:     72
    .sgpr_spill_count: 0
    .symbol:         _ZN9rocsolver6v33100L18trti2_kernel_smallILi55EfPfEEv13rocblas_fill_17rocblas_diagonal_T1_iil.kd
    .uniform_work_group_size: 1
    .uses_dynamic_stack: false
    .vgpr_count:     124
    .vgpr_spill_count: 0
    .wavefront_size: 64
  - .args:
      - .offset:         0
        .size:           4
        .value_kind:     by_value
      - .offset:         4
        .size:           4
        .value_kind:     by_value
      - .address_space:  global
        .offset:         8
        .size:           8
        .value_kind:     global_buffer
      - .offset:         16
        .size:           4
        .value_kind:     by_value
      - .offset:         20
        .size:           4
        .value_kind:     by_value
      - .offset:         24
        .size:           8
        .value_kind:     by_value
    .group_segment_fixed_size: 448
    .kernarg_segment_align: 8
    .kernarg_segment_size: 32
    .language:       OpenCL C
    .language_version:
      - 2
      - 0
    .max_flat_workgroup_size: 64
    .name:           _ZN9rocsolver6v33100L18trti2_kernel_smallILi56EfPfEEv13rocblas_fill_17rocblas_diagonal_T1_iil
    .private_segment_fixed_size: 240
    .sgpr_count:     73
    .sgpr_spill_count: 0
    .symbol:         _ZN9rocsolver6v33100L18trti2_kernel_smallILi56EfPfEEv13rocblas_fill_17rocblas_diagonal_T1_iil.kd
    .uniform_work_group_size: 1
    .uses_dynamic_stack: false
    .vgpr_count:     124
    .vgpr_spill_count: 0
    .wavefront_size: 64
  - .args:
      - .offset:         0
        .size:           4
        .value_kind:     by_value
      - .offset:         4
        .size:           4
        .value_kind:     by_value
      - .address_space:  global
        .offset:         8
        .size:           8
        .value_kind:     global_buffer
      - .offset:         16
        .size:           4
        .value_kind:     by_value
      - .offset:         20
        .size:           4
        .value_kind:     by_value
      - .offset:         24
        .size:           8
        .value_kind:     by_value
    .group_segment_fixed_size: 468
    .kernarg_segment_align: 8
    .kernarg_segment_size: 32
    .language:       OpenCL C
    .language_version:
      - 2
      - 0
    .max_flat_workgroup_size: 64
    .name:           _ZN9rocsolver6v33100L18trti2_kernel_smallILi57EfPfEEv13rocblas_fill_17rocblas_diagonal_T1_iil
    .private_segment_fixed_size: 240
    .sgpr_count:     74
    .sgpr_spill_count: 0
    .symbol:         _ZN9rocsolver6v33100L18trti2_kernel_smallILi57EfPfEEv13rocblas_fill_17rocblas_diagonal_T1_iil.kd
    .uniform_work_group_size: 1
    .uses_dynamic_stack: false
    .vgpr_count:     124
    .vgpr_spill_count: 0
    .wavefront_size: 64
  - .args:
      - .offset:         0
        .size:           4
        .value_kind:     by_value
      - .offset:         4
        .size:           4
        .value_kind:     by_value
      - .address_space:  global
        .offset:         8
        .size:           8
        .value_kind:     global_buffer
      - .offset:         16
        .size:           4
        .value_kind:     by_value
      - .offset:         20
        .size:           4
        .value_kind:     by_value
      - .offset:         24
        .size:           8
        .value_kind:     by_value
    .group_segment_fixed_size: 472
    .kernarg_segment_align: 8
    .kernarg_segment_size: 32
    .language:       OpenCL C
    .language_version:
      - 2
      - 0
    .max_flat_workgroup_size: 64
    .name:           _ZN9rocsolver6v33100L18trti2_kernel_smallILi58EfPfEEv13rocblas_fill_17rocblas_diagonal_T1_iil
    .private_segment_fixed_size: 240
    .sgpr_count:     75
    .sgpr_spill_count: 0
    .symbol:         _ZN9rocsolver6v33100L18trti2_kernel_smallILi58EfPfEEv13rocblas_fill_17rocblas_diagonal_T1_iil.kd
    .uniform_work_group_size: 1
    .uses_dynamic_stack: false
    .vgpr_count:     127
    .vgpr_spill_count: 0
    .wavefront_size: 64
  - .args:
      - .offset:         0
        .size:           4
        .value_kind:     by_value
      - .offset:         4
        .size:           4
        .value_kind:     by_value
      - .address_space:  global
        .offset:         8
        .size:           8
        .value_kind:     global_buffer
      - .offset:         16
        .size:           4
        .value_kind:     by_value
      - .offset:         20
        .size:           4
        .value_kind:     by_value
      - .offset:         24
        .size:           8
        .value_kind:     by_value
    .group_segment_fixed_size: 476
    .kernarg_segment_align: 8
    .kernarg_segment_size: 32
    .language:       OpenCL C
    .language_version:
      - 2
      - 0
    .max_flat_workgroup_size: 64
    .name:           _ZN9rocsolver6v33100L18trti2_kernel_smallILi59EfPfEEv13rocblas_fill_17rocblas_diagonal_T1_iil
    .private_segment_fixed_size: 240
    .sgpr_count:     76
    .sgpr_spill_count: 0
    .symbol:         _ZN9rocsolver6v33100L18trti2_kernel_smallILi59EfPfEEv13rocblas_fill_17rocblas_diagonal_T1_iil.kd
    .uniform_work_group_size: 1
    .uses_dynamic_stack: false
    .vgpr_count:     128
    .vgpr_spill_count: 0
    .wavefront_size: 64
  - .args:
      - .offset:         0
        .size:           4
        .value_kind:     by_value
      - .offset:         4
        .size:           4
        .value_kind:     by_value
      - .address_space:  global
        .offset:         8
        .size:           8
        .value_kind:     global_buffer
      - .offset:         16
        .size:           4
        .value_kind:     by_value
      - .offset:         20
        .size:           4
        .value_kind:     by_value
      - .offset:         24
        .size:           8
        .value_kind:     by_value
    .group_segment_fixed_size: 480
    .kernarg_segment_align: 8
    .kernarg_segment_size: 32
    .language:       OpenCL C
    .language_version:
      - 2
      - 0
    .max_flat_workgroup_size: 64
    .name:           _ZN9rocsolver6v33100L18trti2_kernel_smallILi60EfPfEEv13rocblas_fill_17rocblas_diagonal_T1_iil
    .private_segment_fixed_size: 256
    .sgpr_count:     77
    .sgpr_spill_count: 0
    .symbol:         _ZN9rocsolver6v33100L18trti2_kernel_smallILi60EfPfEEv13rocblas_fill_17rocblas_diagonal_T1_iil.kd
    .uniform_work_group_size: 1
    .uses_dynamic_stack: false
    .vgpr_count:     182
    .vgpr_spill_count: 0
    .wavefront_size: 64
  - .args:
      - .offset:         0
        .size:           4
        .value_kind:     by_value
      - .offset:         4
        .size:           4
        .value_kind:     by_value
      - .address_space:  global
        .offset:         8
        .size:           8
        .value_kind:     global_buffer
      - .offset:         16
        .size:           4
        .value_kind:     by_value
      - .offset:         20
        .size:           4
        .value_kind:     by_value
      - .offset:         24
        .size:           8
        .value_kind:     by_value
    .group_segment_fixed_size: 500
    .kernarg_segment_align: 8
    .kernarg_segment_size: 32
    .language:       OpenCL C
    .language_version:
      - 2
      - 0
    .max_flat_workgroup_size: 64
    .name:           _ZN9rocsolver6v33100L18trti2_kernel_smallILi61EfPfEEv13rocblas_fill_17rocblas_diagonal_T1_iil
    .private_segment_fixed_size: 256
    .sgpr_count:     78
    .sgpr_spill_count: 0
    .symbol:         _ZN9rocsolver6v33100L18trti2_kernel_smallILi61EfPfEEv13rocblas_fill_17rocblas_diagonal_T1_iil.kd
    .uniform_work_group_size: 1
    .uses_dynamic_stack: false
    .vgpr_count:     185
    .vgpr_spill_count: 0
    .wavefront_size: 64
  - .args:
      - .offset:         0
        .size:           4
        .value_kind:     by_value
      - .offset:         4
        .size:           4
        .value_kind:     by_value
      - .address_space:  global
        .offset:         8
        .size:           8
        .value_kind:     global_buffer
      - .offset:         16
        .size:           4
        .value_kind:     by_value
      - .offset:         20
        .size:           4
        .value_kind:     by_value
      - .offset:         24
        .size:           8
        .value_kind:     by_value
    .group_segment_fixed_size: 504
    .kernarg_segment_align: 8
    .kernarg_segment_size: 32
    .language:       OpenCL C
    .language_version:
      - 2
      - 0
    .max_flat_workgroup_size: 64
    .name:           _ZN9rocsolver6v33100L18trti2_kernel_smallILi62EfPfEEv13rocblas_fill_17rocblas_diagonal_T1_iil
    .private_segment_fixed_size: 256
    .sgpr_count:     79
    .sgpr_spill_count: 0
    .symbol:         _ZN9rocsolver6v33100L18trti2_kernel_smallILi62EfPfEEv13rocblas_fill_17rocblas_diagonal_T1_iil.kd
    .uniform_work_group_size: 1
    .uses_dynamic_stack: false
    .vgpr_count:     188
    .vgpr_spill_count: 0
    .wavefront_size: 64
  - .args:
      - .offset:         0
        .size:           4
        .value_kind:     by_value
      - .offset:         4
        .size:           4
        .value_kind:     by_value
      - .address_space:  global
        .offset:         8
        .size:           8
        .value_kind:     global_buffer
      - .offset:         16
        .size:           4
        .value_kind:     by_value
      - .offset:         20
        .size:           4
        .value_kind:     by_value
      - .offset:         24
        .size:           8
        .value_kind:     by_value
    .group_segment_fixed_size: 508
    .kernarg_segment_align: 8
    .kernarg_segment_size: 32
    .language:       OpenCL C
    .language_version:
      - 2
      - 0
    .max_flat_workgroup_size: 64
    .name:           _ZN9rocsolver6v33100L18trti2_kernel_smallILi63EfPfEEv13rocblas_fill_17rocblas_diagonal_T1_iil
    .private_segment_fixed_size: 256
    .sgpr_count:     80
    .sgpr_spill_count: 0
    .symbol:         _ZN9rocsolver6v33100L18trti2_kernel_smallILi63EfPfEEv13rocblas_fill_17rocblas_diagonal_T1_iil.kd
    .uniform_work_group_size: 1
    .uses_dynamic_stack: false
    .vgpr_count:     191
    .vgpr_spill_count: 0
    .wavefront_size: 64
  - .args:
      - .offset:         0
        .size:           4
        .value_kind:     by_value
      - .offset:         4
        .size:           4
        .value_kind:     by_value
      - .address_space:  global
        .offset:         8
        .size:           8
        .value_kind:     global_buffer
      - .offset:         16
        .size:           4
        .value_kind:     by_value
      - .offset:         20
        .size:           4
        .value_kind:     by_value
      - .offset:         24
        .size:           8
        .value_kind:     by_value
    .group_segment_fixed_size: 512
    .kernarg_segment_align: 8
    .kernarg_segment_size: 32
    .language:       OpenCL C
    .language_version:
      - 2
      - 0
    .max_flat_workgroup_size: 64
    .name:           _ZN9rocsolver6v33100L18trti2_kernel_smallILi64EfPfEEv13rocblas_fill_17rocblas_diagonal_T1_iil
    .private_segment_fixed_size: 272
    .sgpr_count:     81
    .sgpr_spill_count: 0
    .symbol:         _ZN9rocsolver6v33100L18trti2_kernel_smallILi64EfPfEEv13rocblas_fill_17rocblas_diagonal_T1_iil.kd
    .uniform_work_group_size: 1
    .uses_dynamic_stack: false
    .vgpr_count:     194
    .vgpr_spill_count: 0
    .wavefront_size: 64
  - .args:
      - .offset:         0
        .size:           4
        .value_kind:     by_value
      - .offset:         4
        .size:           4
        .value_kind:     by_value
      - .address_space:  global
        .offset:         8
        .size:           8
        .value_kind:     global_buffer
      - .offset:         16
        .size:           4
        .value_kind:     by_value
      - .offset:         20
        .size:           4
        .value_kind:     by_value
      - .offset:         24
        .size:           8
        .value_kind:     by_value
    .group_segment_fixed_size: 0
    .kernarg_segment_align: 8
    .kernarg_segment_size: 32
    .language:       OpenCL C
    .language_version:
      - 2
      - 0
    .max_flat_workgroup_size: 64
    .name:           _ZN9rocsolver6v33100L18trti2_kernel_smallILi1EfPKPfEEv13rocblas_fill_17rocblas_diagonal_T1_iil
    .private_segment_fixed_size: 0
    .sgpr_count:     12
    .sgpr_spill_count: 0
    .symbol:         _ZN9rocsolver6v33100L18trti2_kernel_smallILi1EfPKPfEEv13rocblas_fill_17rocblas_diagonal_T1_iil.kd
    .uniform_work_group_size: 1
    .uses_dynamic_stack: false
    .vgpr_count:     8
    .vgpr_spill_count: 0
    .wavefront_size: 64
  - .args:
      - .offset:         0
        .size:           4
        .value_kind:     by_value
      - .offset:         4
        .size:           4
        .value_kind:     by_value
      - .address_space:  global
        .offset:         8
        .size:           8
        .value_kind:     global_buffer
      - .offset:         16
        .size:           4
        .value_kind:     by_value
      - .offset:         20
        .size:           4
        .value_kind:     by_value
      - .offset:         24
        .size:           8
        .value_kind:     by_value
    .group_segment_fixed_size: 16
    .kernarg_segment_align: 8
    .kernarg_segment_size: 32
    .language:       OpenCL C
    .language_version:
      - 2
      - 0
    .max_flat_workgroup_size: 64
    .name:           _ZN9rocsolver6v33100L18trti2_kernel_smallILi2EfPKPfEEv13rocblas_fill_17rocblas_diagonal_T1_iil
    .private_segment_fixed_size: 0
    .sgpr_count:     16
    .sgpr_spill_count: 0
    .symbol:         _ZN9rocsolver6v33100L18trti2_kernel_smallILi2EfPKPfEEv13rocblas_fill_17rocblas_diagonal_T1_iil.kd
    .uniform_work_group_size: 1
    .uses_dynamic_stack: false
    .vgpr_count:     14
    .vgpr_spill_count: 0
    .wavefront_size: 64
  - .args:
      - .offset:         0
        .size:           4
        .value_kind:     by_value
      - .offset:         4
        .size:           4
        .value_kind:     by_value
      - .address_space:  global
        .offset:         8
        .size:           8
        .value_kind:     global_buffer
      - .offset:         16
        .size:           4
        .value_kind:     by_value
      - .offset:         20
        .size:           4
        .value_kind:     by_value
      - .offset:         24
        .size:           8
        .value_kind:     by_value
    .group_segment_fixed_size: 28
    .kernarg_segment_align: 8
    .kernarg_segment_size: 32
    .language:       OpenCL C
    .language_version:
      - 2
      - 0
    .max_flat_workgroup_size: 64
    .name:           _ZN9rocsolver6v33100L18trti2_kernel_smallILi3EfPKPfEEv13rocblas_fill_17rocblas_diagonal_T1_iil
    .private_segment_fixed_size: 0
    .sgpr_count:     16
    .sgpr_spill_count: 0
    .symbol:         _ZN9rocsolver6v33100L18trti2_kernel_smallILi3EfPKPfEEv13rocblas_fill_17rocblas_diagonal_T1_iil.kd
    .uniform_work_group_size: 1
    .uses_dynamic_stack: false
    .vgpr_count:     17
    .vgpr_spill_count: 0
    .wavefront_size: 64
  - .args:
      - .offset:         0
        .size:           4
        .value_kind:     by_value
      - .offset:         4
        .size:           4
        .value_kind:     by_value
      - .address_space:  global
        .offset:         8
        .size:           8
        .value_kind:     global_buffer
      - .offset:         16
        .size:           4
        .value_kind:     by_value
      - .offset:         20
        .size:           4
        .value_kind:     by_value
      - .offset:         24
        .size:           8
        .value_kind:     by_value
    .group_segment_fixed_size: 32
    .kernarg_segment_align: 8
    .kernarg_segment_size: 32
    .language:       OpenCL C
    .language_version:
      - 2
      - 0
    .max_flat_workgroup_size: 64
    .name:           _ZN9rocsolver6v33100L18trti2_kernel_smallILi4EfPKPfEEv13rocblas_fill_17rocblas_diagonal_T1_iil
    .private_segment_fixed_size: 0
    .sgpr_count:     18
    .sgpr_spill_count: 0
    .symbol:         _ZN9rocsolver6v33100L18trti2_kernel_smallILi4EfPKPfEEv13rocblas_fill_17rocblas_diagonal_T1_iil.kd
    .uniform_work_group_size: 1
    .uses_dynamic_stack: false
    .vgpr_count:     30
    .vgpr_spill_count: 0
    .wavefront_size: 64
  - .args:
      - .offset:         0
        .size:           4
        .value_kind:     by_value
      - .offset:         4
        .size:           4
        .value_kind:     by_value
      - .address_space:  global
        .offset:         8
        .size:           8
        .value_kind:     global_buffer
      - .offset:         16
        .size:           4
        .value_kind:     by_value
      - .offset:         20
        .size:           4
        .value_kind:     by_value
      - .offset:         24
        .size:           8
        .value_kind:     by_value
    .group_segment_fixed_size: 52
    .kernarg_segment_align: 8
    .kernarg_segment_size: 32
    .language:       OpenCL C
    .language_version:
      - 2
      - 0
    .max_flat_workgroup_size: 64
    .name:           _ZN9rocsolver6v33100L18trti2_kernel_smallILi5EfPKPfEEv13rocblas_fill_17rocblas_diagonal_T1_iil
    .private_segment_fixed_size: 0
    .sgpr_count:     20
    .sgpr_spill_count: 0
    .symbol:         _ZN9rocsolver6v33100L18trti2_kernel_smallILi5EfPKPfEEv13rocblas_fill_17rocblas_diagonal_T1_iil.kd
    .uniform_work_group_size: 1
    .uses_dynamic_stack: false
    .vgpr_count:     35
    .vgpr_spill_count: 0
    .wavefront_size: 64
  - .args:
      - .offset:         0
        .size:           4
        .value_kind:     by_value
      - .offset:         4
        .size:           4
        .value_kind:     by_value
      - .address_space:  global
        .offset:         8
        .size:           8
        .value_kind:     global_buffer
      - .offset:         16
        .size:           4
        .value_kind:     by_value
      - .offset:         20
        .size:           4
        .value_kind:     by_value
      - .offset:         24
        .size:           8
        .value_kind:     by_value
    .group_segment_fixed_size: 56
    .kernarg_segment_align: 8
    .kernarg_segment_size: 32
    .language:       OpenCL C
    .language_version:
      - 2
      - 0
    .max_flat_workgroup_size: 64
    .name:           _ZN9rocsolver6v33100L18trti2_kernel_smallILi6EfPKPfEEv13rocblas_fill_17rocblas_diagonal_T1_iil
    .private_segment_fixed_size: 0
    .sgpr_count:     22
    .sgpr_spill_count: 0
    .symbol:         _ZN9rocsolver6v33100L18trti2_kernel_smallILi6EfPKPfEEv13rocblas_fill_17rocblas_diagonal_T1_iil.kd
    .uniform_work_group_size: 1
    .uses_dynamic_stack: false
    .vgpr_count:     39
    .vgpr_spill_count: 0
    .wavefront_size: 64
  - .args:
      - .offset:         0
        .size:           4
        .value_kind:     by_value
      - .offset:         4
        .size:           4
        .value_kind:     by_value
      - .address_space:  global
        .offset:         8
        .size:           8
        .value_kind:     global_buffer
      - .offset:         16
        .size:           4
        .value_kind:     by_value
      - .offset:         20
        .size:           4
        .value_kind:     by_value
      - .offset:         24
        .size:           8
        .value_kind:     by_value
    .group_segment_fixed_size: 60
    .kernarg_segment_align: 8
    .kernarg_segment_size: 32
    .language:       OpenCL C
    .language_version:
      - 2
      - 0
    .max_flat_workgroup_size: 64
    .name:           _ZN9rocsolver6v33100L18trti2_kernel_smallILi7EfPKPfEEv13rocblas_fill_17rocblas_diagonal_T1_iil
    .private_segment_fixed_size: 0
    .sgpr_count:     24
    .sgpr_spill_count: 0
    .symbol:         _ZN9rocsolver6v33100L18trti2_kernel_smallILi7EfPKPfEEv13rocblas_fill_17rocblas_diagonal_T1_iil.kd
    .uniform_work_group_size: 1
    .uses_dynamic_stack: false
    .vgpr_count:     43
    .vgpr_spill_count: 0
    .wavefront_size: 64
  - .args:
      - .offset:         0
        .size:           4
        .value_kind:     by_value
      - .offset:         4
        .size:           4
        .value_kind:     by_value
      - .address_space:  global
        .offset:         8
        .size:           8
        .value_kind:     global_buffer
      - .offset:         16
        .size:           4
        .value_kind:     by_value
      - .offset:         20
        .size:           4
        .value_kind:     by_value
      - .offset:         24
        .size:           8
        .value_kind:     by_value
    .group_segment_fixed_size: 64
    .kernarg_segment_align: 8
    .kernarg_segment_size: 32
    .language:       OpenCL C
    .language_version:
      - 2
      - 0
    .max_flat_workgroup_size: 64
    .name:           _ZN9rocsolver6v33100L18trti2_kernel_smallILi8EfPKPfEEv13rocblas_fill_17rocblas_diagonal_T1_iil
    .private_segment_fixed_size: 0
    .sgpr_count:     26
    .sgpr_spill_count: 0
    .symbol:         _ZN9rocsolver6v33100L18trti2_kernel_smallILi8EfPKPfEEv13rocblas_fill_17rocblas_diagonal_T1_iil.kd
    .uniform_work_group_size: 1
    .uses_dynamic_stack: false
    .vgpr_count:     47
    .vgpr_spill_count: 0
    .wavefront_size: 64
  - .args:
      - .offset:         0
        .size:           4
        .value_kind:     by_value
      - .offset:         4
        .size:           4
        .value_kind:     by_value
      - .address_space:  global
        .offset:         8
        .size:           8
        .value_kind:     global_buffer
      - .offset:         16
        .size:           4
        .value_kind:     by_value
      - .offset:         20
        .size:           4
        .value_kind:     by_value
      - .offset:         24
        .size:           8
        .value_kind:     by_value
    .group_segment_fixed_size: 84
    .kernarg_segment_align: 8
    .kernarg_segment_size: 32
    .language:       OpenCL C
    .language_version:
      - 2
      - 0
    .max_flat_workgroup_size: 64
    .name:           _ZN9rocsolver6v33100L18trti2_kernel_smallILi9EfPKPfEEv13rocblas_fill_17rocblas_diagonal_T1_iil
    .private_segment_fixed_size: 0
    .sgpr_count:     28
    .sgpr_spill_count: 0
    .symbol:         _ZN9rocsolver6v33100L18trti2_kernel_smallILi9EfPKPfEEv13rocblas_fill_17rocblas_diagonal_T1_iil.kd
    .uniform_work_group_size: 1
    .uses_dynamic_stack: false
    .vgpr_count:     56
    .vgpr_spill_count: 0
    .wavefront_size: 64
  - .args:
      - .offset:         0
        .size:           4
        .value_kind:     by_value
      - .offset:         4
        .size:           4
        .value_kind:     by_value
      - .address_space:  global
        .offset:         8
        .size:           8
        .value_kind:     global_buffer
      - .offset:         16
        .size:           4
        .value_kind:     by_value
      - .offset:         20
        .size:           4
        .value_kind:     by_value
      - .offset:         24
        .size:           8
        .value_kind:     by_value
    .group_segment_fixed_size: 88
    .kernarg_segment_align: 8
    .kernarg_segment_size: 32
    .language:       OpenCL C
    .language_version:
      - 2
      - 0
    .max_flat_workgroup_size: 64
    .name:           _ZN9rocsolver6v33100L18trti2_kernel_smallILi10EfPKPfEEv13rocblas_fill_17rocblas_diagonal_T1_iil
    .private_segment_fixed_size: 0
    .sgpr_count:     30
    .sgpr_spill_count: 0
    .symbol:         _ZN9rocsolver6v33100L18trti2_kernel_smallILi10EfPKPfEEv13rocblas_fill_17rocblas_diagonal_T1_iil.kd
    .uniform_work_group_size: 1
    .uses_dynamic_stack: false
    .vgpr_count:     60
    .vgpr_spill_count: 0
    .wavefront_size: 64
  - .args:
      - .offset:         0
        .size:           4
        .value_kind:     by_value
      - .offset:         4
        .size:           4
        .value_kind:     by_value
      - .address_space:  global
        .offset:         8
        .size:           8
        .value_kind:     global_buffer
      - .offset:         16
        .size:           4
        .value_kind:     by_value
      - .offset:         20
        .size:           4
        .value_kind:     by_value
      - .offset:         24
        .size:           8
        .value_kind:     by_value
    .group_segment_fixed_size: 92
    .kernarg_segment_align: 8
    .kernarg_segment_size: 32
    .language:       OpenCL C
    .language_version:
      - 2
      - 0
    .max_flat_workgroup_size: 64
    .name:           _ZN9rocsolver6v33100L18trti2_kernel_smallILi11EfPKPfEEv13rocblas_fill_17rocblas_diagonal_T1_iil
    .private_segment_fixed_size: 0
    .sgpr_count:     32
    .sgpr_spill_count: 0
    .symbol:         _ZN9rocsolver6v33100L18trti2_kernel_smallILi11EfPKPfEEv13rocblas_fill_17rocblas_diagonal_T1_iil.kd
    .uniform_work_group_size: 1
    .uses_dynamic_stack: false
    .vgpr_count:     64
    .vgpr_spill_count: 0
    .wavefront_size: 64
  - .args:
      - .offset:         0
        .size:           4
        .value_kind:     by_value
      - .offset:         4
        .size:           4
        .value_kind:     by_value
      - .address_space:  global
        .offset:         8
        .size:           8
        .value_kind:     global_buffer
      - .offset:         16
        .size:           4
        .value_kind:     by_value
      - .offset:         20
        .size:           4
        .value_kind:     by_value
      - .offset:         24
        .size:           8
        .value_kind:     by_value
    .group_segment_fixed_size: 96
    .kernarg_segment_align: 8
    .kernarg_segment_size: 32
    .language:       OpenCL C
    .language_version:
      - 2
      - 0
    .max_flat_workgroup_size: 64
    .name:           _ZN9rocsolver6v33100L18trti2_kernel_smallILi12EfPKPfEEv13rocblas_fill_17rocblas_diagonal_T1_iil
    .private_segment_fixed_size: 0
    .sgpr_count:     34
    .sgpr_spill_count: 0
    .symbol:         _ZN9rocsolver6v33100L18trti2_kernel_smallILi12EfPKPfEEv13rocblas_fill_17rocblas_diagonal_T1_iil.kd
    .uniform_work_group_size: 1
    .uses_dynamic_stack: false
    .vgpr_count:     63
    .vgpr_spill_count: 0
    .wavefront_size: 64
  - .args:
      - .offset:         0
        .size:           4
        .value_kind:     by_value
      - .offset:         4
        .size:           4
        .value_kind:     by_value
      - .address_space:  global
        .offset:         8
        .size:           8
        .value_kind:     global_buffer
      - .offset:         16
        .size:           4
        .value_kind:     by_value
      - .offset:         20
        .size:           4
        .value_kind:     by_value
      - .offset:         24
        .size:           8
        .value_kind:     by_value
    .group_segment_fixed_size: 116
    .kernarg_segment_align: 8
    .kernarg_segment_size: 32
    .language:       OpenCL C
    .language_version:
      - 2
      - 0
    .max_flat_workgroup_size: 64
    .name:           _ZN9rocsolver6v33100L18trti2_kernel_smallILi13EfPKPfEEv13rocblas_fill_17rocblas_diagonal_T1_iil
    .private_segment_fixed_size: 0
    .sgpr_count:     36
    .sgpr_spill_count: 0
    .symbol:         _ZN9rocsolver6v33100L18trti2_kernel_smallILi13EfPKPfEEv13rocblas_fill_17rocblas_diagonal_T1_iil.kd
    .uniform_work_group_size: 1
    .uses_dynamic_stack: false
    .vgpr_count:     78
    .vgpr_spill_count: 0
    .wavefront_size: 64
  - .args:
      - .offset:         0
        .size:           4
        .value_kind:     by_value
      - .offset:         4
        .size:           4
        .value_kind:     by_value
      - .address_space:  global
        .offset:         8
        .size:           8
        .value_kind:     global_buffer
      - .offset:         16
        .size:           4
        .value_kind:     by_value
      - .offset:         20
        .size:           4
        .value_kind:     by_value
      - .offset:         24
        .size:           8
        .value_kind:     by_value
    .group_segment_fixed_size: 120
    .kernarg_segment_align: 8
    .kernarg_segment_size: 32
    .language:       OpenCL C
    .language_version:
      - 2
      - 0
    .max_flat_workgroup_size: 64
    .name:           _ZN9rocsolver6v33100L18trti2_kernel_smallILi14EfPKPfEEv13rocblas_fill_17rocblas_diagonal_T1_iil
    .private_segment_fixed_size: 0
    .sgpr_count:     40
    .sgpr_spill_count: 0
    .symbol:         _ZN9rocsolver6v33100L18trti2_kernel_smallILi14EfPKPfEEv13rocblas_fill_17rocblas_diagonal_T1_iil.kd
    .uniform_work_group_size: 1
    .uses_dynamic_stack: false
    .vgpr_count:     80
    .vgpr_spill_count: 0
    .wavefront_size: 64
  - .args:
      - .offset:         0
        .size:           4
        .value_kind:     by_value
      - .offset:         4
        .size:           4
        .value_kind:     by_value
      - .address_space:  global
        .offset:         8
        .size:           8
        .value_kind:     global_buffer
      - .offset:         16
        .size:           4
        .value_kind:     by_value
      - .offset:         20
        .size:           4
        .value_kind:     by_value
      - .offset:         24
        .size:           8
        .value_kind:     by_value
    .group_segment_fixed_size: 124
    .kernarg_segment_align: 8
    .kernarg_segment_size: 32
    .language:       OpenCL C
    .language_version:
      - 2
      - 0
    .max_flat_workgroup_size: 64
    .name:           _ZN9rocsolver6v33100L18trti2_kernel_smallILi15EfPKPfEEv13rocblas_fill_17rocblas_diagonal_T1_iil
    .private_segment_fixed_size: 0
    .sgpr_count:     44
    .sgpr_spill_count: 0
    .symbol:         _ZN9rocsolver6v33100L18trti2_kernel_smallILi15EfPKPfEEv13rocblas_fill_17rocblas_diagonal_T1_iil.kd
    .uniform_work_group_size: 1
    .uses_dynamic_stack: false
    .vgpr_count:     82
    .vgpr_spill_count: 0
    .wavefront_size: 64
  - .args:
      - .offset:         0
        .size:           4
        .value_kind:     by_value
      - .offset:         4
        .size:           4
        .value_kind:     by_value
      - .address_space:  global
        .offset:         8
        .size:           8
        .value_kind:     global_buffer
      - .offset:         16
        .size:           4
        .value_kind:     by_value
      - .offset:         20
        .size:           4
        .value_kind:     by_value
      - .offset:         24
        .size:           8
        .value_kind:     by_value
    .group_segment_fixed_size: 128
    .kernarg_segment_align: 8
    .kernarg_segment_size: 32
    .language:       OpenCL C
    .language_version:
      - 2
      - 0
    .max_flat_workgroup_size: 64
    .name:           _ZN9rocsolver6v33100L18trti2_kernel_smallILi16EfPKPfEEv13rocblas_fill_17rocblas_diagonal_T1_iil
    .private_segment_fixed_size: 0
    .sgpr_count:     44
    .sgpr_spill_count: 0
    .symbol:         _ZN9rocsolver6v33100L18trti2_kernel_smallILi16EfPKPfEEv13rocblas_fill_17rocblas_diagonal_T1_iil.kd
    .uniform_work_group_size: 1
    .uses_dynamic_stack: false
    .vgpr_count:     84
    .vgpr_spill_count: 0
    .wavefront_size: 64
  - .args:
      - .offset:         0
        .size:           4
        .value_kind:     by_value
      - .offset:         4
        .size:           4
        .value_kind:     by_value
      - .address_space:  global
        .offset:         8
        .size:           8
        .value_kind:     global_buffer
      - .offset:         16
        .size:           4
        .value_kind:     by_value
      - .offset:         20
        .size:           4
        .value_kind:     by_value
      - .offset:         24
        .size:           8
        .value_kind:     by_value
    .group_segment_fixed_size: 148
    .kernarg_segment_align: 8
    .kernarg_segment_size: 32
    .language:       OpenCL C
    .language_version:
      - 2
      - 0
    .max_flat_workgroup_size: 64
    .name:           _ZN9rocsolver6v33100L18trti2_kernel_smallILi17EfPKPfEEv13rocblas_fill_17rocblas_diagonal_T1_iil
    .private_segment_fixed_size: 0
    .sgpr_count:     46
    .sgpr_spill_count: 0
    .symbol:         _ZN9rocsolver6v33100L18trti2_kernel_smallILi17EfPKPfEEv13rocblas_fill_17rocblas_diagonal_T1_iil.kd
    .uniform_work_group_size: 1
    .uses_dynamic_stack: false
    .vgpr_count:     118
    .vgpr_spill_count: 0
    .wavefront_size: 64
  - .args:
      - .offset:         0
        .size:           4
        .value_kind:     by_value
      - .offset:         4
        .size:           4
        .value_kind:     by_value
      - .address_space:  global
        .offset:         8
        .size:           8
        .value_kind:     global_buffer
      - .offset:         16
        .size:           4
        .value_kind:     by_value
      - .offset:         20
        .size:           4
        .value_kind:     by_value
      - .offset:         24
        .size:           8
        .value_kind:     by_value
    .group_segment_fixed_size: 152
    .kernarg_segment_align: 8
    .kernarg_segment_size: 32
    .language:       OpenCL C
    .language_version:
      - 2
      - 0
    .max_flat_workgroup_size: 64
    .name:           _ZN9rocsolver6v33100L18trti2_kernel_smallILi18EfPKPfEEv13rocblas_fill_17rocblas_diagonal_T1_iil
    .private_segment_fixed_size: 0
    .sgpr_count:     48
    .sgpr_spill_count: 0
    .symbol:         _ZN9rocsolver6v33100L18trti2_kernel_smallILi18EfPKPfEEv13rocblas_fill_17rocblas_diagonal_T1_iil.kd
    .uniform_work_group_size: 1
    .uses_dynamic_stack: false
    .vgpr_count:     120
    .vgpr_spill_count: 0
    .wavefront_size: 64
  - .args:
      - .offset:         0
        .size:           4
        .value_kind:     by_value
      - .offset:         4
        .size:           4
        .value_kind:     by_value
      - .address_space:  global
        .offset:         8
        .size:           8
        .value_kind:     global_buffer
      - .offset:         16
        .size:           4
        .value_kind:     by_value
      - .offset:         20
        .size:           4
        .value_kind:     by_value
      - .offset:         24
        .size:           8
        .value_kind:     by_value
    .group_segment_fixed_size: 156
    .kernarg_segment_align: 8
    .kernarg_segment_size: 32
    .language:       OpenCL C
    .language_version:
      - 2
      - 0
    .max_flat_workgroup_size: 64
    .name:           _ZN9rocsolver6v33100L18trti2_kernel_smallILi19EfPKPfEEv13rocblas_fill_17rocblas_diagonal_T1_iil
    .private_segment_fixed_size: 0
    .sgpr_count:     50
    .sgpr_spill_count: 0
    .symbol:         _ZN9rocsolver6v33100L18trti2_kernel_smallILi19EfPKPfEEv13rocblas_fill_17rocblas_diagonal_T1_iil.kd
    .uniform_work_group_size: 1
    .uses_dynamic_stack: false
    .vgpr_count:     122
    .vgpr_spill_count: 0
    .wavefront_size: 64
  - .args:
      - .offset:         0
        .size:           4
        .value_kind:     by_value
      - .offset:         4
        .size:           4
        .value_kind:     by_value
      - .address_space:  global
        .offset:         8
        .size:           8
        .value_kind:     global_buffer
      - .offset:         16
        .size:           4
        .value_kind:     by_value
      - .offset:         20
        .size:           4
        .value_kind:     by_value
      - .offset:         24
        .size:           8
        .value_kind:     by_value
    .group_segment_fixed_size: 160
    .kernarg_segment_align: 8
    .kernarg_segment_size: 32
    .language:       OpenCL C
    .language_version:
      - 2
      - 0
    .max_flat_workgroup_size: 64
    .name:           _ZN9rocsolver6v33100L18trti2_kernel_smallILi20EfPKPfEEv13rocblas_fill_17rocblas_diagonal_T1_iil
    .private_segment_fixed_size: 0
    .sgpr_count:     52
    .sgpr_spill_count: 0
    .symbol:         _ZN9rocsolver6v33100L18trti2_kernel_smallILi20EfPKPfEEv13rocblas_fill_17rocblas_diagonal_T1_iil.kd
    .uniform_work_group_size: 1
    .uses_dynamic_stack: false
    .vgpr_count:     124
    .vgpr_spill_count: 0
    .wavefront_size: 64
  - .args:
      - .offset:         0
        .size:           4
        .value_kind:     by_value
      - .offset:         4
        .size:           4
        .value_kind:     by_value
      - .address_space:  global
        .offset:         8
        .size:           8
        .value_kind:     global_buffer
      - .offset:         16
        .size:           4
        .value_kind:     by_value
      - .offset:         20
        .size:           4
        .value_kind:     by_value
      - .offset:         24
        .size:           8
        .value_kind:     by_value
    .group_segment_fixed_size: 180
    .kernarg_segment_align: 8
    .kernarg_segment_size: 32
    .language:       OpenCL C
    .language_version:
      - 2
      - 0
    .max_flat_workgroup_size: 64
    .name:           _ZN9rocsolver6v33100L18trti2_kernel_smallILi21EfPKPfEEv13rocblas_fill_17rocblas_diagonal_T1_iil
    .private_segment_fixed_size: 0
    .sgpr_count:     54
    .sgpr_spill_count: 0
    .symbol:         _ZN9rocsolver6v33100L18trti2_kernel_smallILi21EfPKPfEEv13rocblas_fill_17rocblas_diagonal_T1_iil.kd
    .uniform_work_group_size: 1
    .uses_dynamic_stack: false
    .vgpr_count:     126
    .vgpr_spill_count: 0
    .wavefront_size: 64
  - .args:
      - .offset:         0
        .size:           4
        .value_kind:     by_value
      - .offset:         4
        .size:           4
        .value_kind:     by_value
      - .address_space:  global
        .offset:         8
        .size:           8
        .value_kind:     global_buffer
      - .offset:         16
        .size:           4
        .value_kind:     by_value
      - .offset:         20
        .size:           4
        .value_kind:     by_value
      - .offset:         24
        .size:           8
        .value_kind:     by_value
    .group_segment_fixed_size: 184
    .kernarg_segment_align: 8
    .kernarg_segment_size: 32
    .language:       OpenCL C
    .language_version:
      - 2
      - 0
    .max_flat_workgroup_size: 64
    .name:           _ZN9rocsolver6v33100L18trti2_kernel_smallILi22EfPKPfEEv13rocblas_fill_17rocblas_diagonal_T1_iil
    .private_segment_fixed_size: 0
    .sgpr_count:     56
    .sgpr_spill_count: 0
    .symbol:         _ZN9rocsolver6v33100L18trti2_kernel_smallILi22EfPKPfEEv13rocblas_fill_17rocblas_diagonal_T1_iil.kd
    .uniform_work_group_size: 1
    .uses_dynamic_stack: false
    .vgpr_count:     128
    .vgpr_spill_count: 0
    .wavefront_size: 64
  - .args:
      - .offset:         0
        .size:           4
        .value_kind:     by_value
      - .offset:         4
        .size:           4
        .value_kind:     by_value
      - .address_space:  global
        .offset:         8
        .size:           8
        .value_kind:     global_buffer
      - .offset:         16
        .size:           4
        .value_kind:     by_value
      - .offset:         20
        .size:           4
        .value_kind:     by_value
      - .offset:         24
        .size:           8
        .value_kind:     by_value
    .group_segment_fixed_size: 188
    .kernarg_segment_align: 8
    .kernarg_segment_size: 32
    .language:       OpenCL C
    .language_version:
      - 2
      - 0
    .max_flat_workgroup_size: 64
    .name:           _ZN9rocsolver6v33100L18trti2_kernel_smallILi23EfPKPfEEv13rocblas_fill_17rocblas_diagonal_T1_iil
    .private_segment_fixed_size: 0
    .sgpr_count:     58
    .sgpr_spill_count: 0
    .symbol:         _ZN9rocsolver6v33100L18trti2_kernel_smallILi23EfPKPfEEv13rocblas_fill_17rocblas_diagonal_T1_iil.kd
    .uniform_work_group_size: 1
    .uses_dynamic_stack: false
    .vgpr_count:     128
    .vgpr_spill_count: 0
    .wavefront_size: 64
  - .args:
      - .offset:         0
        .size:           4
        .value_kind:     by_value
      - .offset:         4
        .size:           4
        .value_kind:     by_value
      - .address_space:  global
        .offset:         8
        .size:           8
        .value_kind:     global_buffer
      - .offset:         16
        .size:           4
        .value_kind:     by_value
      - .offset:         20
        .size:           4
        .value_kind:     by_value
      - .offset:         24
        .size:           8
        .value_kind:     by_value
    .group_segment_fixed_size: 192
    .kernarg_segment_align: 8
    .kernarg_segment_size: 32
    .language:       OpenCL C
    .language_version:
      - 2
      - 0
    .max_flat_workgroup_size: 64
    .name:           _ZN9rocsolver6v33100L18trti2_kernel_smallILi24EfPKPfEEv13rocblas_fill_17rocblas_diagonal_T1_iil
    .private_segment_fixed_size: 0
    .sgpr_count:     60
    .sgpr_spill_count: 0
    .symbol:         _ZN9rocsolver6v33100L18trti2_kernel_smallILi24EfPKPfEEv13rocblas_fill_17rocblas_diagonal_T1_iil.kd
    .uniform_work_group_size: 1
    .uses_dynamic_stack: false
    .vgpr_count:     127
    .vgpr_spill_count: 0
    .wavefront_size: 64
  - .args:
      - .offset:         0
        .size:           4
        .value_kind:     by_value
      - .offset:         4
        .size:           4
        .value_kind:     by_value
      - .address_space:  global
        .offset:         8
        .size:           8
        .value_kind:     global_buffer
      - .offset:         16
        .size:           4
        .value_kind:     by_value
      - .offset:         20
        .size:           4
        .value_kind:     by_value
      - .offset:         24
        .size:           8
        .value_kind:     by_value
    .group_segment_fixed_size: 212
    .kernarg_segment_align: 8
    .kernarg_segment_size: 32
    .language:       OpenCL C
    .language_version:
      - 2
      - 0
    .max_flat_workgroup_size: 64
    .name:           _ZN9rocsolver6v33100L18trti2_kernel_smallILi25EfPKPfEEv13rocblas_fill_17rocblas_diagonal_T1_iil
    .private_segment_fixed_size: 0
    .sgpr_count:     62
    .sgpr_spill_count: 0
    .symbol:         _ZN9rocsolver6v33100L18trti2_kernel_smallILi25EfPKPfEEv13rocblas_fill_17rocblas_diagonal_T1_iil.kd
    .uniform_work_group_size: 1
    .uses_dynamic_stack: false
    .vgpr_count:     134
    .vgpr_spill_count: 0
    .wavefront_size: 64
  - .args:
      - .offset:         0
        .size:           4
        .value_kind:     by_value
      - .offset:         4
        .size:           4
        .value_kind:     by_value
      - .address_space:  global
        .offset:         8
        .size:           8
        .value_kind:     global_buffer
      - .offset:         16
        .size:           4
        .value_kind:     by_value
      - .offset:         20
        .size:           4
        .value_kind:     by_value
      - .offset:         24
        .size:           8
        .value_kind:     by_value
    .group_segment_fixed_size: 216
    .kernarg_segment_align: 8
    .kernarg_segment_size: 32
    .language:       OpenCL C
    .language_version:
      - 2
      - 0
    .max_flat_workgroup_size: 64
    .name:           _ZN9rocsolver6v33100L18trti2_kernel_smallILi26EfPKPfEEv13rocblas_fill_17rocblas_diagonal_T1_iil
    .private_segment_fixed_size: 0
    .sgpr_count:     64
    .sgpr_spill_count: 0
    .symbol:         _ZN9rocsolver6v33100L18trti2_kernel_smallILi26EfPKPfEEv13rocblas_fill_17rocblas_diagonal_T1_iil.kd
    .uniform_work_group_size: 1
    .uses_dynamic_stack: false
    .vgpr_count:     136
    .vgpr_spill_count: 0
    .wavefront_size: 64
  - .args:
      - .offset:         0
        .size:           4
        .value_kind:     by_value
      - .offset:         4
        .size:           4
        .value_kind:     by_value
      - .address_space:  global
        .offset:         8
        .size:           8
        .value_kind:     global_buffer
      - .offset:         16
        .size:           4
        .value_kind:     by_value
      - .offset:         20
        .size:           4
        .value_kind:     by_value
      - .offset:         24
        .size:           8
        .value_kind:     by_value
    .group_segment_fixed_size: 220
    .kernarg_segment_align: 8
    .kernarg_segment_size: 32
    .language:       OpenCL C
    .language_version:
      - 2
      - 0
    .max_flat_workgroup_size: 64
    .name:           _ZN9rocsolver6v33100L18trti2_kernel_smallILi27EfPKPfEEv13rocblas_fill_17rocblas_diagonal_T1_iil
    .private_segment_fixed_size: 0
    .sgpr_count:     66
    .sgpr_spill_count: 0
    .symbol:         _ZN9rocsolver6v33100L18trti2_kernel_smallILi27EfPKPfEEv13rocblas_fill_17rocblas_diagonal_T1_iil.kd
    .uniform_work_group_size: 1
    .uses_dynamic_stack: false
    .vgpr_count:     138
    .vgpr_spill_count: 0
    .wavefront_size: 64
  - .args:
      - .offset:         0
        .size:           4
        .value_kind:     by_value
      - .offset:         4
        .size:           4
        .value_kind:     by_value
      - .address_space:  global
        .offset:         8
        .size:           8
        .value_kind:     global_buffer
      - .offset:         16
        .size:           4
        .value_kind:     by_value
      - .offset:         20
        .size:           4
        .value_kind:     by_value
      - .offset:         24
        .size:           8
        .value_kind:     by_value
    .group_segment_fixed_size: 224
    .kernarg_segment_align: 8
    .kernarg_segment_size: 32
    .language:       OpenCL C
    .language_version:
      - 2
      - 0
    .max_flat_workgroup_size: 64
    .name:           _ZN9rocsolver6v33100L18trti2_kernel_smallILi28EfPKPfEEv13rocblas_fill_17rocblas_diagonal_T1_iil
    .private_segment_fixed_size: 0
    .sgpr_count:     68
    .sgpr_spill_count: 0
    .symbol:         _ZN9rocsolver6v33100L18trti2_kernel_smallILi28EfPKPfEEv13rocblas_fill_17rocblas_diagonal_T1_iil.kd
    .uniform_work_group_size: 1
    .uses_dynamic_stack: false
    .vgpr_count:     140
    .vgpr_spill_count: 0
    .wavefront_size: 64
  - .args:
      - .offset:         0
        .size:           4
        .value_kind:     by_value
      - .offset:         4
        .size:           4
        .value_kind:     by_value
      - .address_space:  global
        .offset:         8
        .size:           8
        .value_kind:     global_buffer
      - .offset:         16
        .size:           4
        .value_kind:     by_value
      - .offset:         20
        .size:           4
        .value_kind:     by_value
      - .offset:         24
        .size:           8
        .value_kind:     by_value
    .group_segment_fixed_size: 244
    .kernarg_segment_align: 8
    .kernarg_segment_size: 32
    .language:       OpenCL C
    .language_version:
      - 2
      - 0
    .max_flat_workgroup_size: 64
    .name:           _ZN9rocsolver6v33100L18trti2_kernel_smallILi29EfPKPfEEv13rocblas_fill_17rocblas_diagonal_T1_iil
    .private_segment_fixed_size: 0
    .sgpr_count:     70
    .sgpr_spill_count: 0
    .symbol:         _ZN9rocsolver6v33100L18trti2_kernel_smallILi29EfPKPfEEv13rocblas_fill_17rocblas_diagonal_T1_iil.kd
    .uniform_work_group_size: 1
    .uses_dynamic_stack: false
    .vgpr_count:     142
    .vgpr_spill_count: 0
    .wavefront_size: 64
  - .args:
      - .offset:         0
        .size:           4
        .value_kind:     by_value
      - .offset:         4
        .size:           4
        .value_kind:     by_value
      - .address_space:  global
        .offset:         8
        .size:           8
        .value_kind:     global_buffer
      - .offset:         16
        .size:           4
        .value_kind:     by_value
      - .offset:         20
        .size:           4
        .value_kind:     by_value
      - .offset:         24
        .size:           8
        .value_kind:     by_value
    .group_segment_fixed_size: 248
    .kernarg_segment_align: 8
    .kernarg_segment_size: 32
    .language:       OpenCL C
    .language_version:
      - 2
      - 0
    .max_flat_workgroup_size: 64
    .name:           _ZN9rocsolver6v33100L18trti2_kernel_smallILi30EfPKPfEEv13rocblas_fill_17rocblas_diagonal_T1_iil
    .private_segment_fixed_size: 0
    .sgpr_count:     72
    .sgpr_spill_count: 0
    .symbol:         _ZN9rocsolver6v33100L18trti2_kernel_smallILi30EfPKPfEEv13rocblas_fill_17rocblas_diagonal_T1_iil.kd
    .uniform_work_group_size: 1
    .uses_dynamic_stack: false
    .vgpr_count:     144
    .vgpr_spill_count: 0
    .wavefront_size: 64
  - .args:
      - .offset:         0
        .size:           4
        .value_kind:     by_value
      - .offset:         4
        .size:           4
        .value_kind:     by_value
      - .address_space:  global
        .offset:         8
        .size:           8
        .value_kind:     global_buffer
      - .offset:         16
        .size:           4
        .value_kind:     by_value
      - .offset:         20
        .size:           4
        .value_kind:     by_value
      - .offset:         24
        .size:           8
        .value_kind:     by_value
    .group_segment_fixed_size: 252
    .kernarg_segment_align: 8
    .kernarg_segment_size: 32
    .language:       OpenCL C
    .language_version:
      - 2
      - 0
    .max_flat_workgroup_size: 64
    .name:           _ZN9rocsolver6v33100L18trti2_kernel_smallILi31EfPKPfEEv13rocblas_fill_17rocblas_diagonal_T1_iil
    .private_segment_fixed_size: 0
    .sgpr_count:     74
    .sgpr_spill_count: 0
    .symbol:         _ZN9rocsolver6v33100L18trti2_kernel_smallILi31EfPKPfEEv13rocblas_fill_17rocblas_diagonal_T1_iil.kd
    .uniform_work_group_size: 1
    .uses_dynamic_stack: false
    .vgpr_count:     146
    .vgpr_spill_count: 0
    .wavefront_size: 64
  - .args:
      - .offset:         0
        .size:           4
        .value_kind:     by_value
      - .offset:         4
        .size:           4
        .value_kind:     by_value
      - .address_space:  global
        .offset:         8
        .size:           8
        .value_kind:     global_buffer
      - .offset:         16
        .size:           4
        .value_kind:     by_value
      - .offset:         20
        .size:           4
        .value_kind:     by_value
      - .offset:         24
        .size:           8
        .value_kind:     by_value
    .group_segment_fixed_size: 256
    .kernarg_segment_align: 8
    .kernarg_segment_size: 32
    .language:       OpenCL C
    .language_version:
      - 2
      - 0
    .max_flat_workgroup_size: 64
    .name:           _ZN9rocsolver6v33100L18trti2_kernel_smallILi32EfPKPfEEv13rocblas_fill_17rocblas_diagonal_T1_iil
    .private_segment_fixed_size: 0
    .sgpr_count:     76
    .sgpr_spill_count: 0
    .symbol:         _ZN9rocsolver6v33100L18trti2_kernel_smallILi32EfPKPfEEv13rocblas_fill_17rocblas_diagonal_T1_iil.kd
    .uniform_work_group_size: 1
    .uses_dynamic_stack: false
    .vgpr_count:     148
    .vgpr_spill_count: 0
    .wavefront_size: 64
  - .args:
      - .offset:         0
        .size:           4
        .value_kind:     by_value
      - .offset:         4
        .size:           4
        .value_kind:     by_value
      - .address_space:  global
        .offset:         8
        .size:           8
        .value_kind:     global_buffer
      - .offset:         16
        .size:           4
        .value_kind:     by_value
      - .offset:         20
        .size:           4
        .value_kind:     by_value
      - .offset:         24
        .size:           8
        .value_kind:     by_value
    .group_segment_fixed_size: 276
    .kernarg_segment_align: 8
    .kernarg_segment_size: 32
    .language:       OpenCL C
    .language_version:
      - 2
      - 0
    .max_flat_workgroup_size: 64
    .name:           _ZN9rocsolver6v33100L18trti2_kernel_smallILi33EfPKPfEEv13rocblas_fill_17rocblas_diagonal_T1_iil
    .private_segment_fixed_size: 144
    .sgpr_count:     50
    .sgpr_spill_count: 0
    .symbol:         _ZN9rocsolver6v33100L18trti2_kernel_smallILi33EfPKPfEEv13rocblas_fill_17rocblas_diagonal_T1_iil.kd
    .uniform_work_group_size: 1
    .uses_dynamic_stack: false
    .vgpr_count:     76
    .vgpr_spill_count: 0
    .wavefront_size: 64
  - .args:
      - .offset:         0
        .size:           4
        .value_kind:     by_value
      - .offset:         4
        .size:           4
        .value_kind:     by_value
      - .address_space:  global
        .offset:         8
        .size:           8
        .value_kind:     global_buffer
      - .offset:         16
        .size:           4
        .value_kind:     by_value
      - .offset:         20
        .size:           4
        .value_kind:     by_value
      - .offset:         24
        .size:           8
        .value_kind:     by_value
    .group_segment_fixed_size: 280
    .kernarg_segment_align: 8
    .kernarg_segment_size: 32
    .language:       OpenCL C
    .language_version:
      - 2
      - 0
    .max_flat_workgroup_size: 64
    .name:           _ZN9rocsolver6v33100L18trti2_kernel_smallILi34EfPKPfEEv13rocblas_fill_17rocblas_diagonal_T1_iil
    .private_segment_fixed_size: 144
    .sgpr_count:     51
    .sgpr_spill_count: 0
    .symbol:         _ZN9rocsolver6v33100L18trti2_kernel_smallILi34EfPKPfEEv13rocblas_fill_17rocblas_diagonal_T1_iil.kd
    .uniform_work_group_size: 1
    .uses_dynamic_stack: false
    .vgpr_count:     78
    .vgpr_spill_count: 0
    .wavefront_size: 64
  - .args:
      - .offset:         0
        .size:           4
        .value_kind:     by_value
      - .offset:         4
        .size:           4
        .value_kind:     by_value
      - .address_space:  global
        .offset:         8
        .size:           8
        .value_kind:     global_buffer
      - .offset:         16
        .size:           4
        .value_kind:     by_value
      - .offset:         20
        .size:           4
        .value_kind:     by_value
      - .offset:         24
        .size:           8
        .value_kind:     by_value
    .group_segment_fixed_size: 284
    .kernarg_segment_align: 8
    .kernarg_segment_size: 32
    .language:       OpenCL C
    .language_version:
      - 2
      - 0
    .max_flat_workgroup_size: 64
    .name:           _ZN9rocsolver6v33100L18trti2_kernel_smallILi35EfPKPfEEv13rocblas_fill_17rocblas_diagonal_T1_iil
    .private_segment_fixed_size: 144
    .sgpr_count:     52
    .sgpr_spill_count: 0
    .symbol:         _ZN9rocsolver6v33100L18trti2_kernel_smallILi35EfPKPfEEv13rocblas_fill_17rocblas_diagonal_T1_iil.kd
    .uniform_work_group_size: 1
    .uses_dynamic_stack: false
    .vgpr_count:     80
    .vgpr_spill_count: 0
    .wavefront_size: 64
  - .args:
      - .offset:         0
        .size:           4
        .value_kind:     by_value
      - .offset:         4
        .size:           4
        .value_kind:     by_value
      - .address_space:  global
        .offset:         8
        .size:           8
        .value_kind:     global_buffer
      - .offset:         16
        .size:           4
        .value_kind:     by_value
      - .offset:         20
        .size:           4
        .value_kind:     by_value
      - .offset:         24
        .size:           8
        .value_kind:     by_value
    .group_segment_fixed_size: 288
    .kernarg_segment_align: 8
    .kernarg_segment_size: 32
    .language:       OpenCL C
    .language_version:
      - 2
      - 0
    .max_flat_workgroup_size: 64
    .name:           _ZN9rocsolver6v33100L18trti2_kernel_smallILi36EfPKPfEEv13rocblas_fill_17rocblas_diagonal_T1_iil
    .private_segment_fixed_size: 160
    .sgpr_count:     53
    .sgpr_spill_count: 0
    .symbol:         _ZN9rocsolver6v33100L18trti2_kernel_smallILi36EfPKPfEEv13rocblas_fill_17rocblas_diagonal_T1_iil.kd
    .uniform_work_group_size: 1
    .uses_dynamic_stack: false
    .vgpr_count:     82
    .vgpr_spill_count: 0
    .wavefront_size: 64
  - .args:
      - .offset:         0
        .size:           4
        .value_kind:     by_value
      - .offset:         4
        .size:           4
        .value_kind:     by_value
      - .address_space:  global
        .offset:         8
        .size:           8
        .value_kind:     global_buffer
      - .offset:         16
        .size:           4
        .value_kind:     by_value
      - .offset:         20
        .size:           4
        .value_kind:     by_value
      - .offset:         24
        .size:           8
        .value_kind:     by_value
    .group_segment_fixed_size: 308
    .kernarg_segment_align: 8
    .kernarg_segment_size: 32
    .language:       OpenCL C
    .language_version:
      - 2
      - 0
    .max_flat_workgroup_size: 64
    .name:           _ZN9rocsolver6v33100L18trti2_kernel_smallILi37EfPKPfEEv13rocblas_fill_17rocblas_diagonal_T1_iil
    .private_segment_fixed_size: 160
    .sgpr_count:     54
    .sgpr_spill_count: 0
    .symbol:         _ZN9rocsolver6v33100L18trti2_kernel_smallILi37EfPKPfEEv13rocblas_fill_17rocblas_diagonal_T1_iil.kd
    .uniform_work_group_size: 1
    .uses_dynamic_stack: false
    .vgpr_count:     84
    .vgpr_spill_count: 0
    .wavefront_size: 64
  - .args:
      - .offset:         0
        .size:           4
        .value_kind:     by_value
      - .offset:         4
        .size:           4
        .value_kind:     by_value
      - .address_space:  global
        .offset:         8
        .size:           8
        .value_kind:     global_buffer
      - .offset:         16
        .size:           4
        .value_kind:     by_value
      - .offset:         20
        .size:           4
        .value_kind:     by_value
      - .offset:         24
        .size:           8
        .value_kind:     by_value
    .group_segment_fixed_size: 312
    .kernarg_segment_align: 8
    .kernarg_segment_size: 32
    .language:       OpenCL C
    .language_version:
      - 2
      - 0
    .max_flat_workgroup_size: 64
    .name:           _ZN9rocsolver6v33100L18trti2_kernel_smallILi38EfPKPfEEv13rocblas_fill_17rocblas_diagonal_T1_iil
    .private_segment_fixed_size: 160
    .sgpr_count:     55
    .sgpr_spill_count: 0
    .symbol:         _ZN9rocsolver6v33100L18trti2_kernel_smallILi38EfPKPfEEv13rocblas_fill_17rocblas_diagonal_T1_iil.kd
    .uniform_work_group_size: 1
    .uses_dynamic_stack: false
    .vgpr_count:     86
    .vgpr_spill_count: 0
    .wavefront_size: 64
  - .args:
      - .offset:         0
        .size:           4
        .value_kind:     by_value
      - .offset:         4
        .size:           4
        .value_kind:     by_value
      - .address_space:  global
        .offset:         8
        .size:           8
        .value_kind:     global_buffer
      - .offset:         16
        .size:           4
        .value_kind:     by_value
      - .offset:         20
        .size:           4
        .value_kind:     by_value
      - .offset:         24
        .size:           8
        .value_kind:     by_value
    .group_segment_fixed_size: 316
    .kernarg_segment_align: 8
    .kernarg_segment_size: 32
    .language:       OpenCL C
    .language_version:
      - 2
      - 0
    .max_flat_workgroup_size: 64
    .name:           _ZN9rocsolver6v33100L18trti2_kernel_smallILi39EfPKPfEEv13rocblas_fill_17rocblas_diagonal_T1_iil
    .private_segment_fixed_size: 160
    .sgpr_count:     56
    .sgpr_spill_count: 0
    .symbol:         _ZN9rocsolver6v33100L18trti2_kernel_smallILi39EfPKPfEEv13rocblas_fill_17rocblas_diagonal_T1_iil.kd
    .uniform_work_group_size: 1
    .uses_dynamic_stack: false
    .vgpr_count:     88
    .vgpr_spill_count: 0
    .wavefront_size: 64
  - .args:
      - .offset:         0
        .size:           4
        .value_kind:     by_value
      - .offset:         4
        .size:           4
        .value_kind:     by_value
      - .address_space:  global
        .offset:         8
        .size:           8
        .value_kind:     global_buffer
      - .offset:         16
        .size:           4
        .value_kind:     by_value
      - .offset:         20
        .size:           4
        .value_kind:     by_value
      - .offset:         24
        .size:           8
        .value_kind:     by_value
    .group_segment_fixed_size: 320
    .kernarg_segment_align: 8
    .kernarg_segment_size: 32
    .language:       OpenCL C
    .language_version:
      - 2
      - 0
    .max_flat_workgroup_size: 64
    .name:           _ZN9rocsolver6v33100L18trti2_kernel_smallILi40EfPKPfEEv13rocblas_fill_17rocblas_diagonal_T1_iil
    .private_segment_fixed_size: 176
    .sgpr_count:     57
    .sgpr_spill_count: 0
    .symbol:         _ZN9rocsolver6v33100L18trti2_kernel_smallILi40EfPKPfEEv13rocblas_fill_17rocblas_diagonal_T1_iil.kd
    .uniform_work_group_size: 1
    .uses_dynamic_stack: false
    .vgpr_count:     90
    .vgpr_spill_count: 0
    .wavefront_size: 64
  - .args:
      - .offset:         0
        .size:           4
        .value_kind:     by_value
      - .offset:         4
        .size:           4
        .value_kind:     by_value
      - .address_space:  global
        .offset:         8
        .size:           8
        .value_kind:     global_buffer
      - .offset:         16
        .size:           4
        .value_kind:     by_value
      - .offset:         20
        .size:           4
        .value_kind:     by_value
      - .offset:         24
        .size:           8
        .value_kind:     by_value
    .group_segment_fixed_size: 340
    .kernarg_segment_align: 8
    .kernarg_segment_size: 32
    .language:       OpenCL C
    .language_version:
      - 2
      - 0
    .max_flat_workgroup_size: 64
    .name:           _ZN9rocsolver6v33100L18trti2_kernel_smallILi41EfPKPfEEv13rocblas_fill_17rocblas_diagonal_T1_iil
    .private_segment_fixed_size: 176
    .sgpr_count:     58
    .sgpr_spill_count: 0
    .symbol:         _ZN9rocsolver6v33100L18trti2_kernel_smallILi41EfPKPfEEv13rocblas_fill_17rocblas_diagonal_T1_iil.kd
    .uniform_work_group_size: 1
    .uses_dynamic_stack: false
    .vgpr_count:     92
    .vgpr_spill_count: 0
    .wavefront_size: 64
  - .args:
      - .offset:         0
        .size:           4
        .value_kind:     by_value
      - .offset:         4
        .size:           4
        .value_kind:     by_value
      - .address_space:  global
        .offset:         8
        .size:           8
        .value_kind:     global_buffer
      - .offset:         16
        .size:           4
        .value_kind:     by_value
      - .offset:         20
        .size:           4
        .value_kind:     by_value
      - .offset:         24
        .size:           8
        .value_kind:     by_value
    .group_segment_fixed_size: 344
    .kernarg_segment_align: 8
    .kernarg_segment_size: 32
    .language:       OpenCL C
    .language_version:
      - 2
      - 0
    .max_flat_workgroup_size: 64
    .name:           _ZN9rocsolver6v33100L18trti2_kernel_smallILi42EfPKPfEEv13rocblas_fill_17rocblas_diagonal_T1_iil
    .private_segment_fixed_size: 176
    .sgpr_count:     59
    .sgpr_spill_count: 0
    .symbol:         _ZN9rocsolver6v33100L18trti2_kernel_smallILi42EfPKPfEEv13rocblas_fill_17rocblas_diagonal_T1_iil.kd
    .uniform_work_group_size: 1
    .uses_dynamic_stack: false
    .vgpr_count:     94
    .vgpr_spill_count: 0
    .wavefront_size: 64
  - .args:
      - .offset:         0
        .size:           4
        .value_kind:     by_value
      - .offset:         4
        .size:           4
        .value_kind:     by_value
      - .address_space:  global
        .offset:         8
        .size:           8
        .value_kind:     global_buffer
      - .offset:         16
        .size:           4
        .value_kind:     by_value
      - .offset:         20
        .size:           4
        .value_kind:     by_value
      - .offset:         24
        .size:           8
        .value_kind:     by_value
    .group_segment_fixed_size: 348
    .kernarg_segment_align: 8
    .kernarg_segment_size: 32
    .language:       OpenCL C
    .language_version:
      - 2
      - 0
    .max_flat_workgroup_size: 64
    .name:           _ZN9rocsolver6v33100L18trti2_kernel_smallILi43EfPKPfEEv13rocblas_fill_17rocblas_diagonal_T1_iil
    .private_segment_fixed_size: 176
    .sgpr_count:     60
    .sgpr_spill_count: 0
    .symbol:         _ZN9rocsolver6v33100L18trti2_kernel_smallILi43EfPKPfEEv13rocblas_fill_17rocblas_diagonal_T1_iil.kd
    .uniform_work_group_size: 1
    .uses_dynamic_stack: false
    .vgpr_count:     96
    .vgpr_spill_count: 0
    .wavefront_size: 64
  - .args:
      - .offset:         0
        .size:           4
        .value_kind:     by_value
      - .offset:         4
        .size:           4
        .value_kind:     by_value
      - .address_space:  global
        .offset:         8
        .size:           8
        .value_kind:     global_buffer
      - .offset:         16
        .size:           4
        .value_kind:     by_value
      - .offset:         20
        .size:           4
        .value_kind:     by_value
      - .offset:         24
        .size:           8
        .value_kind:     by_value
    .group_segment_fixed_size: 352
    .kernarg_segment_align: 8
    .kernarg_segment_size: 32
    .language:       OpenCL C
    .language_version:
      - 2
      - 0
    .max_flat_workgroup_size: 64
    .name:           _ZN9rocsolver6v33100L18trti2_kernel_smallILi44EfPKPfEEv13rocblas_fill_17rocblas_diagonal_T1_iil
    .private_segment_fixed_size: 192
    .sgpr_count:     61
    .sgpr_spill_count: 0
    .symbol:         _ZN9rocsolver6v33100L18trti2_kernel_smallILi44EfPKPfEEv13rocblas_fill_17rocblas_diagonal_T1_iil.kd
    .uniform_work_group_size: 1
    .uses_dynamic_stack: false
    .vgpr_count:     98
    .vgpr_spill_count: 0
    .wavefront_size: 64
  - .args:
      - .offset:         0
        .size:           4
        .value_kind:     by_value
      - .offset:         4
        .size:           4
        .value_kind:     by_value
      - .address_space:  global
        .offset:         8
        .size:           8
        .value_kind:     global_buffer
      - .offset:         16
        .size:           4
        .value_kind:     by_value
      - .offset:         20
        .size:           4
        .value_kind:     by_value
      - .offset:         24
        .size:           8
        .value_kind:     by_value
    .group_segment_fixed_size: 372
    .kernarg_segment_align: 8
    .kernarg_segment_size: 32
    .language:       OpenCL C
    .language_version:
      - 2
      - 0
    .max_flat_workgroup_size: 64
    .name:           _ZN9rocsolver6v33100L18trti2_kernel_smallILi45EfPKPfEEv13rocblas_fill_17rocblas_diagonal_T1_iil
    .private_segment_fixed_size: 192
    .sgpr_count:     62
    .sgpr_spill_count: 0
    .symbol:         _ZN9rocsolver6v33100L18trti2_kernel_smallILi45EfPKPfEEv13rocblas_fill_17rocblas_diagonal_T1_iil.kd
    .uniform_work_group_size: 1
    .uses_dynamic_stack: false
    .vgpr_count:     100
    .vgpr_spill_count: 0
    .wavefront_size: 64
  - .args:
      - .offset:         0
        .size:           4
        .value_kind:     by_value
      - .offset:         4
        .size:           4
        .value_kind:     by_value
      - .address_space:  global
        .offset:         8
        .size:           8
        .value_kind:     global_buffer
      - .offset:         16
        .size:           4
        .value_kind:     by_value
      - .offset:         20
        .size:           4
        .value_kind:     by_value
      - .offset:         24
        .size:           8
        .value_kind:     by_value
    .group_segment_fixed_size: 376
    .kernarg_segment_align: 8
    .kernarg_segment_size: 32
    .language:       OpenCL C
    .language_version:
      - 2
      - 0
    .max_flat_workgroup_size: 64
    .name:           _ZN9rocsolver6v33100L18trti2_kernel_smallILi46EfPKPfEEv13rocblas_fill_17rocblas_diagonal_T1_iil
    .private_segment_fixed_size: 192
    .sgpr_count:     63
    .sgpr_spill_count: 0
    .symbol:         _ZN9rocsolver6v33100L18trti2_kernel_smallILi46EfPKPfEEv13rocblas_fill_17rocblas_diagonal_T1_iil.kd
    .uniform_work_group_size: 1
    .uses_dynamic_stack: false
    .vgpr_count:     102
    .vgpr_spill_count: 0
    .wavefront_size: 64
  - .args:
      - .offset:         0
        .size:           4
        .value_kind:     by_value
      - .offset:         4
        .size:           4
        .value_kind:     by_value
      - .address_space:  global
        .offset:         8
        .size:           8
        .value_kind:     global_buffer
      - .offset:         16
        .size:           4
        .value_kind:     by_value
      - .offset:         20
        .size:           4
        .value_kind:     by_value
      - .offset:         24
        .size:           8
        .value_kind:     by_value
    .group_segment_fixed_size: 380
    .kernarg_segment_align: 8
    .kernarg_segment_size: 32
    .language:       OpenCL C
    .language_version:
      - 2
      - 0
    .max_flat_workgroup_size: 64
    .name:           _ZN9rocsolver6v33100L18trti2_kernel_smallILi47EfPKPfEEv13rocblas_fill_17rocblas_diagonal_T1_iil
    .private_segment_fixed_size: 192
    .sgpr_count:     64
    .sgpr_spill_count: 0
    .symbol:         _ZN9rocsolver6v33100L18trti2_kernel_smallILi47EfPKPfEEv13rocblas_fill_17rocblas_diagonal_T1_iil.kd
    .uniform_work_group_size: 1
    .uses_dynamic_stack: false
    .vgpr_count:     104
    .vgpr_spill_count: 0
    .wavefront_size: 64
  - .args:
      - .offset:         0
        .size:           4
        .value_kind:     by_value
      - .offset:         4
        .size:           4
        .value_kind:     by_value
      - .address_space:  global
        .offset:         8
        .size:           8
        .value_kind:     global_buffer
      - .offset:         16
        .size:           4
        .value_kind:     by_value
      - .offset:         20
        .size:           4
        .value_kind:     by_value
      - .offset:         24
        .size:           8
        .value_kind:     by_value
    .group_segment_fixed_size: 384
    .kernarg_segment_align: 8
    .kernarg_segment_size: 32
    .language:       OpenCL C
    .language_version:
      - 2
      - 0
    .max_flat_workgroup_size: 64
    .name:           _ZN9rocsolver6v33100L18trti2_kernel_smallILi48EfPKPfEEv13rocblas_fill_17rocblas_diagonal_T1_iil
    .private_segment_fixed_size: 208
    .sgpr_count:     65
    .sgpr_spill_count: 0
    .symbol:         _ZN9rocsolver6v33100L18trti2_kernel_smallILi48EfPKPfEEv13rocblas_fill_17rocblas_diagonal_T1_iil.kd
    .uniform_work_group_size: 1
    .uses_dynamic_stack: false
    .vgpr_count:     106
    .vgpr_spill_count: 0
    .wavefront_size: 64
  - .args:
      - .offset:         0
        .size:           4
        .value_kind:     by_value
      - .offset:         4
        .size:           4
        .value_kind:     by_value
      - .address_space:  global
        .offset:         8
        .size:           8
        .value_kind:     global_buffer
      - .offset:         16
        .size:           4
        .value_kind:     by_value
      - .offset:         20
        .size:           4
        .value_kind:     by_value
      - .offset:         24
        .size:           8
        .value_kind:     by_value
    .group_segment_fixed_size: 404
    .kernarg_segment_align: 8
    .kernarg_segment_size: 32
    .language:       OpenCL C
    .language_version:
      - 2
      - 0
    .max_flat_workgroup_size: 64
    .name:           _ZN9rocsolver6v33100L18trti2_kernel_smallILi49EfPKPfEEv13rocblas_fill_17rocblas_diagonal_T1_iil
    .private_segment_fixed_size: 208
    .sgpr_count:     66
    .sgpr_spill_count: 0
    .symbol:         _ZN9rocsolver6v33100L18trti2_kernel_smallILi49EfPKPfEEv13rocblas_fill_17rocblas_diagonal_T1_iil.kd
    .uniform_work_group_size: 1
    .uses_dynamic_stack: false
    .vgpr_count:     108
    .vgpr_spill_count: 0
    .wavefront_size: 64
  - .args:
      - .offset:         0
        .size:           4
        .value_kind:     by_value
      - .offset:         4
        .size:           4
        .value_kind:     by_value
      - .address_space:  global
        .offset:         8
        .size:           8
        .value_kind:     global_buffer
      - .offset:         16
        .size:           4
        .value_kind:     by_value
      - .offset:         20
        .size:           4
        .value_kind:     by_value
      - .offset:         24
        .size:           8
        .value_kind:     by_value
    .group_segment_fixed_size: 408
    .kernarg_segment_align: 8
    .kernarg_segment_size: 32
    .language:       OpenCL C
    .language_version:
      - 2
      - 0
    .max_flat_workgroup_size: 64
    .name:           _ZN9rocsolver6v33100L18trti2_kernel_smallILi50EfPKPfEEv13rocblas_fill_17rocblas_diagonal_T1_iil
    .private_segment_fixed_size: 208
    .sgpr_count:     67
    .sgpr_spill_count: 0
    .symbol:         _ZN9rocsolver6v33100L18trti2_kernel_smallILi50EfPKPfEEv13rocblas_fill_17rocblas_diagonal_T1_iil.kd
    .uniform_work_group_size: 1
    .uses_dynamic_stack: false
    .vgpr_count:     110
    .vgpr_spill_count: 0
    .wavefront_size: 64
  - .args:
      - .offset:         0
        .size:           4
        .value_kind:     by_value
      - .offset:         4
        .size:           4
        .value_kind:     by_value
      - .address_space:  global
        .offset:         8
        .size:           8
        .value_kind:     global_buffer
      - .offset:         16
        .size:           4
        .value_kind:     by_value
      - .offset:         20
        .size:           4
        .value_kind:     by_value
      - .offset:         24
        .size:           8
        .value_kind:     by_value
    .group_segment_fixed_size: 412
    .kernarg_segment_align: 8
    .kernarg_segment_size: 32
    .language:       OpenCL C
    .language_version:
      - 2
      - 0
    .max_flat_workgroup_size: 64
    .name:           _ZN9rocsolver6v33100L18trti2_kernel_smallILi51EfPKPfEEv13rocblas_fill_17rocblas_diagonal_T1_iil
    .private_segment_fixed_size: 208
    .sgpr_count:     68
    .sgpr_spill_count: 0
    .symbol:         _ZN9rocsolver6v33100L18trti2_kernel_smallILi51EfPKPfEEv13rocblas_fill_17rocblas_diagonal_T1_iil.kd
    .uniform_work_group_size: 1
    .uses_dynamic_stack: false
    .vgpr_count:     112
    .vgpr_spill_count: 0
    .wavefront_size: 64
  - .args:
      - .offset:         0
        .size:           4
        .value_kind:     by_value
      - .offset:         4
        .size:           4
        .value_kind:     by_value
      - .address_space:  global
        .offset:         8
        .size:           8
        .value_kind:     global_buffer
      - .offset:         16
        .size:           4
        .value_kind:     by_value
      - .offset:         20
        .size:           4
        .value_kind:     by_value
      - .offset:         24
        .size:           8
        .value_kind:     by_value
    .group_segment_fixed_size: 416
    .kernarg_segment_align: 8
    .kernarg_segment_size: 32
    .language:       OpenCL C
    .language_version:
      - 2
      - 0
    .max_flat_workgroup_size: 64
    .name:           _ZN9rocsolver6v33100L18trti2_kernel_smallILi52EfPKPfEEv13rocblas_fill_17rocblas_diagonal_T1_iil
    .private_segment_fixed_size: 224
    .sgpr_count:     69
    .sgpr_spill_count: 0
    .symbol:         _ZN9rocsolver6v33100L18trti2_kernel_smallILi52EfPKPfEEv13rocblas_fill_17rocblas_diagonal_T1_iil.kd
    .uniform_work_group_size: 1
    .uses_dynamic_stack: false
    .vgpr_count:     114
    .vgpr_spill_count: 0
    .wavefront_size: 64
  - .args:
      - .offset:         0
        .size:           4
        .value_kind:     by_value
      - .offset:         4
        .size:           4
        .value_kind:     by_value
      - .address_space:  global
        .offset:         8
        .size:           8
        .value_kind:     global_buffer
      - .offset:         16
        .size:           4
        .value_kind:     by_value
      - .offset:         20
        .size:           4
        .value_kind:     by_value
      - .offset:         24
        .size:           8
        .value_kind:     by_value
    .group_segment_fixed_size: 436
    .kernarg_segment_align: 8
    .kernarg_segment_size: 32
    .language:       OpenCL C
    .language_version:
      - 2
      - 0
    .max_flat_workgroup_size: 64
    .name:           _ZN9rocsolver6v33100L18trti2_kernel_smallILi53EfPKPfEEv13rocblas_fill_17rocblas_diagonal_T1_iil
    .private_segment_fixed_size: 224
    .sgpr_count:     70
    .sgpr_spill_count: 0
    .symbol:         _ZN9rocsolver6v33100L18trti2_kernel_smallILi53EfPKPfEEv13rocblas_fill_17rocblas_diagonal_T1_iil.kd
    .uniform_work_group_size: 1
    .uses_dynamic_stack: false
    .vgpr_count:     116
    .vgpr_spill_count: 0
    .wavefront_size: 64
  - .args:
      - .offset:         0
        .size:           4
        .value_kind:     by_value
      - .offset:         4
        .size:           4
        .value_kind:     by_value
      - .address_space:  global
        .offset:         8
        .size:           8
        .value_kind:     global_buffer
      - .offset:         16
        .size:           4
        .value_kind:     by_value
      - .offset:         20
        .size:           4
        .value_kind:     by_value
      - .offset:         24
        .size:           8
        .value_kind:     by_value
    .group_segment_fixed_size: 440
    .kernarg_segment_align: 8
    .kernarg_segment_size: 32
    .language:       OpenCL C
    .language_version:
      - 2
      - 0
    .max_flat_workgroup_size: 64
    .name:           _ZN9rocsolver6v33100L18trti2_kernel_smallILi54EfPKPfEEv13rocblas_fill_17rocblas_diagonal_T1_iil
    .private_segment_fixed_size: 224
    .sgpr_count:     71
    .sgpr_spill_count: 0
    .symbol:         _ZN9rocsolver6v33100L18trti2_kernel_smallILi54EfPKPfEEv13rocblas_fill_17rocblas_diagonal_T1_iil.kd
    .uniform_work_group_size: 1
    .uses_dynamic_stack: false
    .vgpr_count:     118
    .vgpr_spill_count: 0
    .wavefront_size: 64
  - .args:
      - .offset:         0
        .size:           4
        .value_kind:     by_value
      - .offset:         4
        .size:           4
        .value_kind:     by_value
      - .address_space:  global
        .offset:         8
        .size:           8
        .value_kind:     global_buffer
      - .offset:         16
        .size:           4
        .value_kind:     by_value
      - .offset:         20
        .size:           4
        .value_kind:     by_value
      - .offset:         24
        .size:           8
        .value_kind:     by_value
    .group_segment_fixed_size: 444
    .kernarg_segment_align: 8
    .kernarg_segment_size: 32
    .language:       OpenCL C
    .language_version:
      - 2
      - 0
    .max_flat_workgroup_size: 64
    .name:           _ZN9rocsolver6v33100L18trti2_kernel_smallILi55EfPKPfEEv13rocblas_fill_17rocblas_diagonal_T1_iil
    .private_segment_fixed_size: 224
    .sgpr_count:     72
    .sgpr_spill_count: 0
    .symbol:         _ZN9rocsolver6v33100L18trti2_kernel_smallILi55EfPKPfEEv13rocblas_fill_17rocblas_diagonal_T1_iil.kd
    .uniform_work_group_size: 1
    .uses_dynamic_stack: false
    .vgpr_count:     120
    .vgpr_spill_count: 0
    .wavefront_size: 64
  - .args:
      - .offset:         0
        .size:           4
        .value_kind:     by_value
      - .offset:         4
        .size:           4
        .value_kind:     by_value
      - .address_space:  global
        .offset:         8
        .size:           8
        .value_kind:     global_buffer
      - .offset:         16
        .size:           4
        .value_kind:     by_value
      - .offset:         20
        .size:           4
        .value_kind:     by_value
      - .offset:         24
        .size:           8
        .value_kind:     by_value
    .group_segment_fixed_size: 448
    .kernarg_segment_align: 8
    .kernarg_segment_size: 32
    .language:       OpenCL C
    .language_version:
      - 2
      - 0
    .max_flat_workgroup_size: 64
    .name:           _ZN9rocsolver6v33100L18trti2_kernel_smallILi56EfPKPfEEv13rocblas_fill_17rocblas_diagonal_T1_iil
    .private_segment_fixed_size: 240
    .sgpr_count:     73
    .sgpr_spill_count: 0
    .symbol:         _ZN9rocsolver6v33100L18trti2_kernel_smallILi56EfPKPfEEv13rocblas_fill_17rocblas_diagonal_T1_iil.kd
    .uniform_work_group_size: 1
    .uses_dynamic_stack: false
    .vgpr_count:     122
    .vgpr_spill_count: 0
    .wavefront_size: 64
  - .args:
      - .offset:         0
        .size:           4
        .value_kind:     by_value
      - .offset:         4
        .size:           4
        .value_kind:     by_value
      - .address_space:  global
        .offset:         8
        .size:           8
        .value_kind:     global_buffer
      - .offset:         16
        .size:           4
        .value_kind:     by_value
      - .offset:         20
        .size:           4
        .value_kind:     by_value
      - .offset:         24
        .size:           8
        .value_kind:     by_value
    .group_segment_fixed_size: 468
    .kernarg_segment_align: 8
    .kernarg_segment_size: 32
    .language:       OpenCL C
    .language_version:
      - 2
      - 0
    .max_flat_workgroup_size: 64
    .name:           _ZN9rocsolver6v33100L18trti2_kernel_smallILi57EfPKPfEEv13rocblas_fill_17rocblas_diagonal_T1_iil
    .private_segment_fixed_size: 240
    .sgpr_count:     74
    .sgpr_spill_count: 0
    .symbol:         _ZN9rocsolver6v33100L18trti2_kernel_smallILi57EfPKPfEEv13rocblas_fill_17rocblas_diagonal_T1_iil.kd
    .uniform_work_group_size: 1
    .uses_dynamic_stack: false
    .vgpr_count:     124
    .vgpr_spill_count: 0
    .wavefront_size: 64
  - .args:
      - .offset:         0
        .size:           4
        .value_kind:     by_value
      - .offset:         4
        .size:           4
        .value_kind:     by_value
      - .address_space:  global
        .offset:         8
        .size:           8
        .value_kind:     global_buffer
      - .offset:         16
        .size:           4
        .value_kind:     by_value
      - .offset:         20
        .size:           4
        .value_kind:     by_value
      - .offset:         24
        .size:           8
        .value_kind:     by_value
    .group_segment_fixed_size: 472
    .kernarg_segment_align: 8
    .kernarg_segment_size: 32
    .language:       OpenCL C
    .language_version:
      - 2
      - 0
    .max_flat_workgroup_size: 64
    .name:           _ZN9rocsolver6v33100L18trti2_kernel_smallILi58EfPKPfEEv13rocblas_fill_17rocblas_diagonal_T1_iil
    .private_segment_fixed_size: 240
    .sgpr_count:     75
    .sgpr_spill_count: 0
    .symbol:         _ZN9rocsolver6v33100L18trti2_kernel_smallILi58EfPKPfEEv13rocblas_fill_17rocblas_diagonal_T1_iil.kd
    .uniform_work_group_size: 1
    .uses_dynamic_stack: false
    .vgpr_count:     126
    .vgpr_spill_count: 0
    .wavefront_size: 64
  - .args:
      - .offset:         0
        .size:           4
        .value_kind:     by_value
      - .offset:         4
        .size:           4
        .value_kind:     by_value
      - .address_space:  global
        .offset:         8
        .size:           8
        .value_kind:     global_buffer
      - .offset:         16
        .size:           4
        .value_kind:     by_value
      - .offset:         20
        .size:           4
        .value_kind:     by_value
      - .offset:         24
        .size:           8
        .value_kind:     by_value
    .group_segment_fixed_size: 476
    .kernarg_segment_align: 8
    .kernarg_segment_size: 32
    .language:       OpenCL C
    .language_version:
      - 2
      - 0
    .max_flat_workgroup_size: 64
    .name:           _ZN9rocsolver6v33100L18trti2_kernel_smallILi59EfPKPfEEv13rocblas_fill_17rocblas_diagonal_T1_iil
    .private_segment_fixed_size: 240
    .sgpr_count:     76
    .sgpr_spill_count: 0
    .symbol:         _ZN9rocsolver6v33100L18trti2_kernel_smallILi59EfPKPfEEv13rocblas_fill_17rocblas_diagonal_T1_iil.kd
    .uniform_work_group_size: 1
    .uses_dynamic_stack: false
    .vgpr_count:     128
    .vgpr_spill_count: 0
    .wavefront_size: 64
  - .args:
      - .offset:         0
        .size:           4
        .value_kind:     by_value
      - .offset:         4
        .size:           4
        .value_kind:     by_value
      - .address_space:  global
        .offset:         8
        .size:           8
        .value_kind:     global_buffer
      - .offset:         16
        .size:           4
        .value_kind:     by_value
      - .offset:         20
        .size:           4
        .value_kind:     by_value
      - .offset:         24
        .size:           8
        .value_kind:     by_value
    .group_segment_fixed_size: 480
    .kernarg_segment_align: 8
    .kernarg_segment_size: 32
    .language:       OpenCL C
    .language_version:
      - 2
      - 0
    .max_flat_workgroup_size: 64
    .name:           _ZN9rocsolver6v33100L18trti2_kernel_smallILi60EfPKPfEEv13rocblas_fill_17rocblas_diagonal_T1_iil
    .private_segment_fixed_size: 256
    .sgpr_count:     77
    .sgpr_spill_count: 0
    .symbol:         _ZN9rocsolver6v33100L18trti2_kernel_smallILi60EfPKPfEEv13rocblas_fill_17rocblas_diagonal_T1_iil.kd
    .uniform_work_group_size: 1
    .uses_dynamic_stack: false
    .vgpr_count:     130
    .vgpr_spill_count: 0
    .wavefront_size: 64
  - .args:
      - .offset:         0
        .size:           4
        .value_kind:     by_value
      - .offset:         4
        .size:           4
        .value_kind:     by_value
      - .address_space:  global
        .offset:         8
        .size:           8
        .value_kind:     global_buffer
      - .offset:         16
        .size:           4
        .value_kind:     by_value
      - .offset:         20
        .size:           4
        .value_kind:     by_value
      - .offset:         24
        .size:           8
        .value_kind:     by_value
    .group_segment_fixed_size: 500
    .kernarg_segment_align: 8
    .kernarg_segment_size: 32
    .language:       OpenCL C
    .language_version:
      - 2
      - 0
    .max_flat_workgroup_size: 64
    .name:           _ZN9rocsolver6v33100L18trti2_kernel_smallILi61EfPKPfEEv13rocblas_fill_17rocblas_diagonal_T1_iil
    .private_segment_fixed_size: 256
    .sgpr_count:     78
    .sgpr_spill_count: 0
    .symbol:         _ZN9rocsolver6v33100L18trti2_kernel_smallILi61EfPKPfEEv13rocblas_fill_17rocblas_diagonal_T1_iil.kd
    .uniform_work_group_size: 1
    .uses_dynamic_stack: false
    .vgpr_count:     132
    .vgpr_spill_count: 0
    .wavefront_size: 64
  - .args:
      - .offset:         0
        .size:           4
        .value_kind:     by_value
      - .offset:         4
        .size:           4
        .value_kind:     by_value
      - .address_space:  global
        .offset:         8
        .size:           8
        .value_kind:     global_buffer
      - .offset:         16
        .size:           4
        .value_kind:     by_value
      - .offset:         20
        .size:           4
        .value_kind:     by_value
      - .offset:         24
        .size:           8
        .value_kind:     by_value
    .group_segment_fixed_size: 504
    .kernarg_segment_align: 8
    .kernarg_segment_size: 32
    .language:       OpenCL C
    .language_version:
      - 2
      - 0
    .max_flat_workgroup_size: 64
    .name:           _ZN9rocsolver6v33100L18trti2_kernel_smallILi62EfPKPfEEv13rocblas_fill_17rocblas_diagonal_T1_iil
    .private_segment_fixed_size: 256
    .sgpr_count:     79
    .sgpr_spill_count: 0
    .symbol:         _ZN9rocsolver6v33100L18trti2_kernel_smallILi62EfPKPfEEv13rocblas_fill_17rocblas_diagonal_T1_iil.kd
    .uniform_work_group_size: 1
    .uses_dynamic_stack: false
    .vgpr_count:     134
    .vgpr_spill_count: 0
    .wavefront_size: 64
  - .args:
      - .offset:         0
        .size:           4
        .value_kind:     by_value
      - .offset:         4
        .size:           4
        .value_kind:     by_value
      - .address_space:  global
        .offset:         8
        .size:           8
        .value_kind:     global_buffer
      - .offset:         16
        .size:           4
        .value_kind:     by_value
      - .offset:         20
        .size:           4
        .value_kind:     by_value
      - .offset:         24
        .size:           8
        .value_kind:     by_value
    .group_segment_fixed_size: 508
    .kernarg_segment_align: 8
    .kernarg_segment_size: 32
    .language:       OpenCL C
    .language_version:
      - 2
      - 0
    .max_flat_workgroup_size: 64
    .name:           _ZN9rocsolver6v33100L18trti2_kernel_smallILi63EfPKPfEEv13rocblas_fill_17rocblas_diagonal_T1_iil
    .private_segment_fixed_size: 256
    .sgpr_count:     80
    .sgpr_spill_count: 0
    .symbol:         _ZN9rocsolver6v33100L18trti2_kernel_smallILi63EfPKPfEEv13rocblas_fill_17rocblas_diagonal_T1_iil.kd
    .uniform_work_group_size: 1
    .uses_dynamic_stack: false
    .vgpr_count:     136
    .vgpr_spill_count: 0
    .wavefront_size: 64
  - .args:
      - .offset:         0
        .size:           4
        .value_kind:     by_value
      - .offset:         4
        .size:           4
        .value_kind:     by_value
      - .address_space:  global
        .offset:         8
        .size:           8
        .value_kind:     global_buffer
      - .offset:         16
        .size:           4
        .value_kind:     by_value
      - .offset:         20
        .size:           4
        .value_kind:     by_value
      - .offset:         24
        .size:           8
        .value_kind:     by_value
    .group_segment_fixed_size: 512
    .kernarg_segment_align: 8
    .kernarg_segment_size: 32
    .language:       OpenCL C
    .language_version:
      - 2
      - 0
    .max_flat_workgroup_size: 64
    .name:           _ZN9rocsolver6v33100L18trti2_kernel_smallILi64EfPKPfEEv13rocblas_fill_17rocblas_diagonal_T1_iil
    .private_segment_fixed_size: 272
    .sgpr_count:     81
    .sgpr_spill_count: 0
    .symbol:         _ZN9rocsolver6v33100L18trti2_kernel_smallILi64EfPKPfEEv13rocblas_fill_17rocblas_diagonal_T1_iil.kd
    .uniform_work_group_size: 1
    .uses_dynamic_stack: false
    .vgpr_count:     138
    .vgpr_spill_count: 0
    .wavefront_size: 64
amdhsa.target:   amdgcn-amd-amdhsa--gfx906
amdhsa.version:
  - 1
  - 2
...

	.end_amdgpu_metadata
